;; amdgpu-corpus repo=ROCm/rccl kind=compiled arch=gfx1100 opt=O3
	.text
	.amdgcn_target "amdgcn-amd-amdhsa--gfx1100"
	.amdhsa_code_object_version 6
	.p2align	2                               ; -- Begin function __ockl_fprintf_append_string_n
	.type	__ockl_fprintf_append_string_n,@function
__ockl_fprintf_append_string_n:         ; @__ockl_fprintf_append_string_n
; %bb.0:
	s_waitcnt vmcnt(0) expcnt(0) lgkmcnt(0)
	v_dual_mov_b32 v8, v3 :: v_dual_mov_b32 v7, v2
	v_or_b32_e32 v2, 2, v0
	v_cmp_eq_u32_e32 vcc_lo, 0, v6
	v_mbcnt_lo_u32_b32 v33, -1, 0
	s_mov_b32 s11, 0
	s_mov_b32 s0, exec_lo
	v_cndmask_b32_e32 v0, v2, v0, vcc_lo
	v_cmpx_ne_u64_e32 0, v[7:8]
	s_xor_b32 s10, exec_lo, s0
	s_cbranch_execz .LBB0_86
; %bb.1:
	s_load_b64 s[2:3], s[8:9], 0x50
	v_dual_mov_b32 v11, 2 :: v_dual_and_b32 v6, 2, v0
	v_mov_b32_e32 v10, 0
	v_and_b32_e32 v0, -3, v0
	v_mov_b32_e32 v12, 1
	s_mov_b32 s12, 0
	s_branch .LBB0_3
.LBB0_2:                                ;   in Loop: Header=BB0_3 Depth=1
	s_or_b32 exec_lo, exec_lo, s1
	v_sub_co_u32 v4, vcc_lo, v4, v29
	v_sub_co_ci_u32_e32 v5, vcc_lo, v5, v30, vcc_lo
	v_add_co_u32 v7, s0, v7, v29
	s_delay_alu instid0(VALU_DEP_1) | instskip(NEXT) | instid1(VALU_DEP_3)
	v_add_co_ci_u32_e64 v8, s0, v8, v30, s0
	v_cmp_eq_u64_e32 vcc_lo, 0, v[4:5]
	s_or_b32 s12, vcc_lo, s12
	s_delay_alu instid0(SALU_CYCLE_1)
	s_and_not1_b32 exec_lo, exec_lo, s12
	s_cbranch_execz .LBB0_85
.LBB0_3:                                ; =>This Loop Header: Depth=1
                                        ;     Child Loop BB0_6 Depth 2
                                        ;     Child Loop BB0_14 Depth 2
	;; [unrolled: 1-line block ×11, first 2 shown]
	v_cmp_gt_u64_e32 vcc_lo, 56, v[4:5]
	s_mov_b32 s1, exec_lo
                                        ; implicit-def: $vgpr2_vgpr3
                                        ; implicit-def: $sgpr4
	v_dual_cndmask_b32 v30, 0, v5 :: v_dual_cndmask_b32 v29, 56, v4
	v_cmpx_gt_u64_e32 8, v[4:5]
	s_xor_b32 s1, exec_lo, s1
	s_cbranch_execz .LBB0_9
; %bb.4:                                ;   in Loop: Header=BB0_3 Depth=1
	s_waitcnt vmcnt(0)
	v_mov_b32_e32 v2, 0
	v_mov_b32_e32 v3, 0
	s_mov_b64 s[4:5], 0
	s_mov_b32 s6, exec_lo
	v_cmpx_ne_u64_e32 0, v[4:5]
	s_cbranch_execz .LBB0_8
; %bb.5:                                ;   in Loop: Header=BB0_3 Depth=1
	v_lshlrev_b64 v[13:14], 3, v[29:30]
	v_dual_mov_b32 v2, 0 :: v_dual_mov_b32 v15, v8
	v_dual_mov_b32 v3, 0 :: v_dual_mov_b32 v14, v7
	s_mov_b32 s7, 0
	.p2align	6
.LBB0_6:                                ;   Parent Loop BB0_3 Depth=1
                                        ; =>  This Inner Loop Header: Depth=2
	flat_load_u8 v9, v[14:15]
	v_mov_b32_e32 v17, s11
	v_add_co_u32 v14, vcc_lo, v14, 1
	v_add_co_ci_u32_e32 v15, vcc_lo, 0, v15, vcc_lo
	s_waitcnt vmcnt(0) lgkmcnt(0)
	v_and_b32_e32 v16, 0xffff, v9
	s_delay_alu instid0(VALU_DEP_1) | instskip(SKIP_3) | instid1(VALU_DEP_2)
	v_lshlrev_b64 v[16:17], s4, v[16:17]
	s_add_u32 s4, s4, 8
	s_addc_u32 s5, s5, 0
	v_cmp_eq_u32_e64 s0, s4, v13
	v_or_b32_e32 v3, v17, v3
	s_delay_alu instid0(VALU_DEP_3) | instskip(NEXT) | instid1(VALU_DEP_3)
	v_or_b32_e32 v2, v16, v2
	s_or_b32 s7, s0, s7
	s_delay_alu instid0(SALU_CYCLE_1)
	s_and_not1_b32 exec_lo, exec_lo, s7
	s_cbranch_execnz .LBB0_6
; %bb.7:                                ;   in Loop: Header=BB0_3 Depth=1
	s_or_b32 exec_lo, exec_lo, s7
.LBB0_8:                                ;   in Loop: Header=BB0_3 Depth=1
	s_delay_alu instid0(SALU_CYCLE_1)
	s_or_b32 exec_lo, exec_lo, s6
	s_mov_b32 s4, 0
.LBB0_9:                                ;   in Loop: Header=BB0_3 Depth=1
	s_or_saveexec_b32 s0, s1
	v_dual_mov_b32 v9, s4 :: v_dual_mov_b32 v26, v8
	v_mov_b32_e32 v25, v7
	s_xor_b32 exec_lo, exec_lo, s0
	s_cbranch_execz .LBB0_11
; %bb.10:                               ;   in Loop: Header=BB0_3 Depth=1
	s_waitcnt vmcnt(0)
	flat_load_b64 v[2:3], v[7:8]
	v_add_co_u32 v25, vcc_lo, v7, 8
	v_add_co_ci_u32_e32 v26, vcc_lo, 0, v8, vcc_lo
	s_waitcnt vmcnt(0) lgkmcnt(0)
	v_and_b32_e32 v9, 0xff, v3
	v_and_b32_e32 v13, 0xff00, v3
	;; [unrolled: 1-line block ×4, first 2 shown]
	v_or3_b32 v2, v2, 0, 0
	s_delay_alu instid0(VALU_DEP_4) | instskip(SKIP_1) | instid1(VALU_DEP_2)
	v_or_b32_e32 v13, v9, v13
	v_add_nc_u32_e32 v9, -8, v29
	v_or3_b32 v3, v13, v14, v3
.LBB0_11:                               ;   in Loop: Header=BB0_3 Depth=1
	s_or_b32 exec_lo, exec_lo, s0
                                        ; implicit-def: $vgpr13_vgpr14
                                        ; implicit-def: $sgpr1
	s_delay_alu instid0(SALU_CYCLE_1) | instskip(NEXT) | instid1(VALU_DEP_2)
	s_mov_b32 s0, exec_lo
	v_cmpx_gt_u32_e32 8, v9
	s_xor_b32 s6, exec_lo, s0
	s_cbranch_execz .LBB0_17
; %bb.12:                               ;   in Loop: Header=BB0_3 Depth=1
	v_mov_b32_e32 v13, 0
	v_mov_b32_e32 v14, 0
	s_mov_b32 s7, exec_lo
	v_cmpx_ne_u32_e32 0, v9
	s_cbranch_execz .LBB0_16
; %bb.13:                               ;   in Loop: Header=BB0_3 Depth=1
	v_mov_b32_e32 v13, 0
	v_mov_b32_e32 v14, 0
	s_mov_b64 s[0:1], 0
	s_mov_b32 s13, 0
	s_mov_b64 s[4:5], 0
	.p2align	6
.LBB0_14:                               ;   Parent Loop BB0_3 Depth=1
                                        ; =>  This Inner Loop Header: Depth=2
	s_delay_alu instid0(SALU_CYCLE_1)
	v_add_co_u32 v15, vcc_lo, v25, s4
	v_add_co_ci_u32_e32 v16, vcc_lo, s5, v26, vcc_lo
	s_add_u32 s4, s4, 1
	s_addc_u32 s5, s5, 0
	v_cmp_eq_u32_e32 vcc_lo, s4, v9
	flat_load_u8 v15, v[15:16]
	s_waitcnt vmcnt(0) lgkmcnt(0)
	v_dual_mov_b32 v16, s11 :: v_dual_and_b32 v15, 0xffff, v15
	s_delay_alu instid0(VALU_DEP_1) | instskip(SKIP_3) | instid1(VALU_DEP_1)
	v_lshlrev_b64 v[15:16], s0, v[15:16]
	s_add_u32 s0, s0, 8
	s_addc_u32 s1, s1, 0
	s_or_b32 s13, vcc_lo, s13
	v_or_b32_e32 v14, v16, v14
	s_delay_alu instid0(VALU_DEP_2)
	v_or_b32_e32 v13, v15, v13
	s_and_not1_b32 exec_lo, exec_lo, s13
	s_cbranch_execnz .LBB0_14
; %bb.15:                               ;   in Loop: Header=BB0_3 Depth=1
	s_or_b32 exec_lo, exec_lo, s13
.LBB0_16:                               ;   in Loop: Header=BB0_3 Depth=1
	s_delay_alu instid0(SALU_CYCLE_1)
	s_or_b32 exec_lo, exec_lo, s7
	s_mov_b32 s1, 0
                                        ; implicit-def: $vgpr9
.LBB0_17:                               ;   in Loop: Header=BB0_3 Depth=1
	s_or_saveexec_b32 s0, s6
	v_mov_b32_e32 v17, s1
	s_xor_b32 exec_lo, exec_lo, s0
	s_cbranch_execz .LBB0_19
; %bb.18:                               ;   in Loop: Header=BB0_3 Depth=1
	flat_load_b64 v[13:14], v[25:26]
	v_add_co_u32 v25, vcc_lo, v25, 8
	v_add_nc_u32_e32 v17, -8, v9
	v_add_co_ci_u32_e32 v26, vcc_lo, 0, v26, vcc_lo
	s_waitcnt vmcnt(0) lgkmcnt(0)
	v_and_b32_e32 v15, 0xff, v14
	v_and_b32_e32 v16, 0xff00, v14
	;; [unrolled: 1-line block ×4, first 2 shown]
	v_or3_b32 v13, v13, 0, 0
	s_delay_alu instid0(VALU_DEP_4) | instskip(NEXT) | instid1(VALU_DEP_1)
	v_or_b32_e32 v15, v15, v16
	v_or3_b32 v14, v15, v18, v14
.LBB0_19:                               ;   in Loop: Header=BB0_3 Depth=1
	s_or_b32 exec_lo, exec_lo, s0
                                        ; implicit-def: $sgpr1
	s_delay_alu instid0(SALU_CYCLE_1)
	s_mov_b32 s0, exec_lo
	v_cmpx_gt_u32_e32 8, v17
	s_xor_b32 s6, exec_lo, s0
	s_cbranch_execz .LBB0_25
; %bb.20:                               ;   in Loop: Header=BB0_3 Depth=1
	v_mov_b32_e32 v15, 0
	v_mov_b32_e32 v16, 0
	s_mov_b32 s7, exec_lo
	v_cmpx_ne_u32_e32 0, v17
	s_cbranch_execz .LBB0_24
; %bb.21:                               ;   in Loop: Header=BB0_3 Depth=1
	v_mov_b32_e32 v15, 0
	v_mov_b32_e32 v16, 0
	s_mov_b64 s[0:1], 0
	s_mov_b32 s13, 0
	s_mov_b64 s[4:5], 0
	.p2align	6
.LBB0_22:                               ;   Parent Loop BB0_3 Depth=1
                                        ; =>  This Inner Loop Header: Depth=2
	s_delay_alu instid0(SALU_CYCLE_1)
	v_add_co_u32 v18, vcc_lo, v25, s4
	v_add_co_ci_u32_e32 v19, vcc_lo, s5, v26, vcc_lo
	s_add_u32 s4, s4, 1
	s_addc_u32 s5, s5, 0
	v_cmp_eq_u32_e32 vcc_lo, s4, v17
	flat_load_u8 v9, v[18:19]
	s_waitcnt vmcnt(0) lgkmcnt(0)
	v_dual_mov_b32 v19, s11 :: v_dual_and_b32 v18, 0xffff, v9
	s_delay_alu instid0(VALU_DEP_1) | instskip(SKIP_3) | instid1(VALU_DEP_1)
	v_lshlrev_b64 v[18:19], s0, v[18:19]
	s_add_u32 s0, s0, 8
	s_addc_u32 s1, s1, 0
	s_or_b32 s13, vcc_lo, s13
	v_or_b32_e32 v16, v19, v16
	s_delay_alu instid0(VALU_DEP_2)
	v_or_b32_e32 v15, v18, v15
	s_and_not1_b32 exec_lo, exec_lo, s13
	s_cbranch_execnz .LBB0_22
; %bb.23:                               ;   in Loop: Header=BB0_3 Depth=1
	s_or_b32 exec_lo, exec_lo, s13
.LBB0_24:                               ;   in Loop: Header=BB0_3 Depth=1
	s_delay_alu instid0(SALU_CYCLE_1)
	s_or_b32 exec_lo, exec_lo, s7
	s_mov_b32 s1, 0
                                        ; implicit-def: $vgpr17
.LBB0_25:                               ;   in Loop: Header=BB0_3 Depth=1
	s_or_saveexec_b32 s0, s6
	v_mov_b32_e32 v9, s1
	s_xor_b32 exec_lo, exec_lo, s0
	s_cbranch_execz .LBB0_27
; %bb.26:                               ;   in Loop: Header=BB0_3 Depth=1
	flat_load_b64 v[15:16], v[25:26]
	v_add_co_u32 v25, vcc_lo, v25, 8
	v_add_co_ci_u32_e32 v26, vcc_lo, 0, v26, vcc_lo
	s_waitcnt vmcnt(0) lgkmcnt(0)
	v_and_b32_e32 v9, 0xff, v16
	v_and_b32_e32 v18, 0xff00, v16
	;; [unrolled: 1-line block ×4, first 2 shown]
	v_or3_b32 v15, v15, 0, 0
	s_delay_alu instid0(VALU_DEP_4) | instskip(SKIP_1) | instid1(VALU_DEP_2)
	v_or_b32_e32 v18, v9, v18
	v_add_nc_u32_e32 v9, -8, v17
	v_or3_b32 v16, v18, v19, v16
.LBB0_27:                               ;   in Loop: Header=BB0_3 Depth=1
	s_or_b32 exec_lo, exec_lo, s0
                                        ; implicit-def: $vgpr17_vgpr18
                                        ; implicit-def: $sgpr1
	s_delay_alu instid0(SALU_CYCLE_1) | instskip(NEXT) | instid1(VALU_DEP_1)
	s_mov_b32 s0, exec_lo
	v_cmpx_gt_u32_e32 8, v9
	s_xor_b32 s6, exec_lo, s0
	s_cbranch_execz .LBB0_33
; %bb.28:                               ;   in Loop: Header=BB0_3 Depth=1
	v_mov_b32_e32 v17, 0
	v_mov_b32_e32 v18, 0
	s_mov_b32 s7, exec_lo
	v_cmpx_ne_u32_e32 0, v9
	s_cbranch_execz .LBB0_32
; %bb.29:                               ;   in Loop: Header=BB0_3 Depth=1
	v_mov_b32_e32 v17, 0
	v_mov_b32_e32 v18, 0
	s_mov_b64 s[0:1], 0
	s_mov_b32 s13, 0
	s_mov_b64 s[4:5], 0
	.p2align	6
.LBB0_30:                               ;   Parent Loop BB0_3 Depth=1
                                        ; =>  This Inner Loop Header: Depth=2
	s_delay_alu instid0(SALU_CYCLE_1)
	v_add_co_u32 v19, vcc_lo, v25, s4
	v_add_co_ci_u32_e32 v20, vcc_lo, s5, v26, vcc_lo
	s_add_u32 s4, s4, 1
	s_addc_u32 s5, s5, 0
	v_cmp_eq_u32_e32 vcc_lo, s4, v9
	flat_load_u8 v19, v[19:20]
	s_waitcnt vmcnt(0) lgkmcnt(0)
	v_dual_mov_b32 v20, s11 :: v_dual_and_b32 v19, 0xffff, v19
	s_delay_alu instid0(VALU_DEP_1) | instskip(SKIP_3) | instid1(VALU_DEP_1)
	v_lshlrev_b64 v[19:20], s0, v[19:20]
	s_add_u32 s0, s0, 8
	s_addc_u32 s1, s1, 0
	s_or_b32 s13, vcc_lo, s13
	v_or_b32_e32 v18, v20, v18
	s_delay_alu instid0(VALU_DEP_2)
	v_or_b32_e32 v17, v19, v17
	s_and_not1_b32 exec_lo, exec_lo, s13
	s_cbranch_execnz .LBB0_30
; %bb.31:                               ;   in Loop: Header=BB0_3 Depth=1
	s_or_b32 exec_lo, exec_lo, s13
.LBB0_32:                               ;   in Loop: Header=BB0_3 Depth=1
	s_delay_alu instid0(SALU_CYCLE_1)
	s_or_b32 exec_lo, exec_lo, s7
	s_mov_b32 s1, 0
                                        ; implicit-def: $vgpr9
.LBB0_33:                               ;   in Loop: Header=BB0_3 Depth=1
	s_or_saveexec_b32 s0, s6
	v_mov_b32_e32 v21, s1
	s_xor_b32 exec_lo, exec_lo, s0
	s_cbranch_execz .LBB0_35
; %bb.34:                               ;   in Loop: Header=BB0_3 Depth=1
	flat_load_b64 v[17:18], v[25:26]
	v_add_co_u32 v25, vcc_lo, v25, 8
	v_add_nc_u32_e32 v21, -8, v9
	v_add_co_ci_u32_e32 v26, vcc_lo, 0, v26, vcc_lo
	s_waitcnt vmcnt(0) lgkmcnt(0)
	v_and_b32_e32 v19, 0xff, v18
	v_and_b32_e32 v20, 0xff00, v18
	;; [unrolled: 1-line block ×4, first 2 shown]
	v_or3_b32 v17, v17, 0, 0
	s_delay_alu instid0(VALU_DEP_4) | instskip(NEXT) | instid1(VALU_DEP_1)
	v_or_b32_e32 v19, v19, v20
	v_or3_b32 v18, v19, v22, v18
.LBB0_35:                               ;   in Loop: Header=BB0_3 Depth=1
	s_or_b32 exec_lo, exec_lo, s0
                                        ; implicit-def: $sgpr1
	s_delay_alu instid0(SALU_CYCLE_1)
	s_mov_b32 s0, exec_lo
	v_cmpx_gt_u32_e32 8, v21
	s_xor_b32 s6, exec_lo, s0
	s_cbranch_execz .LBB0_41
; %bb.36:                               ;   in Loop: Header=BB0_3 Depth=1
	v_mov_b32_e32 v19, 0
	v_mov_b32_e32 v20, 0
	s_mov_b32 s7, exec_lo
	v_cmpx_ne_u32_e32 0, v21
	s_cbranch_execz .LBB0_40
; %bb.37:                               ;   in Loop: Header=BB0_3 Depth=1
	v_mov_b32_e32 v19, 0
	v_mov_b32_e32 v20, 0
	s_mov_b64 s[0:1], 0
	s_mov_b32 s13, 0
	s_mov_b64 s[4:5], 0
	.p2align	6
.LBB0_38:                               ;   Parent Loop BB0_3 Depth=1
                                        ; =>  This Inner Loop Header: Depth=2
	s_delay_alu instid0(SALU_CYCLE_1)
	v_add_co_u32 v22, vcc_lo, v25, s4
	v_add_co_ci_u32_e32 v23, vcc_lo, s5, v26, vcc_lo
	s_add_u32 s4, s4, 1
	s_addc_u32 s5, s5, 0
	v_cmp_eq_u32_e32 vcc_lo, s4, v21
	flat_load_u8 v9, v[22:23]
	s_waitcnt vmcnt(0) lgkmcnt(0)
	v_dual_mov_b32 v23, s11 :: v_dual_and_b32 v22, 0xffff, v9
	s_delay_alu instid0(VALU_DEP_1) | instskip(SKIP_3) | instid1(VALU_DEP_1)
	v_lshlrev_b64 v[22:23], s0, v[22:23]
	s_add_u32 s0, s0, 8
	s_addc_u32 s1, s1, 0
	s_or_b32 s13, vcc_lo, s13
	v_or_b32_e32 v20, v23, v20
	s_delay_alu instid0(VALU_DEP_2)
	v_or_b32_e32 v19, v22, v19
	s_and_not1_b32 exec_lo, exec_lo, s13
	s_cbranch_execnz .LBB0_38
; %bb.39:                               ;   in Loop: Header=BB0_3 Depth=1
	s_or_b32 exec_lo, exec_lo, s13
.LBB0_40:                               ;   in Loop: Header=BB0_3 Depth=1
	s_delay_alu instid0(SALU_CYCLE_1)
	s_or_b32 exec_lo, exec_lo, s7
	s_mov_b32 s1, 0
                                        ; implicit-def: $vgpr21
.LBB0_41:                               ;   in Loop: Header=BB0_3 Depth=1
	s_or_saveexec_b32 s0, s6
	v_mov_b32_e32 v9, s1
	s_xor_b32 exec_lo, exec_lo, s0
	s_cbranch_execz .LBB0_43
; %bb.42:                               ;   in Loop: Header=BB0_3 Depth=1
	flat_load_b64 v[19:20], v[25:26]
	v_add_co_u32 v25, vcc_lo, v25, 8
	v_add_co_ci_u32_e32 v26, vcc_lo, 0, v26, vcc_lo
	s_waitcnt vmcnt(0) lgkmcnt(0)
	v_and_b32_e32 v9, 0xff, v20
	v_and_b32_e32 v22, 0xff00, v20
	;; [unrolled: 1-line block ×4, first 2 shown]
	v_or3_b32 v19, v19, 0, 0
	s_delay_alu instid0(VALU_DEP_4) | instskip(SKIP_1) | instid1(VALU_DEP_2)
	v_or_b32_e32 v22, v9, v22
	v_add_nc_u32_e32 v9, -8, v21
	v_or3_b32 v20, v22, v23, v20
.LBB0_43:                               ;   in Loop: Header=BB0_3 Depth=1
	s_or_b32 exec_lo, exec_lo, s0
                                        ; implicit-def: $vgpr21_vgpr22
                                        ; implicit-def: $sgpr1
	s_delay_alu instid0(SALU_CYCLE_1) | instskip(NEXT) | instid1(VALU_DEP_1)
	s_mov_b32 s0, exec_lo
	v_cmpx_gt_u32_e32 8, v9
	s_xor_b32 s6, exec_lo, s0
	s_cbranch_execz .LBB0_49
; %bb.44:                               ;   in Loop: Header=BB0_3 Depth=1
	v_mov_b32_e32 v21, 0
	v_mov_b32_e32 v22, 0
	s_mov_b32 s7, exec_lo
	v_cmpx_ne_u32_e32 0, v9
	s_cbranch_execz .LBB0_48
; %bb.45:                               ;   in Loop: Header=BB0_3 Depth=1
	v_mov_b32_e32 v21, 0
	v_mov_b32_e32 v22, 0
	s_mov_b64 s[0:1], 0
	s_mov_b32 s13, 0
	s_mov_b64 s[4:5], 0
	.p2align	6
.LBB0_46:                               ;   Parent Loop BB0_3 Depth=1
                                        ; =>  This Inner Loop Header: Depth=2
	s_delay_alu instid0(SALU_CYCLE_1)
	v_add_co_u32 v23, vcc_lo, v25, s4
	v_add_co_ci_u32_e32 v24, vcc_lo, s5, v26, vcc_lo
	s_add_u32 s4, s4, 1
	s_addc_u32 s5, s5, 0
	v_cmp_eq_u32_e32 vcc_lo, s4, v9
	flat_load_u8 v23, v[23:24]
	s_waitcnt vmcnt(0) lgkmcnt(0)
	v_dual_mov_b32 v24, s11 :: v_dual_and_b32 v23, 0xffff, v23
	s_delay_alu instid0(VALU_DEP_1) | instskip(SKIP_3) | instid1(VALU_DEP_1)
	v_lshlrev_b64 v[23:24], s0, v[23:24]
	s_add_u32 s0, s0, 8
	s_addc_u32 s1, s1, 0
	s_or_b32 s13, vcc_lo, s13
	v_or_b32_e32 v22, v24, v22
	s_delay_alu instid0(VALU_DEP_2)
	v_or_b32_e32 v21, v23, v21
	s_and_not1_b32 exec_lo, exec_lo, s13
	s_cbranch_execnz .LBB0_46
; %bb.47:                               ;   in Loop: Header=BB0_3 Depth=1
	s_or_b32 exec_lo, exec_lo, s13
.LBB0_48:                               ;   in Loop: Header=BB0_3 Depth=1
	s_delay_alu instid0(SALU_CYCLE_1)
	s_or_b32 exec_lo, exec_lo, s7
	s_mov_b32 s1, 0
                                        ; implicit-def: $vgpr9
.LBB0_49:                               ;   in Loop: Header=BB0_3 Depth=1
	s_or_saveexec_b32 s0, s6
	v_mov_b32_e32 v27, s1
	s_xor_b32 exec_lo, exec_lo, s0
	s_cbranch_execz .LBB0_51
; %bb.50:                               ;   in Loop: Header=BB0_3 Depth=1
	flat_load_b64 v[21:22], v[25:26]
	v_add_co_u32 v25, vcc_lo, v25, 8
	v_add_nc_u32_e32 v27, -8, v9
	v_add_co_ci_u32_e32 v26, vcc_lo, 0, v26, vcc_lo
	s_waitcnt vmcnt(0) lgkmcnt(0)
	v_and_b32_e32 v23, 0xff, v22
	v_and_b32_e32 v24, 0xff00, v22
	;; [unrolled: 1-line block ×4, first 2 shown]
	v_or3_b32 v21, v21, 0, 0
	s_delay_alu instid0(VALU_DEP_4) | instskip(NEXT) | instid1(VALU_DEP_1)
	v_or_b32_e32 v23, v23, v24
	v_or3_b32 v22, v23, v28, v22
.LBB0_51:                               ;   in Loop: Header=BB0_3 Depth=1
	s_or_b32 exec_lo, exec_lo, s0
	s_delay_alu instid0(SALU_CYCLE_1)
	s_mov_b32 s0, exec_lo
	v_cmpx_gt_u32_e32 8, v27
	s_xor_b32 s4, exec_lo, s0
	s_cbranch_execz .LBB0_57
; %bb.52:                               ;   in Loop: Header=BB0_3 Depth=1
	v_mov_b32_e32 v23, 0
	v_mov_b32_e32 v24, 0
	s_mov_b32 s5, exec_lo
	v_cmpx_ne_u32_e32 0, v27
	s_cbranch_execz .LBB0_56
; %bb.53:                               ;   in Loop: Header=BB0_3 Depth=1
	v_mov_b32_e32 v23, 0
	v_mov_b32_e32 v24, 0
	s_mov_b64 s[0:1], 0
	s_mov_b32 s6, 0
	.p2align	6
.LBB0_54:                               ;   Parent Loop BB0_3 Depth=1
                                        ; =>  This Inner Loop Header: Depth=2
	flat_load_u8 v9, v[25:26]
	v_dual_mov_b32 v32, s11 :: v_dual_add_nc_u32 v27, -1, v27
	v_add_co_u32 v25, vcc_lo, v25, 1
	v_add_co_ci_u32_e32 v26, vcc_lo, 0, v26, vcc_lo
	s_delay_alu instid0(VALU_DEP_3) | instskip(SKIP_2) | instid1(VALU_DEP_1)
	v_cmp_eq_u32_e32 vcc_lo, 0, v27
	s_waitcnt vmcnt(0) lgkmcnt(0)
	v_and_b32_e32 v31, 0xffff, v9
	v_lshlrev_b64 v[31:32], s0, v[31:32]
	s_add_u32 s0, s0, 8
	s_addc_u32 s1, s1, 0
	s_or_b32 s6, vcc_lo, s6
	s_delay_alu instid0(VALU_DEP_1) | instskip(NEXT) | instid1(VALU_DEP_2)
	v_or_b32_e32 v24, v32, v24
	v_or_b32_e32 v23, v31, v23
	s_and_not1_b32 exec_lo, exec_lo, s6
	s_cbranch_execnz .LBB0_54
; %bb.55:                               ;   in Loop: Header=BB0_3 Depth=1
	s_or_b32 exec_lo, exec_lo, s6
.LBB0_56:                               ;   in Loop: Header=BB0_3 Depth=1
	s_delay_alu instid0(SALU_CYCLE_1)
	s_or_b32 exec_lo, exec_lo, s5
                                        ; implicit-def: $vgpr25_vgpr26
.LBB0_57:                               ;   in Loop: Header=BB0_3 Depth=1
	s_and_not1_saveexec_b32 s0, s4
	s_cbranch_execz .LBB0_59
; %bb.58:                               ;   in Loop: Header=BB0_3 Depth=1
	flat_load_b64 v[23:24], v[25:26]
	s_waitcnt vmcnt(0) lgkmcnt(0)
	v_and_b32_e32 v9, 0xff, v24
	v_and_b32_e32 v25, 0xff00, v24
	;; [unrolled: 1-line block ×4, first 2 shown]
	v_or3_b32 v23, v23, 0, 0
	s_delay_alu instid0(VALU_DEP_4) | instskip(NEXT) | instid1(VALU_DEP_1)
	v_or_b32_e32 v9, v9, v25
	v_or3_b32 v24, v9, v26, v24
.LBB0_59:                               ;   in Loop: Header=BB0_3 Depth=1
	s_or_b32 exec_lo, exec_lo, s0
	v_readfirstlane_b32 s0, v33
	v_mov_b32_e32 v31, 0
	v_mov_b32_e32 v32, 0
	s_delay_alu instid0(VALU_DEP_3) | instskip(NEXT) | instid1(VALU_DEP_1)
	v_cmp_eq_u32_e64 s0, s0, v33
	s_and_saveexec_b32 s1, s0
	s_cbranch_execz .LBB0_65
; %bb.60:                               ;   in Loop: Header=BB0_3 Depth=1
	s_waitcnt lgkmcnt(0)
	global_load_b64 v[27:28], v10, s[2:3] offset:24 glc
	s_waitcnt vmcnt(0)
	buffer_gl1_inv
	buffer_gl0_inv
	s_clause 0x1
	global_load_b64 v[25:26], v10, s[2:3] offset:40
	global_load_b64 v[31:32], v10, s[2:3]
	s_mov_b32 s4, exec_lo
	s_waitcnt vmcnt(1)
	v_and_b32_e32 v9, v26, v28
	v_and_b32_e32 v25, v25, v27
	s_delay_alu instid0(VALU_DEP_2) | instskip(NEXT) | instid1(VALU_DEP_2)
	v_mul_lo_u32 v9, v9, 24
	v_mul_hi_u32 v26, v25, 24
	v_mul_lo_u32 v25, v25, 24
	s_delay_alu instid0(VALU_DEP_2) | instskip(SKIP_1) | instid1(VALU_DEP_2)
	v_add_nc_u32_e32 v9, v26, v9
	s_waitcnt vmcnt(0)
	v_add_co_u32 v25, vcc_lo, v31, v25
	s_delay_alu instid0(VALU_DEP_2)
	v_add_co_ci_u32_e32 v26, vcc_lo, v32, v9, vcc_lo
	global_load_b64 v[25:26], v[25:26], off glc
	s_waitcnt vmcnt(0)
	global_atomic_cmpswap_b64 v[31:32], v10, v[25:28], s[2:3] offset:24 glc
	s_waitcnt vmcnt(0)
	buffer_gl1_inv
	buffer_gl0_inv
	v_cmpx_ne_u64_e64 v[31:32], v[27:28]
	s_cbranch_execz .LBB0_64
; %bb.61:                               ;   in Loop: Header=BB0_3 Depth=1
	s_mov_b32 s5, 0
	.p2align	6
.LBB0_62:                               ;   Parent Loop BB0_3 Depth=1
                                        ; =>  This Inner Loop Header: Depth=2
	s_sleep 1
	s_clause 0x1
	global_load_b64 v[25:26], v10, s[2:3] offset:40
	global_load_b64 v[34:35], v10, s[2:3]
	v_dual_mov_b32 v27, v31 :: v_dual_mov_b32 v28, v32
	s_waitcnt vmcnt(1)
	s_delay_alu instid0(VALU_DEP_1) | instskip(SKIP_1) | instid1(VALU_DEP_1)
	v_and_b32_e32 v9, v25, v27
	s_waitcnt vmcnt(0)
	v_mad_u64_u32 v[31:32], null, v9, 24, v[34:35]
	s_delay_alu instid0(VALU_DEP_1) | instskip(NEXT) | instid1(VALU_DEP_1)
	v_dual_mov_b32 v9, v32 :: v_dual_and_b32 v34, v26, v28
	v_mad_u64_u32 v[25:26], null, v34, 24, v[9:10]
	s_delay_alu instid0(VALU_DEP_1)
	v_mov_b32_e32 v32, v25
	global_load_b64 v[25:26], v[31:32], off glc
	s_waitcnt vmcnt(0)
	global_atomic_cmpswap_b64 v[31:32], v10, v[25:28], s[2:3] offset:24 glc
	s_waitcnt vmcnt(0)
	buffer_gl1_inv
	buffer_gl0_inv
	v_cmp_eq_u64_e32 vcc_lo, v[31:32], v[27:28]
	s_or_b32 s5, vcc_lo, s5
	s_delay_alu instid0(SALU_CYCLE_1)
	s_and_not1_b32 exec_lo, exec_lo, s5
	s_cbranch_execnz .LBB0_62
; %bb.63:                               ;   in Loop: Header=BB0_3 Depth=1
	s_or_b32 exec_lo, exec_lo, s5
.LBB0_64:                               ;   in Loop: Header=BB0_3 Depth=1
	s_delay_alu instid0(SALU_CYCLE_1)
	s_or_b32 exec_lo, exec_lo, s4
.LBB0_65:                               ;   in Loop: Header=BB0_3 Depth=1
	s_delay_alu instid0(SALU_CYCLE_1)
	s_or_b32 exec_lo, exec_lo, s1
	s_waitcnt lgkmcnt(0)
	s_clause 0x1
	global_load_b64 v[34:35], v10, s[2:3] offset:40
	global_load_b128 v[25:28], v10, s[2:3]
	v_readfirstlane_b32 s4, v31
	v_readfirstlane_b32 s5, v32
	s_mov_b32 s1, exec_lo
	s_waitcnt vmcnt(1)
	v_readfirstlane_b32 s6, v34
	v_readfirstlane_b32 s7, v35
	s_delay_alu instid0(VALU_DEP_1) | instskip(NEXT) | instid1(SALU_CYCLE_1)
	s_and_b64 s[6:7], s[4:5], s[6:7]
	s_mul_i32 s13, s7, 24
	s_mul_hi_u32 s14, s6, 24
	s_mul_i32 s15, s6, 24
	s_add_i32 s14, s14, s13
	s_waitcnt vmcnt(0)
	v_add_co_u32 v31, vcc_lo, v25, s15
	v_add_co_ci_u32_e32 v32, vcc_lo, s14, v26, vcc_lo
	s_and_saveexec_b32 s13, s0
	s_cbranch_execz .LBB0_67
; %bb.66:                               ;   in Loop: Header=BB0_3 Depth=1
	v_mov_b32_e32 v9, s1
	global_store_b128 v[31:32], v[9:12], off offset:8
.LBB0_67:                               ;   in Loop: Header=BB0_3 Depth=1
	s_or_b32 exec_lo, exec_lo, s13
	v_cmp_lt_u64_e32 vcc_lo, 56, v[4:5]
	v_or_b32_e32 v9, 0, v1
	v_or_b32_e32 v34, v0, v6
	v_lshl_add_u32 v35, v29, 2, 28
	s_lshl_b64 s[6:7], s[6:7], 12
	s_delay_alu instid0(SALU_CYCLE_1) | instskip(NEXT) | instid1(VALU_DEP_1)
	v_add_co_u32 v27, s1, v27, s6
	v_add_co_ci_u32_e64 v28, s1, s7, v28, s1
	v_dual_cndmask_b32 v1, v9, v1 :: v_dual_cndmask_b32 v0, v34, v0
	v_and_b32_e32 v9, 0x1e0, v35
	v_lshlrev_b32_e32 v34, 6, v33
	v_readfirstlane_b32 s6, v27
	v_readfirstlane_b32 s7, v28
	s_delay_alu instid0(VALU_DEP_4)
	v_and_or_b32 v0, 0xffffff1f, v0, v9
	s_clause 0x3
	global_store_b128 v34, v[0:3], s[6:7]
	global_store_b128 v34, v[13:16], s[6:7] offset:16
	global_store_b128 v34, v[17:20], s[6:7] offset:32
	;; [unrolled: 1-line block ×3, first 2 shown]
	s_and_saveexec_b32 s1, s0
	s_cbranch_execz .LBB0_75
; %bb.68:                               ;   in Loop: Header=BB0_3 Depth=1
	s_clause 0x1
	global_load_b64 v[17:18], v10, s[2:3] offset:32 glc
	global_load_b64 v[0:1], v10, s[2:3] offset:40
	v_dual_mov_b32 v15, s4 :: v_dual_mov_b32 v16, s5
	s_waitcnt vmcnt(0)
	v_readfirstlane_b32 s6, v0
	v_readfirstlane_b32 s7, v1
	s_delay_alu instid0(VALU_DEP_1) | instskip(NEXT) | instid1(SALU_CYCLE_1)
	s_and_b64 s[6:7], s[6:7], s[4:5]
	s_mul_i32 s7, s7, 24
	s_mul_hi_u32 s13, s6, 24
	s_mul_i32 s6, s6, 24
	s_add_i32 s13, s13, s7
	v_add_co_u32 v13, vcc_lo, v25, s6
	v_add_co_ci_u32_e32 v14, vcc_lo, s13, v26, vcc_lo
	s_mov_b32 s6, exec_lo
	global_store_b64 v[13:14], v[17:18], off
	s_waitcnt_vscnt null, 0x0
	global_atomic_cmpswap_b64 v[2:3], v10, v[15:18], s[2:3] offset:32 glc
	s_waitcnt vmcnt(0)
	v_cmpx_ne_u64_e64 v[2:3], v[17:18]
	s_cbranch_execz .LBB0_71
; %bb.69:                               ;   in Loop: Header=BB0_3 Depth=1
	s_mov_b32 s7, 0
.LBB0_70:                               ;   Parent Loop BB0_3 Depth=1
                                        ; =>  This Inner Loop Header: Depth=2
	v_dual_mov_b32 v0, s4 :: v_dual_mov_b32 v1, s5
	s_sleep 1
	global_store_b64 v[13:14], v[2:3], off
	s_waitcnt_vscnt null, 0x0
	global_atomic_cmpswap_b64 v[0:1], v10, v[0:3], s[2:3] offset:32 glc
	s_waitcnt vmcnt(0)
	v_cmp_eq_u64_e32 vcc_lo, v[0:1], v[2:3]
	v_dual_mov_b32 v3, v1 :: v_dual_mov_b32 v2, v0
	s_or_b32 s7, vcc_lo, s7
	s_delay_alu instid0(SALU_CYCLE_1)
	s_and_not1_b32 exec_lo, exec_lo, s7
	s_cbranch_execnz .LBB0_70
.LBB0_71:                               ;   in Loop: Header=BB0_3 Depth=1
	s_or_b32 exec_lo, exec_lo, s6
	global_load_b64 v[0:1], v10, s[2:3] offset:16
	s_mov_b32 s7, exec_lo
	s_mov_b32 s6, exec_lo
	v_mbcnt_lo_u32_b32 v2, s7, 0
	s_delay_alu instid0(VALU_DEP_1)
	v_cmpx_eq_u32_e32 0, v2
	s_cbranch_execz .LBB0_73
; %bb.72:                               ;   in Loop: Header=BB0_3 Depth=1
	s_bcnt1_i32_b32 s7, s7
	s_delay_alu instid0(SALU_CYCLE_1)
	v_mov_b32_e32 v9, s7
	s_waitcnt vmcnt(0)
	global_atomic_add_u64 v[0:1], v[9:10], off offset:8
.LBB0_73:                               ;   in Loop: Header=BB0_3 Depth=1
	s_or_b32 exec_lo, exec_lo, s6
	s_waitcnt vmcnt(0)
	global_load_b64 v[2:3], v[0:1], off offset:16
	s_waitcnt vmcnt(0)
	v_cmp_eq_u64_e32 vcc_lo, 0, v[2:3]
	s_cbranch_vccnz .LBB0_75
; %bb.74:                               ;   in Loop: Header=BB0_3 Depth=1
	global_load_b32 v9, v[0:1], off offset:24
	s_waitcnt vmcnt(0)
	v_and_b32_e32 v0, 0xffffff, v9
	s_waitcnt_vscnt null, 0x0
	global_store_b64 v[2:3], v[9:10], off
	v_readfirstlane_b32 m0, v0
	s_sendmsg sendmsg(MSG_INTERRUPT)
.LBB0_75:                               ;   in Loop: Header=BB0_3 Depth=1
	s_or_b32 exec_lo, exec_lo, s1
	v_add_co_u32 v0, vcc_lo, v27, v34
	v_add_co_ci_u32_e32 v1, vcc_lo, 0, v28, vcc_lo
	s_branch .LBB0_79
	.p2align	6
.LBB0_76:                               ;   in Loop: Header=BB0_79 Depth=2
	s_or_b32 exec_lo, exec_lo, s1
	s_delay_alu instid0(VALU_DEP_1) | instskip(NEXT) | instid1(VALU_DEP_1)
	v_readfirstlane_b32 s1, v2
	s_cmp_eq_u32 s1, 0
	s_cbranch_scc1 .LBB0_78
; %bb.77:                               ;   in Loop: Header=BB0_79 Depth=2
	s_sleep 1
	s_cbranch_execnz .LBB0_79
	s_branch .LBB0_81
	.p2align	6
.LBB0_78:                               ;   in Loop: Header=BB0_3 Depth=1
	s_branch .LBB0_81
.LBB0_79:                               ;   Parent Loop BB0_3 Depth=1
                                        ; =>  This Inner Loop Header: Depth=2
	v_mov_b32_e32 v2, 1
	s_and_saveexec_b32 s1, s0
	s_cbranch_execz .LBB0_76
; %bb.80:                               ;   in Loop: Header=BB0_79 Depth=2
	global_load_b32 v2, v[31:32], off offset:20 glc
	s_waitcnt vmcnt(0)
	buffer_gl1_inv
	buffer_gl0_inv
	v_and_b32_e32 v2, 1, v2
	s_branch .LBB0_76
.LBB0_81:                               ;   in Loop: Header=BB0_3 Depth=1
	global_load_b128 v[0:3], v[0:1], off
	s_and_saveexec_b32 s1, s0
	s_cbranch_execz .LBB0_2
; %bb.82:                               ;   in Loop: Header=BB0_3 Depth=1
	s_clause 0x2
	global_load_b64 v[2:3], v10, s[2:3] offset:40
	global_load_b64 v[17:18], v10, s[2:3] offset:24 glc
	global_load_b64 v[15:16], v10, s[2:3]
	s_waitcnt vmcnt(2)
	v_add_co_u32 v9, vcc_lo, v2, 1
	v_add_co_ci_u32_e32 v19, vcc_lo, 0, v3, vcc_lo
	s_delay_alu instid0(VALU_DEP_2) | instskip(NEXT) | instid1(VALU_DEP_2)
	v_add_co_u32 v13, vcc_lo, v9, s4
	v_add_co_ci_u32_e32 v14, vcc_lo, s5, v19, vcc_lo
	s_delay_alu instid0(VALU_DEP_1) | instskip(SKIP_1) | instid1(VALU_DEP_1)
	v_cmp_eq_u64_e32 vcc_lo, 0, v[13:14]
	v_dual_cndmask_b32 v14, v14, v19 :: v_dual_cndmask_b32 v13, v13, v9
	v_and_b32_e32 v3, v14, v3
	s_delay_alu instid0(VALU_DEP_2) | instskip(NEXT) | instid1(VALU_DEP_2)
	v_and_b32_e32 v2, v13, v2
	v_mul_lo_u32 v3, v3, 24
	s_delay_alu instid0(VALU_DEP_2) | instskip(SKIP_1) | instid1(VALU_DEP_2)
	v_mul_hi_u32 v9, v2, 24
	v_mul_lo_u32 v2, v2, 24
	v_add_nc_u32_e32 v3, v9, v3
	s_waitcnt vmcnt(0)
	s_delay_alu instid0(VALU_DEP_2) | instskip(SKIP_1) | instid1(VALU_DEP_3)
	v_add_co_u32 v2, vcc_lo, v15, v2
	v_mov_b32_e32 v15, v17
	v_add_co_ci_u32_e32 v3, vcc_lo, v16, v3, vcc_lo
	v_mov_b32_e32 v16, v18
	global_store_b64 v[2:3], v[17:18], off
	s_waitcnt_vscnt null, 0x0
	global_atomic_cmpswap_b64 v[15:16], v10, v[13:16], s[2:3] offset:24 glc
	s_waitcnt vmcnt(0)
	v_cmp_ne_u64_e32 vcc_lo, v[15:16], v[17:18]
	s_and_b32 exec_lo, exec_lo, vcc_lo
	s_cbranch_execz .LBB0_2
; %bb.83:                               ;   in Loop: Header=BB0_3 Depth=1
	s_mov_b32 s0, 0
.LBB0_84:                               ;   Parent Loop BB0_3 Depth=1
                                        ; =>  This Inner Loop Header: Depth=2
	s_sleep 1
	global_store_b64 v[2:3], v[15:16], off
	s_waitcnt_vscnt null, 0x0
	global_atomic_cmpswap_b64 v[17:18], v10, v[13:16], s[2:3] offset:24 glc
	s_waitcnt vmcnt(0)
	v_cmp_eq_u64_e32 vcc_lo, v[17:18], v[15:16]
	v_dual_mov_b32 v15, v17 :: v_dual_mov_b32 v16, v18
	s_or_b32 s0, vcc_lo, s0
	s_delay_alu instid0(SALU_CYCLE_1)
	s_and_not1_b32 exec_lo, exec_lo, s0
	s_cbranch_execnz .LBB0_84
	s_branch .LBB0_2
.LBB0_85:
	s_or_b32 exec_lo, exec_lo, s12
                                        ; implicit-def: $vgpr0
                                        ; implicit-def: $vgpr33
                                        ; implicit-def: $vgpr1
.LBB0_86:
	s_and_not1_saveexec_b32 s1, s10
	s_cbranch_execz .LBB0_108
; %bb.87:
	s_load_b64 s[2:3], s[8:9], 0x50
	v_readfirstlane_b32 s0, v33
	v_mov_b32_e32 v8, 0
	v_mov_b32_e32 v9, 0
	s_delay_alu instid0(VALU_DEP_3) | instskip(NEXT) | instid1(VALU_DEP_1)
	v_cmp_eq_u32_e64 s0, s0, v33
	s_and_saveexec_b32 s4, s0
	s_cbranch_execz .LBB0_93
; %bb.88:
	s_waitcnt vmcnt(0)
	v_mov_b32_e32 v2, 0
	s_mov_b32 s5, exec_lo
	s_waitcnt lgkmcnt(0)
	global_load_b64 v[5:6], v2, s[2:3] offset:24 glc
	s_waitcnt vmcnt(0)
	buffer_gl1_inv
	buffer_gl0_inv
	s_clause 0x1
	global_load_b64 v[3:4], v2, s[2:3] offset:40
	global_load_b64 v[7:8], v2, s[2:3]
	s_waitcnt vmcnt(1)
	v_and_b32_e32 v3, v3, v5
	v_and_b32_e32 v4, v4, v6
	s_delay_alu instid0(VALU_DEP_2) | instskip(NEXT) | instid1(VALU_DEP_2)
	v_mul_hi_u32 v9, v3, 24
	v_mul_lo_u32 v4, v4, 24
	v_mul_lo_u32 v3, v3, 24
	s_delay_alu instid0(VALU_DEP_2) | instskip(SKIP_1) | instid1(VALU_DEP_2)
	v_add_nc_u32_e32 v4, v9, v4
	s_waitcnt vmcnt(0)
	v_add_co_u32 v3, vcc_lo, v7, v3
	s_delay_alu instid0(VALU_DEP_2)
	v_add_co_ci_u32_e32 v4, vcc_lo, v8, v4, vcc_lo
	global_load_b64 v[3:4], v[3:4], off glc
	s_waitcnt vmcnt(0)
	global_atomic_cmpswap_b64 v[8:9], v2, v[3:6], s[2:3] offset:24 glc
	s_waitcnt vmcnt(0)
	buffer_gl1_inv
	buffer_gl0_inv
	v_cmpx_ne_u64_e64 v[8:9], v[5:6]
	s_cbranch_execz .LBB0_92
; %bb.89:
	s_mov_b32 s6, 0
	.p2align	6
.LBB0_90:                               ; =>This Inner Loop Header: Depth=1
	s_sleep 1
	s_clause 0x1
	global_load_b64 v[3:4], v2, s[2:3] offset:40
	global_load_b64 v[10:11], v2, s[2:3]
	v_dual_mov_b32 v5, v8 :: v_dual_mov_b32 v6, v9
	s_waitcnt vmcnt(1)
	s_delay_alu instid0(VALU_DEP_1) | instskip(NEXT) | instid1(VALU_DEP_2)
	v_and_b32_e32 v3, v3, v5
	v_and_b32_e32 v4, v4, v6
	s_waitcnt vmcnt(0)
	s_delay_alu instid0(VALU_DEP_2) | instskip(NEXT) | instid1(VALU_DEP_1)
	v_mad_u64_u32 v[7:8], null, v3, 24, v[10:11]
	v_mov_b32_e32 v3, v8
	s_delay_alu instid0(VALU_DEP_1)
	v_mad_u64_u32 v[8:9], null, v4, 24, v[3:4]
	global_load_b64 v[3:4], v[7:8], off glc
	s_waitcnt vmcnt(0)
	global_atomic_cmpswap_b64 v[8:9], v2, v[3:6], s[2:3] offset:24 glc
	s_waitcnt vmcnt(0)
	buffer_gl1_inv
	buffer_gl0_inv
	v_cmp_eq_u64_e32 vcc_lo, v[8:9], v[5:6]
	s_or_b32 s6, vcc_lo, s6
	s_delay_alu instid0(SALU_CYCLE_1)
	s_and_not1_b32 exec_lo, exec_lo, s6
	s_cbranch_execnz .LBB0_90
; %bb.91:
	s_or_b32 exec_lo, exec_lo, s6
.LBB0_92:
	s_delay_alu instid0(SALU_CYCLE_1)
	s_or_b32 exec_lo, exec_lo, s5
.LBB0_93:
	s_delay_alu instid0(SALU_CYCLE_1)
	s_or_b32 exec_lo, exec_lo, s4
	s_waitcnt vmcnt(0)
	v_mov_b32_e32 v2, 0
	v_readfirstlane_b32 s4, v8
	v_readfirstlane_b32 s5, v9
	s_mov_b32 s8, exec_lo
	s_waitcnt lgkmcnt(0)
	s_clause 0x1
	global_load_b64 v[10:11], v2, s[2:3] offset:40
	global_load_b128 v[4:7], v2, s[2:3]
	s_waitcnt vmcnt(1)
	v_readfirstlane_b32 s6, v10
	v_readfirstlane_b32 s7, v11
	s_delay_alu instid0(VALU_DEP_1) | instskip(NEXT) | instid1(SALU_CYCLE_1)
	s_and_b64 s[6:7], s[4:5], s[6:7]
	s_mul_i32 s9, s7, 24
	s_mul_hi_u32 s10, s6, 24
	s_mul_i32 s11, s6, 24
	s_add_i32 s10, s10, s9
	s_waitcnt vmcnt(0)
	v_add_co_u32 v8, vcc_lo, v4, s11
	v_add_co_ci_u32_e32 v9, vcc_lo, s10, v5, vcc_lo
	s_and_saveexec_b32 s9, s0
	s_cbranch_execz .LBB0_95
; %bb.94:
	v_dual_mov_b32 v10, s8 :: v_dual_mov_b32 v11, v2
	v_dual_mov_b32 v12, 2 :: v_dual_mov_b32 v13, 1
	global_store_b128 v[8:9], v[10:13], off offset:8
.LBB0_95:
	s_or_b32 exec_lo, exec_lo, s9
	s_lshl_b64 s[6:7], s[6:7], 12
	s_mov_b32 s8, 0
	v_add_co_u32 v6, vcc_lo, v6, s6
	v_add_co_ci_u32_e32 v7, vcc_lo, s7, v7, vcc_lo
	s_mov_b32 s11, s8
	s_mov_b32 s9, s8
	;; [unrolled: 1-line block ×3, first 2 shown]
	v_and_or_b32 v0, 0xffffff1f, v0, 32
	v_dual_mov_b32 v3, v2 :: v_dual_lshlrev_b32 v14, 6, v33
	v_readfirstlane_b32 s6, v6
	v_readfirstlane_b32 s7, v7
	v_dual_mov_b32 v13, s11 :: v_dual_mov_b32 v12, s10
	v_dual_mov_b32 v11, s9 :: v_dual_mov_b32 v10, s8
	s_clause 0x3
	global_store_b128 v14, v[0:3], s[6:7]
	global_store_b128 v14, v[10:13], s[6:7] offset:16
	global_store_b128 v14, v[10:13], s[6:7] offset:32
	;; [unrolled: 1-line block ×3, first 2 shown]
	s_and_saveexec_b32 s6, s0
	s_cbranch_execz .LBB0_102
; %bb.96:
	v_mov_b32_e32 v6, 0
	s_mov_b32 s7, exec_lo
	s_clause 0x1
	global_load_b64 v[12:13], v6, s[2:3] offset:32 glc
	global_load_b64 v[0:1], v6, s[2:3] offset:40
	v_dual_mov_b32 v11, s5 :: v_dual_mov_b32 v10, s4
	s_waitcnt vmcnt(0)
	v_and_b32_e32 v1, s5, v1
	v_and_b32_e32 v0, s4, v0
	s_delay_alu instid0(VALU_DEP_2) | instskip(NEXT) | instid1(VALU_DEP_2)
	v_mul_lo_u32 v1, v1, 24
	v_mul_hi_u32 v2, v0, 24
	v_mul_lo_u32 v0, v0, 24
	s_delay_alu instid0(VALU_DEP_2) | instskip(NEXT) | instid1(VALU_DEP_2)
	v_add_nc_u32_e32 v1, v2, v1
	v_add_co_u32 v4, vcc_lo, v4, v0
	s_delay_alu instid0(VALU_DEP_2)
	v_add_co_ci_u32_e32 v5, vcc_lo, v5, v1, vcc_lo
	global_store_b64 v[4:5], v[12:13], off
	s_waitcnt_vscnt null, 0x0
	global_atomic_cmpswap_b64 v[2:3], v6, v[10:13], s[2:3] offset:32 glc
	s_waitcnt vmcnt(0)
	v_cmpx_ne_u64_e64 v[2:3], v[12:13]
	s_cbranch_execz .LBB0_98
.LBB0_97:                               ; =>This Inner Loop Header: Depth=1
	v_dual_mov_b32 v0, s4 :: v_dual_mov_b32 v1, s5
	s_sleep 1
	global_store_b64 v[4:5], v[2:3], off
	s_waitcnt_vscnt null, 0x0
	global_atomic_cmpswap_b64 v[0:1], v6, v[0:3], s[2:3] offset:32 glc
	s_waitcnt vmcnt(0)
	v_cmp_eq_u64_e32 vcc_lo, v[0:1], v[2:3]
	v_dual_mov_b32 v3, v1 :: v_dual_mov_b32 v2, v0
	s_or_b32 s8, vcc_lo, s8
	s_delay_alu instid0(SALU_CYCLE_1)
	s_and_not1_b32 exec_lo, exec_lo, s8
	s_cbranch_execnz .LBB0_97
.LBB0_98:
	s_or_b32 exec_lo, exec_lo, s7
	v_mov_b32_e32 v3, 0
	s_mov_b32 s8, exec_lo
	s_mov_b32 s7, exec_lo
	v_mbcnt_lo_u32_b32 v2, s8, 0
	global_load_b64 v[0:1], v3, s[2:3] offset:16
	v_cmpx_eq_u32_e32 0, v2
	s_cbranch_execz .LBB0_100
; %bb.99:
	s_bcnt1_i32_b32 s8, s8
	s_delay_alu instid0(SALU_CYCLE_1)
	v_mov_b32_e32 v2, s8
	s_waitcnt vmcnt(0)
	global_atomic_add_u64 v[0:1], v[2:3], off offset:8
.LBB0_100:
	s_or_b32 exec_lo, exec_lo, s7
	s_waitcnt vmcnt(0)
	global_load_b64 v[2:3], v[0:1], off offset:16
	s_waitcnt vmcnt(0)
	v_cmp_eq_u64_e32 vcc_lo, 0, v[2:3]
	s_cbranch_vccnz .LBB0_102
; %bb.101:
	global_load_b32 v0, v[0:1], off offset:24
	s_waitcnt vmcnt(0)
	v_dual_mov_b32 v1, 0 :: v_dual_and_b32 v4, 0xffffff, v0
	s_waitcnt_vscnt null, 0x0
	global_store_b64 v[2:3], v[0:1], off
	v_readfirstlane_b32 m0, v4
	s_sendmsg sendmsg(MSG_INTERRUPT)
.LBB0_102:
	s_or_b32 exec_lo, exec_lo, s6
	s_branch .LBB0_106
	.p2align	6
.LBB0_103:                              ;   in Loop: Header=BB0_106 Depth=1
	s_or_b32 exec_lo, exec_lo, s6
	s_delay_alu instid0(VALU_DEP_1) | instskip(NEXT) | instid1(VALU_DEP_1)
	v_readfirstlane_b32 s6, v0
	s_cmp_eq_u32 s6, 0
	s_cbranch_scc1 .LBB0_105
; %bb.104:                              ;   in Loop: Header=BB0_106 Depth=1
	s_sleep 1
	s_cbranch_execnz .LBB0_106
	s_branch .LBB0_109
	.p2align	6
.LBB0_105:
	s_branch .LBB0_109
.LBB0_106:                              ; =>This Inner Loop Header: Depth=1
	v_mov_b32_e32 v0, 1
	s_and_saveexec_b32 s6, s0
	s_cbranch_execz .LBB0_103
; %bb.107:                              ;   in Loop: Header=BB0_106 Depth=1
	global_load_b32 v0, v[8:9], off offset:20 glc
	s_waitcnt vmcnt(0)
	buffer_gl1_inv
	buffer_gl0_inv
	v_and_b32_e32 v0, 1, v0
	s_branch .LBB0_103
.LBB0_108:
	s_or_b32 exec_lo, exec_lo, s1
	s_waitcnt vmcnt(0) lgkmcnt(0)
	s_setpc_b64 s[30:31]
.LBB0_109:
	s_and_saveexec_b32 s6, s0
	s_cbranch_execz .LBB0_113
; %bb.110:
	v_mov_b32_e32 v6, 0
	s_clause 0x2
	global_load_b64 v[2:3], v6, s[2:3] offset:40
	global_load_b64 v[7:8], v6, s[2:3] offset:24 glc
	global_load_b64 v[4:5], v6, s[2:3]
	s_waitcnt vmcnt(2)
	v_add_co_u32 v9, vcc_lo, v2, 1
	v_add_co_ci_u32_e32 v10, vcc_lo, 0, v3, vcc_lo
	s_delay_alu instid0(VALU_DEP_2) | instskip(NEXT) | instid1(VALU_DEP_2)
	v_add_co_u32 v0, vcc_lo, v9, s4
	v_add_co_ci_u32_e32 v1, vcc_lo, s5, v10, vcc_lo
	s_delay_alu instid0(VALU_DEP_1) | instskip(SKIP_1) | instid1(VALU_DEP_1)
	v_cmp_eq_u64_e32 vcc_lo, 0, v[0:1]
	v_dual_cndmask_b32 v1, v1, v10 :: v_dual_cndmask_b32 v0, v0, v9
	v_and_b32_e32 v3, v1, v3
	s_delay_alu instid0(VALU_DEP_2) | instskip(NEXT) | instid1(VALU_DEP_2)
	v_and_b32_e32 v2, v0, v2
	v_mul_lo_u32 v3, v3, 24
	s_delay_alu instid0(VALU_DEP_2) | instskip(SKIP_1) | instid1(VALU_DEP_2)
	v_mul_hi_u32 v9, v2, 24
	v_mul_lo_u32 v2, v2, 24
	v_add_nc_u32_e32 v3, v9, v3
	s_waitcnt vmcnt(0)
	s_delay_alu instid0(VALU_DEP_2) | instskip(SKIP_1) | instid1(VALU_DEP_3)
	v_add_co_u32 v4, vcc_lo, v4, v2
	v_mov_b32_e32 v2, v7
	v_add_co_ci_u32_e32 v5, vcc_lo, v5, v3, vcc_lo
	v_mov_b32_e32 v3, v8
	global_store_b64 v[4:5], v[7:8], off
	s_waitcnt_vscnt null, 0x0
	global_atomic_cmpswap_b64 v[2:3], v6, v[0:3], s[2:3] offset:24 glc
	s_waitcnt vmcnt(0)
	v_cmp_ne_u64_e32 vcc_lo, v[2:3], v[7:8]
	s_and_b32 exec_lo, exec_lo, vcc_lo
	s_cbranch_execz .LBB0_113
; %bb.111:
	s_mov_b32 s0, 0
.LBB0_112:                              ; =>This Inner Loop Header: Depth=1
	s_sleep 1
	global_store_b64 v[4:5], v[2:3], off
	s_waitcnt_vscnt null, 0x0
	global_atomic_cmpswap_b64 v[7:8], v6, v[0:3], s[2:3] offset:24 glc
	s_waitcnt vmcnt(0)
	v_cmp_eq_u64_e32 vcc_lo, v[7:8], v[2:3]
	v_dual_mov_b32 v2, v7 :: v_dual_mov_b32 v3, v8
	s_or_b32 s0, vcc_lo, s0
	s_delay_alu instid0(SALU_CYCLE_1)
	s_and_not1_b32 exec_lo, exec_lo, s0
	s_cbranch_execnz .LBB0_112
.LBB0_113:
	s_or_b32 exec_lo, exec_lo, s6
	s_delay_alu instid0(SALU_CYCLE_1)
	s_or_b32 exec_lo, exec_lo, s1
	s_waitcnt lgkmcnt(0)
	s_setpc_b64 s[30:31]
.Lfunc_end0:
	.size	__ockl_fprintf_append_string_n, .Lfunc_end0-__ockl_fprintf_append_string_n
                                        ; -- End function
	.section	.AMDGPU.csdata,"",@progbits
; Function info:
; codeLenInByte = 4740
; NumSgprs: 34
; NumVgprs: 36
; ScratchSize: 0
; MemoryBound: 0
	.text
	.p2align	2                               ; -- Begin function __assert_fail
	.type	__assert_fail,@function
__assert_fail:                          ; @__assert_fail
; %bb.0:
	s_waitcnt vmcnt(0) expcnt(0) lgkmcnt(0)
	s_mov_b32 s20, s33
	s_mov_b32 s33, s32
	s_or_saveexec_b32 s0, -1
	scratch_store_b32 off, v40, s33 offset:48 ; 4-byte Folded Spill
	s_mov_b32 exec_lo, s0
	v_writelane_b32 v40, s30, 0
	s_add_i32 s32, s32, 64
	v_writelane_b32 v40, s31, 1
	s_getpc_b64 s[0:1]
	s_add_u32 s0, s0, __const.__assert_fail.fmt@rel32@lo+4
	s_addc_u32 s1, s1, __const.__assert_fail.fmt@rel32@hi+12
	s_getpc_b64 s[2:3]
	s_add_u32 s2, s2, __const.__assert_fail.fmt@rel32@lo+20
	s_addc_u32 s3, s3, __const.__assert_fail.fmt@rel32@hi+28
	v_mbcnt_lo_u32_b32 v35, -1, 0
	s_clause 0x1
	s_load_b128 s[4:7], s[0:1], 0x0
	s_load_b128 s[12:15], s[2:3], 0x0
	s_load_b64 s[2:3], s[8:9], 0x50
	v_dual_mov_b32 v5, v1 :: v_dual_mov_b32 v4, v0
	v_mov_b32_e32 v14, 0x73256020
	v_readfirstlane_b32 s0, v35
	v_mov_b32_e32 v0, 0
	v_dual_mov_b32 v2, 0 :: v_dual_mov_b32 v3, 0xa2e
	v_mov_b32_e32 v15, 0x61662027
	v_dual_mov_b32 v16, 0x64656c69 :: v_dual_mov_b32 v1, 0
	v_cmp_eq_u32_e64 s0, s0, v35
	s_waitcnt lgkmcnt(0)
	v_dual_mov_b32 v9, s7 :: v_dual_mov_b32 v8, s6
	v_dual_mov_b32 v7, s5 :: v_dual_mov_b32 v6, s4
	;; [unrolled: 1-line block ×4, first 2 shown]
	s_clause 0x4
	scratch_store_b128 off, v[6:9], s33
	scratch_store_b128 off, v[10:13], s33 offset:16
	scratch_store_b8 off, v2, s33 offset:46
	scratch_store_b16 off, v3, s33 offset:44
	scratch_store_b96 off, v[14:16], s33 offset:32
	s_and_saveexec_b32 s1, s0
	s_cbranch_execz .LBB1_6
; %bb.1:
	global_load_b64 v[8:9], v2, s[2:3] offset:24 glc
	s_waitcnt vmcnt(0)
	buffer_gl1_inv
	buffer_gl0_inv
	s_clause 0x1
	global_load_b64 v[0:1], v2, s[2:3] offset:40
	global_load_b64 v[6:7], v2, s[2:3]
	s_mov_b32 s4, exec_lo
	s_waitcnt vmcnt(1)
	v_and_b32_e32 v1, v1, v9
	v_and_b32_e32 v0, v0, v8
	s_delay_alu instid0(VALU_DEP_2) | instskip(NEXT) | instid1(VALU_DEP_2)
	v_mul_lo_u32 v1, v1, 24
	v_mul_hi_u32 v3, v0, 24
	v_mul_lo_u32 v0, v0, 24
	s_delay_alu instid0(VALU_DEP_2) | instskip(SKIP_1) | instid1(VALU_DEP_2)
	v_add_nc_u32_e32 v1, v3, v1
	s_waitcnt vmcnt(0)
	v_add_co_u32 v0, vcc_lo, v6, v0
	s_delay_alu instid0(VALU_DEP_2)
	v_add_co_ci_u32_e32 v1, vcc_lo, v7, v1, vcc_lo
	global_load_b64 v[6:7], v[0:1], off glc
	s_waitcnt vmcnt(0)
	global_atomic_cmpswap_b64 v[0:1], v2, v[6:9], s[2:3] offset:24 glc
	s_waitcnt vmcnt(0)
	buffer_gl1_inv
	buffer_gl0_inv
	v_cmpx_ne_u64_e64 v[0:1], v[8:9]
	s_cbranch_execz .LBB1_5
; %bb.2:
	s_mov_b32 s5, 0
	.p2align	6
.LBB1_3:                                ; =>This Inner Loop Header: Depth=1
	s_sleep 1
	s_clause 0x1
	global_load_b64 v[6:7], v2, s[2:3] offset:40
	global_load_b64 v[10:11], v2, s[2:3]
	v_dual_mov_b32 v9, v1 :: v_dual_mov_b32 v8, v0
	s_waitcnt vmcnt(1)
	s_delay_alu instid0(VALU_DEP_1) | instskip(SKIP_1) | instid1(VALU_DEP_1)
	v_and_b32_e32 v3, v6, v8
	s_waitcnt vmcnt(0)
	v_mad_u64_u32 v[0:1], null, v3, 24, v[10:11]
	v_and_b32_e32 v3, v7, v9
	s_delay_alu instid0(VALU_DEP_1) | instskip(NEXT) | instid1(VALU_DEP_1)
	v_mad_u64_u32 v[6:7], null, v3, 24, v[1:2]
	v_mov_b32_e32 v1, v6
	global_load_b64 v[6:7], v[0:1], off glc
	s_waitcnt vmcnt(0)
	global_atomic_cmpswap_b64 v[0:1], v2, v[6:9], s[2:3] offset:24 glc
	s_waitcnt vmcnt(0)
	buffer_gl1_inv
	buffer_gl0_inv
	v_cmp_eq_u64_e32 vcc_lo, v[0:1], v[8:9]
	s_or_b32 s5, vcc_lo, s5
	s_delay_alu instid0(SALU_CYCLE_1)
	s_and_not1_b32 exec_lo, exec_lo, s5
	s_cbranch_execnz .LBB1_3
; %bb.4:
	s_or_b32 exec_lo, exec_lo, s5
.LBB1_5:
	s_delay_alu instid0(SALU_CYCLE_1)
	s_or_b32 exec_lo, exec_lo, s4
.LBB1_6:
	s_delay_alu instid0(SALU_CYCLE_1)
	s_or_b32 exec_lo, exec_lo, s1
	s_clause 0x1
	global_load_b64 v[10:11], v2, s[2:3] offset:40
	global_load_b128 v[6:9], v2, s[2:3]
	v_readfirstlane_b32 s4, v0
	v_readfirstlane_b32 s5, v1
	s_mov_b32 s1, exec_lo
	s_waitcnt vmcnt(1)
	v_readfirstlane_b32 s6, v10
	v_readfirstlane_b32 s7, v11
	s_delay_alu instid0(VALU_DEP_1) | instskip(NEXT) | instid1(SALU_CYCLE_1)
	s_and_b64 s[6:7], s[4:5], s[6:7]
	s_mul_i32 s10, s7, 24
	s_mul_hi_u32 s11, s6, 24
	s_mul_i32 s12, s6, 24
	s_add_i32 s11, s11, s10
	s_waitcnt vmcnt(0)
	v_add_co_u32 v10, vcc_lo, v6, s12
	v_add_co_ci_u32_e32 v11, vcc_lo, s11, v7, vcc_lo
	s_and_saveexec_b32 s10, s0
	s_cbranch_execz .LBB1_8
; %bb.7:
	v_dual_mov_b32 v0, s1 :: v_dual_mov_b32 v1, 0
	v_dual_mov_b32 v2, 2 :: v_dual_mov_b32 v3, 1
	global_store_b128 v[10:11], v[0:3], off offset:8
.LBB1_8:
	s_or_b32 exec_lo, exec_lo, s10
	s_lshl_b64 s[6:7], s[6:7], 12
	v_dual_mov_b32 v1, 0 :: v_dual_lshlrev_b32 v34, 6, v35
	v_add_co_u32 v8, vcc_lo, v8, s6
	v_add_co_ci_u32_e32 v9, vcc_lo, s7, v9, vcc_lo
	s_mov_b32 s12, 0
	s_delay_alu instid0(VALU_DEP_2)
	v_add_co_u32 v12, vcc_lo, v8, v34
	s_mov_b32 s15, s12
	s_mov_b32 s13, s12
	;; [unrolled: 1-line block ×3, first 2 shown]
	v_dual_mov_b32 v0, 33 :: v_dual_mov_b32 v3, v1
	v_dual_mov_b32 v2, 1 :: v_dual_mov_b32 v17, s15
	v_readfirstlane_b32 s6, v8
	v_readfirstlane_b32 s7, v9
	v_add_co_ci_u32_e32 v13, vcc_lo, 0, v9, vcc_lo
	v_dual_mov_b32 v16, s14 :: v_dual_mov_b32 v15, s13
	v_mov_b32_e32 v14, s12
	s_clause 0x3
	global_store_b128 v34, v[0:3], s[6:7]
	global_store_b128 v34, v[14:17], s[6:7] offset:16
	global_store_b128 v34, v[14:17], s[6:7] offset:32
	;; [unrolled: 1-line block ×3, first 2 shown]
	s_and_saveexec_b32 s1, s0
	s_cbranch_execz .LBB1_16
; %bb.9:
	s_clause 0x1
	global_load_b64 v[16:17], v1, s[2:3] offset:32 glc
	global_load_b64 v[2:3], v1, s[2:3] offset:40
	v_mov_b32_e32 v14, s4
	s_mov_b32 s6, exec_lo
	s_waitcnt vmcnt(0)
	v_dual_mov_b32 v15, s5 :: v_dual_and_b32 v0, s5, v3
	v_and_b32_e32 v2, s4, v2
	s_delay_alu instid0(VALU_DEP_2) | instskip(NEXT) | instid1(VALU_DEP_2)
	v_mul_lo_u32 v0, v0, 24
	v_mul_hi_u32 v3, v2, 24
	v_mul_lo_u32 v2, v2, 24
	s_delay_alu instid0(VALU_DEP_2) | instskip(NEXT) | instid1(VALU_DEP_2)
	v_add_nc_u32_e32 v0, v3, v0
	v_add_co_u32 v2, vcc_lo, v6, v2
	s_delay_alu instid0(VALU_DEP_2)
	v_add_co_ci_u32_e32 v3, vcc_lo, v7, v0, vcc_lo
	global_store_b64 v[2:3], v[16:17], off
	s_waitcnt_vscnt null, 0x0
	global_atomic_cmpswap_b64 v[8:9], v1, v[14:17], s[2:3] offset:32 glc
	s_waitcnt vmcnt(0)
	v_cmpx_ne_u64_e64 v[8:9], v[16:17]
	s_cbranch_execz .LBB1_12
; %bb.10:
	s_mov_b32 s7, 0
.LBB1_11:                               ; =>This Inner Loop Header: Depth=1
	v_dual_mov_b32 v6, s4 :: v_dual_mov_b32 v7, s5
	s_sleep 1
	global_store_b64 v[2:3], v[8:9], off
	s_waitcnt_vscnt null, 0x0
	global_atomic_cmpswap_b64 v[6:7], v1, v[6:9], s[2:3] offset:32 glc
	s_waitcnt vmcnt(0)
	v_cmp_eq_u64_e32 vcc_lo, v[6:7], v[8:9]
	v_dual_mov_b32 v9, v7 :: v_dual_mov_b32 v8, v6
	s_or_b32 s7, vcc_lo, s7
	s_delay_alu instid0(SALU_CYCLE_1)
	s_and_not1_b32 exec_lo, exec_lo, s7
	s_cbranch_execnz .LBB1_11
.LBB1_12:
	s_or_b32 exec_lo, exec_lo, s6
	v_mov_b32_e32 v3, 0
	s_mov_b32 s7, exec_lo
	s_mov_b32 s6, exec_lo
	v_mbcnt_lo_u32_b32 v2, s7, 0
	global_load_b64 v[0:1], v3, s[2:3] offset:16
	v_cmpx_eq_u32_e32 0, v2
	s_cbranch_execz .LBB1_14
; %bb.13:
	s_bcnt1_i32_b32 s7, s7
	s_delay_alu instid0(SALU_CYCLE_1)
	v_mov_b32_e32 v2, s7
	s_waitcnt vmcnt(0)
	global_atomic_add_u64 v[0:1], v[2:3], off offset:8
.LBB1_14:
	s_or_b32 exec_lo, exec_lo, s6
	s_waitcnt vmcnt(0)
	global_load_b64 v[2:3], v[0:1], off offset:16
	s_waitcnt vmcnt(0)
	v_cmp_eq_u64_e32 vcc_lo, 0, v[2:3]
	s_cbranch_vccnz .LBB1_16
; %bb.15:
	global_load_b32 v0, v[0:1], off offset:24
	s_waitcnt vmcnt(0)
	v_dual_mov_b32 v1, 0 :: v_dual_and_b32 v6, 0xffffff, v0
	s_waitcnt_vscnt null, 0x0
	global_store_b64 v[2:3], v[0:1], off
	v_readfirstlane_b32 m0, v6
	s_sendmsg sendmsg(MSG_INTERRUPT)
.LBB1_16:
	s_or_b32 exec_lo, exec_lo, s1
	s_branch .LBB1_20
	.p2align	6
.LBB1_17:                               ;   in Loop: Header=BB1_20 Depth=1
	s_or_b32 exec_lo, exec_lo, s1
	s_delay_alu instid0(VALU_DEP_1) | instskip(NEXT) | instid1(VALU_DEP_1)
	v_readfirstlane_b32 s1, v0
	s_cmp_eq_u32 s1, 0
	s_cbranch_scc1 .LBB1_19
; %bb.18:                               ;   in Loop: Header=BB1_20 Depth=1
	s_sleep 1
	s_cbranch_execnz .LBB1_20
	s_branch .LBB1_22
	.p2align	6
.LBB1_19:
	s_branch .LBB1_22
.LBB1_20:                               ; =>This Inner Loop Header: Depth=1
	v_mov_b32_e32 v0, 1
	s_and_saveexec_b32 s1, s0
	s_cbranch_execz .LBB1_17
; %bb.21:                               ;   in Loop: Header=BB1_20 Depth=1
	global_load_b32 v0, v[10:11], off offset:20 glc
	s_waitcnt vmcnt(0)
	buffer_gl1_inv
	buffer_gl0_inv
	v_and_b32_e32 v0, 1, v0
	s_branch .LBB1_17
.LBB1_22:
	global_load_b64 v[6:7], v[12:13], off
	s_and_saveexec_b32 s1, s0
	s_cbranch_execz .LBB1_26
; %bb.23:
	v_mov_b32_e32 v10, 0
	s_clause 0x2
	global_load_b64 v[2:3], v10, s[2:3] offset:40
	global_load_b64 v[11:12], v10, s[2:3] offset:24 glc
	global_load_b64 v[8:9], v10, s[2:3]
	s_waitcnt vmcnt(2)
	v_add_co_u32 v13, vcc_lo, v2, 1
	v_add_co_ci_u32_e32 v14, vcc_lo, 0, v3, vcc_lo
	s_delay_alu instid0(VALU_DEP_2) | instskip(NEXT) | instid1(VALU_DEP_2)
	v_add_co_u32 v0, vcc_lo, v13, s4
	v_add_co_ci_u32_e32 v1, vcc_lo, s5, v14, vcc_lo
	s_delay_alu instid0(VALU_DEP_1) | instskip(SKIP_1) | instid1(VALU_DEP_1)
	v_cmp_eq_u64_e32 vcc_lo, 0, v[0:1]
	v_dual_cndmask_b32 v1, v1, v14 :: v_dual_cndmask_b32 v0, v0, v13
	v_and_b32_e32 v3, v1, v3
	s_delay_alu instid0(VALU_DEP_2) | instskip(NEXT) | instid1(VALU_DEP_2)
	v_and_b32_e32 v2, v0, v2
	v_mul_lo_u32 v3, v3, 24
	s_delay_alu instid0(VALU_DEP_2) | instskip(SKIP_1) | instid1(VALU_DEP_2)
	v_mul_hi_u32 v13, v2, 24
	v_mul_lo_u32 v2, v2, 24
	v_add_nc_u32_e32 v3, v13, v3
	s_waitcnt vmcnt(0)
	s_delay_alu instid0(VALU_DEP_2) | instskip(SKIP_1) | instid1(VALU_DEP_3)
	v_add_co_u32 v8, vcc_lo, v8, v2
	v_mov_b32_e32 v2, v11
	v_add_co_ci_u32_e32 v9, vcc_lo, v9, v3, vcc_lo
	v_mov_b32_e32 v3, v12
	global_store_b64 v[8:9], v[11:12], off
	s_waitcnt_vscnt null, 0x0
	global_atomic_cmpswap_b64 v[2:3], v10, v[0:3], s[2:3] offset:24 glc
	s_waitcnt vmcnt(0)
	v_cmp_ne_u64_e32 vcc_lo, v[2:3], v[11:12]
	s_and_b32 exec_lo, exec_lo, vcc_lo
	s_cbranch_execz .LBB1_26
; %bb.24:
	s_mov_b32 s0, 0
.LBB1_25:                               ; =>This Inner Loop Header: Depth=1
	s_sleep 1
	global_store_b64 v[8:9], v[2:3], off
	s_waitcnt_vscnt null, 0x0
	global_atomic_cmpswap_b64 v[11:12], v10, v[0:3], s[2:3] offset:24 glc
	s_waitcnt vmcnt(0)
	v_cmp_eq_u64_e32 vcc_lo, v[11:12], v[2:3]
	v_dual_mov_b32 v2, v11 :: v_dual_mov_b32 v3, v12
	s_or_b32 s0, vcc_lo, s0
	s_delay_alu instid0(SALU_CYCLE_1)
	s_and_not1_b32 exec_lo, exec_lo, s0
	s_cbranch_execnz .LBB1_25
.LBB1_26:
	s_or_b32 exec_lo, exec_lo, s1
	v_mov_b32_e32 v1, s33
	s_mov_b32 s0, 0
.LBB1_27:                               ; =>This Inner Loop Header: Depth=1
	scratch_load_u8 v2, v1, off
	v_add_nc_u32_e32 v0, 1, v1
	s_delay_alu instid0(VALU_DEP_1) | instskip(SKIP_3) | instid1(SALU_CYCLE_1)
	v_mov_b32_e32 v1, v0
	s_waitcnt vmcnt(0)
	v_cmp_eq_u16_e32 vcc_lo, 0, v2
	s_or_b32 s0, vcc_lo, s0
	s_and_not1_b32 exec_lo, exec_lo, s0
	s_cbranch_execnz .LBB1_27
; %bb.28:
	s_or_b32 exec_lo, exec_lo, s0
	v_cmp_ne_u32_e64 s0, -1, s33
	s_delay_alu instid0(VALU_DEP_1)
	s_and_b32 vcc_lo, exec_lo, s0
	s_cbranch_vccz .LBB1_113
; %bb.29:
	v_subrev_nc_u32_e32 v28, s33, v0
	v_dual_mov_b32 v9, 0 :: v_dual_and_b32 v36, 2, v6
	v_dual_mov_b32 v1, v7 :: v_dual_and_b32 v0, -3, v6
	s_delay_alu instid0(VALU_DEP_3)
	v_ashrrev_i32_e32 v29, 31, v28
	v_dual_mov_b32 v37, s33 :: v_dual_mov_b32 v10, 2
	v_mov_b32_e32 v11, 1
	s_mov_b32 s11, 0
	s_mov_b32 s10, 0
	s_branch .LBB1_31
.LBB1_30:                               ;   in Loop: Header=BB1_31 Depth=1
	s_or_b32 exec_lo, exec_lo, s1
	v_sub_co_u32 v28, vcc_lo, v28, v30
	v_sub_co_ci_u32_e32 v29, vcc_lo, v29, v31, vcc_lo
	v_add_nc_u32_e32 v37, v37, v30
	s_delay_alu instid0(VALU_DEP_2) | instskip(SKIP_1) | instid1(SALU_CYCLE_1)
	v_cmp_eq_u64_e32 vcc_lo, 0, v[28:29]
	s_or_b32 s10, vcc_lo, s10
	s_and_not1_b32 exec_lo, exec_lo, s10
	s_cbranch_execz .LBB1_114
.LBB1_31:                               ; =>This Loop Header: Depth=1
                                        ;     Child Loop BB1_34 Depth 2
                                        ;     Child Loop BB1_42 Depth 2
	;; [unrolled: 1-line block ×11, first 2 shown]
	v_cmp_gt_u64_e32 vcc_lo, 56, v[28:29]
	s_mov_b32 s4, exec_lo
                                        ; implicit-def: $vgpr2_vgpr3
                                        ; implicit-def: $sgpr1
	v_dual_cndmask_b32 v31, 0, v29 :: v_dual_cndmask_b32 v30, 56, v28
	v_cmpx_gt_u64_e32 8, v[28:29]
	s_xor_b32 s4, exec_lo, s4
	s_cbranch_execz .LBB1_37
; %bb.32:                               ;   in Loop: Header=BB1_31 Depth=1
	s_waitcnt vmcnt(0)
	v_mov_b32_e32 v2, 0
	v_mov_b32_e32 v3, 0
	s_mov_b64 s[0:1], 0
	s_mov_b32 s5, exec_lo
	v_cmpx_ne_u64_e32 0, v[28:29]
	s_cbranch_execz .LBB1_36
; %bb.33:                               ;   in Loop: Header=BB1_31 Depth=1
	v_lshlrev_b64 v[12:13], 3, v[30:31]
	v_mov_b32_e32 v2, 0
	v_dual_mov_b32 v3, 0 :: v_dual_mov_b32 v8, v37
	s_mov_b32 s6, 0
.LBB1_34:                               ;   Parent Loop BB1_31 Depth=1
                                        ; =>  This Inner Loop Header: Depth=2
	scratch_load_u8 v13, v8, off
	v_mov_b32_e32 v14, s11
	v_add_nc_u32_e32 v8, 1, v8
	s_waitcnt vmcnt(0)
	v_and_b32_e32 v13, 0xffff, v13
	s_delay_alu instid0(VALU_DEP_1) | instskip(SKIP_3) | instid1(VALU_DEP_2)
	v_lshlrev_b64 v[13:14], s0, v[13:14]
	s_add_u32 s0, s0, 8
	s_addc_u32 s1, s1, 0
	v_cmp_eq_u32_e32 vcc_lo, s0, v12
	v_or_b32_e32 v3, v14, v3
	s_delay_alu instid0(VALU_DEP_3) | instskip(SKIP_1) | instid1(SALU_CYCLE_1)
	v_or_b32_e32 v2, v13, v2
	s_or_b32 s6, vcc_lo, s6
	s_and_not1_b32 exec_lo, exec_lo, s6
	s_cbranch_execnz .LBB1_34
; %bb.35:                               ;   in Loop: Header=BB1_31 Depth=1
	s_or_b32 exec_lo, exec_lo, s6
.LBB1_36:                               ;   in Loop: Header=BB1_31 Depth=1
	s_delay_alu instid0(SALU_CYCLE_1)
	s_or_b32 exec_lo, exec_lo, s5
	s_mov_b32 s1, 0
.LBB1_37:                               ;   in Loop: Header=BB1_31 Depth=1
	s_or_saveexec_b32 s0, s4
	v_mov_b32_e32 v14, s1
	v_mov_b32_e32 v8, v37
	s_xor_b32 exec_lo, exec_lo, s0
	s_cbranch_execz .LBB1_39
; %bb.38:                               ;   in Loop: Header=BB1_31 Depth=1
	scratch_load_b64 v[2:3], v37, off
	v_add_nc_u32_e32 v14, -8, v30
	s_waitcnt vmcnt(0)
	v_and_b32_e32 v8, 0xff, v3
	v_and_b32_e32 v12, 0xff00, v3
	;; [unrolled: 1-line block ×4, first 2 shown]
	v_or3_b32 v2, v2, 0, 0
	s_delay_alu instid0(VALU_DEP_4) | instskip(NEXT) | instid1(VALU_DEP_1)
	v_or_b32_e32 v8, v8, v12
	v_or3_b32 v3, v8, v13, v3
	v_add_nc_u32_e32 v8, 8, v37
.LBB1_39:                               ;   in Loop: Header=BB1_31 Depth=1
	s_or_b32 exec_lo, exec_lo, s0
                                        ; implicit-def: $vgpr12_vgpr13
                                        ; implicit-def: $sgpr1
	s_delay_alu instid0(SALU_CYCLE_1)
	s_mov_b32 s0, exec_lo
	v_cmpx_gt_u32_e32 8, v14
	s_xor_b32 s4, exec_lo, s0
	s_cbranch_execz .LBB1_45
; %bb.40:                               ;   in Loop: Header=BB1_31 Depth=1
	v_mov_b32_e32 v12, 0
	v_mov_b32_e32 v13, 0
	s_mov_b32 s5, exec_lo
	v_cmpx_ne_u32_e32 0, v14
	s_cbranch_execz .LBB1_44
; %bb.41:                               ;   in Loop: Header=BB1_31 Depth=1
	v_mov_b32_e32 v12, 0
	v_mov_b32_e32 v13, 0
	s_mov_b64 s[0:1], 0
	s_mov_b32 s6, 0
	s_mov_b32 s7, 0
	.p2align	6
.LBB1_42:                               ;   Parent Loop BB1_31 Depth=1
                                        ; =>  This Inner Loop Header: Depth=2
	s_delay_alu instid0(SALU_CYCLE_1) | instskip(SKIP_1) | instid1(SALU_CYCLE_1)
	v_dual_mov_b32 v16, s11 :: v_dual_add_nc_u32 v15, s7, v8
	s_add_i32 s7, s7, 1
	v_cmp_eq_u32_e32 vcc_lo, s7, v14
	scratch_load_u8 v15, v15, off
	s_waitcnt vmcnt(0)
	v_and_b32_e32 v15, 0xffff, v15
	s_delay_alu instid0(VALU_DEP_1) | instskip(SKIP_3) | instid1(VALU_DEP_1)
	v_lshlrev_b64 v[15:16], s0, v[15:16]
	s_add_u32 s0, s0, 8
	s_addc_u32 s1, s1, 0
	s_or_b32 s6, vcc_lo, s6
	v_or_b32_e32 v13, v16, v13
	s_delay_alu instid0(VALU_DEP_2)
	v_or_b32_e32 v12, v15, v12
	s_and_not1_b32 exec_lo, exec_lo, s6
	s_cbranch_execnz .LBB1_42
; %bb.43:                               ;   in Loop: Header=BB1_31 Depth=1
	s_or_b32 exec_lo, exec_lo, s6
.LBB1_44:                               ;   in Loop: Header=BB1_31 Depth=1
	s_delay_alu instid0(SALU_CYCLE_1)
	s_or_b32 exec_lo, exec_lo, s5
	s_mov_b32 s1, 0
                                        ; implicit-def: $vgpr14
.LBB1_45:                               ;   in Loop: Header=BB1_31 Depth=1
	s_or_saveexec_b32 s0, s4
	v_mov_b32_e32 v16, s1
	s_xor_b32 exec_lo, exec_lo, s0
	s_cbranch_execz .LBB1_47
; %bb.46:                               ;   in Loop: Header=BB1_31 Depth=1
	scratch_load_b64 v[12:13], v8, off
	v_add_nc_u32_e32 v8, 8, v8
	s_waitcnt vmcnt(0)
	v_and_b32_e32 v15, 0xff, v13
	v_and_b32_e32 v16, 0xff00, v13
	;; [unrolled: 1-line block ×4, first 2 shown]
	v_or3_b32 v12, v12, 0, 0
	s_delay_alu instid0(VALU_DEP_4) | instskip(SKIP_1) | instid1(VALU_DEP_2)
	v_or_b32_e32 v15, v15, v16
	v_add_nc_u32_e32 v16, -8, v14
	v_or3_b32 v13, v15, v17, v13
.LBB1_47:                               ;   in Loop: Header=BB1_31 Depth=1
	s_or_b32 exec_lo, exec_lo, s0
                                        ; implicit-def: $sgpr1
	s_delay_alu instid0(SALU_CYCLE_1) | instskip(NEXT) | instid1(VALU_DEP_1)
	s_mov_b32 s0, exec_lo
	v_cmpx_gt_u32_e32 8, v16
	s_xor_b32 s4, exec_lo, s0
	s_cbranch_execz .LBB1_53
; %bb.48:                               ;   in Loop: Header=BB1_31 Depth=1
	v_mov_b32_e32 v14, 0
	v_mov_b32_e32 v15, 0
	s_mov_b32 s5, exec_lo
	v_cmpx_ne_u32_e32 0, v16
	s_cbranch_execz .LBB1_52
; %bb.49:                               ;   in Loop: Header=BB1_31 Depth=1
	v_mov_b32_e32 v14, 0
	v_mov_b32_e32 v15, 0
	s_mov_b64 s[0:1], 0
	s_mov_b32 s6, 0
	s_mov_b32 s7, 0
	.p2align	6
.LBB1_50:                               ;   Parent Loop BB1_31 Depth=1
                                        ; =>  This Inner Loop Header: Depth=2
	s_delay_alu instid0(SALU_CYCLE_1) | instskip(SKIP_1) | instid1(SALU_CYCLE_1)
	v_dual_mov_b32 v18, s11 :: v_dual_add_nc_u32 v17, s7, v8
	s_add_i32 s7, s7, 1
	v_cmp_eq_u32_e32 vcc_lo, s7, v16
	scratch_load_u8 v17, v17, off
	s_waitcnt vmcnt(0)
	v_and_b32_e32 v17, 0xffff, v17
	s_delay_alu instid0(VALU_DEP_1) | instskip(SKIP_3) | instid1(VALU_DEP_1)
	v_lshlrev_b64 v[17:18], s0, v[17:18]
	s_add_u32 s0, s0, 8
	s_addc_u32 s1, s1, 0
	s_or_b32 s6, vcc_lo, s6
	v_or_b32_e32 v15, v18, v15
	s_delay_alu instid0(VALU_DEP_2)
	v_or_b32_e32 v14, v17, v14
	s_and_not1_b32 exec_lo, exec_lo, s6
	s_cbranch_execnz .LBB1_50
; %bb.51:                               ;   in Loop: Header=BB1_31 Depth=1
	s_or_b32 exec_lo, exec_lo, s6
.LBB1_52:                               ;   in Loop: Header=BB1_31 Depth=1
	s_delay_alu instid0(SALU_CYCLE_1)
	s_or_b32 exec_lo, exec_lo, s5
	s_mov_b32 s1, 0
                                        ; implicit-def: $vgpr16
.LBB1_53:                               ;   in Loop: Header=BB1_31 Depth=1
	s_or_saveexec_b32 s0, s4
	v_mov_b32_e32 v18, s1
	s_xor_b32 exec_lo, exec_lo, s0
	s_cbranch_execz .LBB1_55
; %bb.54:                               ;   in Loop: Header=BB1_31 Depth=1
	scratch_load_b64 v[14:15], v8, off
	v_add_nc_u32_e32 v8, 8, v8
	s_waitcnt vmcnt(0)
	v_and_b32_e32 v17, 0xff, v15
	v_and_b32_e32 v18, 0xff00, v15
	;; [unrolled: 1-line block ×4, first 2 shown]
	v_or3_b32 v14, v14, 0, 0
	s_delay_alu instid0(VALU_DEP_4) | instskip(SKIP_1) | instid1(VALU_DEP_2)
	v_or_b32_e32 v17, v17, v18
	v_add_nc_u32_e32 v18, -8, v16
	v_or3_b32 v15, v17, v19, v15
.LBB1_55:                               ;   in Loop: Header=BB1_31 Depth=1
	s_or_b32 exec_lo, exec_lo, s0
                                        ; implicit-def: $vgpr16_vgpr17
                                        ; implicit-def: $sgpr1
	s_delay_alu instid0(SALU_CYCLE_1) | instskip(NEXT) | instid1(VALU_DEP_1)
	s_mov_b32 s0, exec_lo
	v_cmpx_gt_u32_e32 8, v18
	s_xor_b32 s4, exec_lo, s0
	s_cbranch_execz .LBB1_61
; %bb.56:                               ;   in Loop: Header=BB1_31 Depth=1
	v_mov_b32_e32 v16, 0
	v_mov_b32_e32 v17, 0
	s_mov_b32 s5, exec_lo
	v_cmpx_ne_u32_e32 0, v18
	s_cbranch_execz .LBB1_60
; %bb.57:                               ;   in Loop: Header=BB1_31 Depth=1
	v_mov_b32_e32 v16, 0
	v_mov_b32_e32 v17, 0
	s_mov_b64 s[0:1], 0
	s_mov_b32 s6, 0
	s_mov_b32 s7, 0
	.p2align	6
.LBB1_58:                               ;   Parent Loop BB1_31 Depth=1
                                        ; =>  This Inner Loop Header: Depth=2
	s_delay_alu instid0(SALU_CYCLE_1) | instskip(SKIP_1) | instid1(SALU_CYCLE_1)
	v_dual_mov_b32 v20, s11 :: v_dual_add_nc_u32 v19, s7, v8
	s_add_i32 s7, s7, 1
	v_cmp_eq_u32_e32 vcc_lo, s7, v18
	scratch_load_u8 v19, v19, off
	s_waitcnt vmcnt(0)
	v_and_b32_e32 v19, 0xffff, v19
	s_delay_alu instid0(VALU_DEP_1) | instskip(SKIP_3) | instid1(VALU_DEP_1)
	v_lshlrev_b64 v[19:20], s0, v[19:20]
	s_add_u32 s0, s0, 8
	s_addc_u32 s1, s1, 0
	s_or_b32 s6, vcc_lo, s6
	v_or_b32_e32 v17, v20, v17
	s_delay_alu instid0(VALU_DEP_2)
	v_or_b32_e32 v16, v19, v16
	s_and_not1_b32 exec_lo, exec_lo, s6
	s_cbranch_execnz .LBB1_58
; %bb.59:                               ;   in Loop: Header=BB1_31 Depth=1
	s_or_b32 exec_lo, exec_lo, s6
.LBB1_60:                               ;   in Loop: Header=BB1_31 Depth=1
	s_delay_alu instid0(SALU_CYCLE_1)
	s_or_b32 exec_lo, exec_lo, s5
	s_mov_b32 s1, 0
                                        ; implicit-def: $vgpr18
.LBB1_61:                               ;   in Loop: Header=BB1_31 Depth=1
	s_or_saveexec_b32 s0, s4
	v_mov_b32_e32 v20, s1
	s_xor_b32 exec_lo, exec_lo, s0
	s_cbranch_execz .LBB1_63
; %bb.62:                               ;   in Loop: Header=BB1_31 Depth=1
	scratch_load_b64 v[16:17], v8, off
	v_add_nc_u32_e32 v8, 8, v8
	s_waitcnt vmcnt(0)
	v_and_b32_e32 v19, 0xff, v17
	v_and_b32_e32 v20, 0xff00, v17
	v_and_b32_e32 v21, 0xff0000, v17
	v_and_b32_e32 v17, 0xff000000, v17
	v_or3_b32 v16, v16, 0, 0
	s_delay_alu instid0(VALU_DEP_4) | instskip(SKIP_1) | instid1(VALU_DEP_2)
	v_or_b32_e32 v19, v19, v20
	v_add_nc_u32_e32 v20, -8, v18
	v_or3_b32 v17, v19, v21, v17
.LBB1_63:                               ;   in Loop: Header=BB1_31 Depth=1
	s_or_b32 exec_lo, exec_lo, s0
                                        ; implicit-def: $sgpr1
	s_delay_alu instid0(SALU_CYCLE_1) | instskip(NEXT) | instid1(VALU_DEP_1)
	s_mov_b32 s0, exec_lo
	v_cmpx_gt_u32_e32 8, v20
	s_xor_b32 s4, exec_lo, s0
	s_cbranch_execz .LBB1_69
; %bb.64:                               ;   in Loop: Header=BB1_31 Depth=1
	v_mov_b32_e32 v18, 0
	v_mov_b32_e32 v19, 0
	s_mov_b32 s5, exec_lo
	v_cmpx_ne_u32_e32 0, v20
	s_cbranch_execz .LBB1_68
; %bb.65:                               ;   in Loop: Header=BB1_31 Depth=1
	v_mov_b32_e32 v18, 0
	v_mov_b32_e32 v19, 0
	s_mov_b64 s[0:1], 0
	s_mov_b32 s6, 0
	s_mov_b32 s7, 0
	.p2align	6
.LBB1_66:                               ;   Parent Loop BB1_31 Depth=1
                                        ; =>  This Inner Loop Header: Depth=2
	s_delay_alu instid0(SALU_CYCLE_1) | instskip(SKIP_1) | instid1(SALU_CYCLE_1)
	v_dual_mov_b32 v22, s11 :: v_dual_add_nc_u32 v21, s7, v8
	s_add_i32 s7, s7, 1
	v_cmp_eq_u32_e32 vcc_lo, s7, v20
	scratch_load_u8 v21, v21, off
	s_waitcnt vmcnt(0)
	v_and_b32_e32 v21, 0xffff, v21
	s_delay_alu instid0(VALU_DEP_1) | instskip(SKIP_3) | instid1(VALU_DEP_1)
	v_lshlrev_b64 v[21:22], s0, v[21:22]
	s_add_u32 s0, s0, 8
	s_addc_u32 s1, s1, 0
	s_or_b32 s6, vcc_lo, s6
	v_or_b32_e32 v19, v22, v19
	s_delay_alu instid0(VALU_DEP_2)
	v_or_b32_e32 v18, v21, v18
	s_and_not1_b32 exec_lo, exec_lo, s6
	s_cbranch_execnz .LBB1_66
; %bb.67:                               ;   in Loop: Header=BB1_31 Depth=1
	s_or_b32 exec_lo, exec_lo, s6
.LBB1_68:                               ;   in Loop: Header=BB1_31 Depth=1
	s_delay_alu instid0(SALU_CYCLE_1)
	s_or_b32 exec_lo, exec_lo, s5
	s_mov_b32 s1, 0
                                        ; implicit-def: $vgpr20
.LBB1_69:                               ;   in Loop: Header=BB1_31 Depth=1
	s_or_saveexec_b32 s0, s4
	v_mov_b32_e32 v22, s1
	s_xor_b32 exec_lo, exec_lo, s0
	s_cbranch_execz .LBB1_71
; %bb.70:                               ;   in Loop: Header=BB1_31 Depth=1
	scratch_load_b64 v[18:19], v8, off
	v_add_nc_u32_e32 v8, 8, v8
	s_waitcnt vmcnt(0)
	v_and_b32_e32 v21, 0xff, v19
	v_and_b32_e32 v22, 0xff00, v19
	v_and_b32_e32 v23, 0xff0000, v19
	v_and_b32_e32 v19, 0xff000000, v19
	v_or3_b32 v18, v18, 0, 0
	s_delay_alu instid0(VALU_DEP_4) | instskip(SKIP_1) | instid1(VALU_DEP_2)
	v_or_b32_e32 v21, v21, v22
	v_add_nc_u32_e32 v22, -8, v20
	v_or3_b32 v19, v21, v23, v19
.LBB1_71:                               ;   in Loop: Header=BB1_31 Depth=1
	s_or_b32 exec_lo, exec_lo, s0
                                        ; implicit-def: $vgpr20_vgpr21
                                        ; implicit-def: $sgpr1
	s_delay_alu instid0(SALU_CYCLE_1) | instskip(NEXT) | instid1(VALU_DEP_1)
	s_mov_b32 s0, exec_lo
	v_cmpx_gt_u32_e32 8, v22
	s_xor_b32 s4, exec_lo, s0
	s_cbranch_execz .LBB1_77
; %bb.72:                               ;   in Loop: Header=BB1_31 Depth=1
	v_mov_b32_e32 v20, 0
	v_mov_b32_e32 v21, 0
	s_mov_b32 s5, exec_lo
	v_cmpx_ne_u32_e32 0, v22
	s_cbranch_execz .LBB1_76
; %bb.73:                               ;   in Loop: Header=BB1_31 Depth=1
	v_mov_b32_e32 v20, 0
	v_mov_b32_e32 v21, 0
	s_mov_b64 s[0:1], 0
	s_mov_b32 s6, 0
	s_mov_b32 s7, 0
	.p2align	6
.LBB1_74:                               ;   Parent Loop BB1_31 Depth=1
                                        ; =>  This Inner Loop Header: Depth=2
	s_delay_alu instid0(SALU_CYCLE_1) | instskip(SKIP_1) | instid1(SALU_CYCLE_1)
	v_dual_mov_b32 v24, s11 :: v_dual_add_nc_u32 v23, s7, v8
	s_add_i32 s7, s7, 1
	v_cmp_eq_u32_e32 vcc_lo, s7, v22
	scratch_load_u8 v23, v23, off
	s_waitcnt vmcnt(0)
	v_and_b32_e32 v23, 0xffff, v23
	s_delay_alu instid0(VALU_DEP_1) | instskip(SKIP_3) | instid1(VALU_DEP_1)
	v_lshlrev_b64 v[23:24], s0, v[23:24]
	s_add_u32 s0, s0, 8
	s_addc_u32 s1, s1, 0
	s_or_b32 s6, vcc_lo, s6
	v_or_b32_e32 v21, v24, v21
	s_delay_alu instid0(VALU_DEP_2)
	v_or_b32_e32 v20, v23, v20
	s_and_not1_b32 exec_lo, exec_lo, s6
	s_cbranch_execnz .LBB1_74
; %bb.75:                               ;   in Loop: Header=BB1_31 Depth=1
	s_or_b32 exec_lo, exec_lo, s6
.LBB1_76:                               ;   in Loop: Header=BB1_31 Depth=1
	s_delay_alu instid0(SALU_CYCLE_1)
	s_or_b32 exec_lo, exec_lo, s5
	s_mov_b32 s1, 0
                                        ; implicit-def: $vgpr22
.LBB1_77:                               ;   in Loop: Header=BB1_31 Depth=1
	s_or_saveexec_b32 s0, s4
	v_mov_b32_e32 v24, s1
	s_xor_b32 exec_lo, exec_lo, s0
	s_cbranch_execz .LBB1_79
; %bb.78:                               ;   in Loop: Header=BB1_31 Depth=1
	scratch_load_b64 v[20:21], v8, off
	v_add_nc_u32_e32 v8, 8, v8
	s_waitcnt vmcnt(0)
	v_and_b32_e32 v23, 0xff, v21
	v_and_b32_e32 v24, 0xff00, v21
	;; [unrolled: 1-line block ×4, first 2 shown]
	v_or3_b32 v20, v20, 0, 0
	s_delay_alu instid0(VALU_DEP_4) | instskip(SKIP_1) | instid1(VALU_DEP_2)
	v_or_b32_e32 v23, v23, v24
	v_add_nc_u32_e32 v24, -8, v22
	v_or3_b32 v21, v23, v25, v21
.LBB1_79:                               ;   in Loop: Header=BB1_31 Depth=1
	s_or_b32 exec_lo, exec_lo, s0
	s_delay_alu instid0(SALU_CYCLE_1) | instskip(NEXT) | instid1(VALU_DEP_1)
	s_mov_b32 s0, exec_lo
	v_cmpx_gt_u32_e32 8, v24
	s_xor_b32 s4, exec_lo, s0
	s_cbranch_execz .LBB1_85
; %bb.80:                               ;   in Loop: Header=BB1_31 Depth=1
	v_mov_b32_e32 v22, 0
	v_mov_b32_e32 v23, 0
	s_mov_b32 s5, exec_lo
	v_cmpx_ne_u32_e32 0, v24
	s_cbranch_execz .LBB1_84
; %bb.81:                               ;   in Loop: Header=BB1_31 Depth=1
	v_mov_b32_e32 v22, 0
	v_mov_b32_e32 v23, 0
	s_mov_b64 s[0:1], 0
	s_mov_b32 s6, 0
	.p2align	6
.LBB1_82:                               ;   Parent Loop BB1_31 Depth=1
                                        ; =>  This Inner Loop Header: Depth=2
	scratch_load_u8 v25, v8, off
	v_mov_b32_e32 v26, s11
	v_add_nc_u32_e32 v24, -1, v24
	v_add_nc_u32_e32 v8, 1, v8
	s_delay_alu instid0(VALU_DEP_2) | instskip(SKIP_2) | instid1(VALU_DEP_1)
	v_cmp_eq_u32_e32 vcc_lo, 0, v24
	s_waitcnt vmcnt(0)
	v_and_b32_e32 v25, 0xffff, v25
	v_lshlrev_b64 v[25:26], s0, v[25:26]
	s_add_u32 s0, s0, 8
	s_addc_u32 s1, s1, 0
	s_or_b32 s6, vcc_lo, s6
	s_delay_alu instid0(VALU_DEP_1) | instskip(NEXT) | instid1(VALU_DEP_2)
	v_or_b32_e32 v23, v26, v23
	v_or_b32_e32 v22, v25, v22
	s_and_not1_b32 exec_lo, exec_lo, s6
	s_cbranch_execnz .LBB1_82
; %bb.83:                               ;   in Loop: Header=BB1_31 Depth=1
	s_or_b32 exec_lo, exec_lo, s6
.LBB1_84:                               ;   in Loop: Header=BB1_31 Depth=1
	s_delay_alu instid0(SALU_CYCLE_1)
	s_or_b32 exec_lo, exec_lo, s5
                                        ; implicit-def: $vgpr8
.LBB1_85:                               ;   in Loop: Header=BB1_31 Depth=1
	s_and_not1_saveexec_b32 s0, s4
	s_cbranch_execz .LBB1_87
; %bb.86:                               ;   in Loop: Header=BB1_31 Depth=1
	scratch_load_b64 v[22:23], v8, off
	s_waitcnt vmcnt(0)
	v_and_b32_e32 v8, 0xff, v23
	v_and_b32_e32 v24, 0xff00, v23
	v_and_b32_e32 v25, 0xff0000, v23
	v_and_b32_e32 v23, 0xff000000, v23
	v_or3_b32 v22, v22, 0, 0
	s_delay_alu instid0(VALU_DEP_4) | instskip(NEXT) | instid1(VALU_DEP_1)
	v_or_b32_e32 v8, v8, v24
	v_or3_b32 v23, v8, v25, v23
.LBB1_87:                               ;   in Loop: Header=BB1_31 Depth=1
	s_or_b32 exec_lo, exec_lo, s0
	v_readfirstlane_b32 s0, v35
	v_mov_b32_e32 v32, 0
	v_mov_b32_e32 v33, 0
	s_delay_alu instid0(VALU_DEP_3) | instskip(NEXT) | instid1(VALU_DEP_1)
	v_cmp_eq_u32_e64 s0, s0, v35
	s_and_saveexec_b32 s1, s0
	s_cbranch_execz .LBB1_93
; %bb.88:                               ;   in Loop: Header=BB1_31 Depth=1
	global_load_b64 v[26:27], v9, s[2:3] offset:24 glc
	s_waitcnt vmcnt(0)
	buffer_gl1_inv
	buffer_gl0_inv
	s_clause 0x1
	global_load_b64 v[24:25], v9, s[2:3] offset:40
	global_load_b64 v[32:33], v9, s[2:3]
	s_mov_b32 s4, exec_lo
	s_waitcnt vmcnt(1)
	v_and_b32_e32 v8, v25, v27
	v_and_b32_e32 v24, v24, v26
	s_delay_alu instid0(VALU_DEP_2) | instskip(NEXT) | instid1(VALU_DEP_2)
	v_mul_lo_u32 v8, v8, 24
	v_mul_hi_u32 v25, v24, 24
	v_mul_lo_u32 v24, v24, 24
	s_delay_alu instid0(VALU_DEP_2) | instskip(SKIP_1) | instid1(VALU_DEP_2)
	v_add_nc_u32_e32 v8, v25, v8
	s_waitcnt vmcnt(0)
	v_add_co_u32 v24, vcc_lo, v32, v24
	s_delay_alu instid0(VALU_DEP_2)
	v_add_co_ci_u32_e32 v25, vcc_lo, v33, v8, vcc_lo
	global_load_b64 v[24:25], v[24:25], off glc
	s_waitcnt vmcnt(0)
	global_atomic_cmpswap_b64 v[32:33], v9, v[24:27], s[2:3] offset:24 glc
	s_waitcnt vmcnt(0)
	buffer_gl1_inv
	buffer_gl0_inv
	v_cmpx_ne_u64_e64 v[32:33], v[26:27]
	s_cbranch_execz .LBB1_92
; %bb.89:                               ;   in Loop: Header=BB1_31 Depth=1
	s_mov_b32 s5, 0
	.p2align	6
.LBB1_90:                               ;   Parent Loop BB1_31 Depth=1
                                        ; =>  This Inner Loop Header: Depth=2
	s_sleep 1
	s_clause 0x1
	global_load_b64 v[24:25], v9, s[2:3] offset:40
	global_load_b64 v[38:39], v9, s[2:3]
	v_dual_mov_b32 v26, v32 :: v_dual_mov_b32 v27, v33
	s_waitcnt vmcnt(1)
	s_delay_alu instid0(VALU_DEP_1) | instskip(SKIP_1) | instid1(VALU_DEP_1)
	v_and_b32_e32 v8, v24, v26
	s_waitcnt vmcnt(0)
	v_mad_u64_u32 v[32:33], null, v8, 24, v[38:39]
	v_and_b32_e32 v38, v25, v27
	s_delay_alu instid0(VALU_DEP_2) | instskip(NEXT) | instid1(VALU_DEP_1)
	v_mov_b32_e32 v8, v33
	v_mad_u64_u32 v[24:25], null, v38, 24, v[8:9]
	s_delay_alu instid0(VALU_DEP_1)
	v_mov_b32_e32 v33, v24
	global_load_b64 v[24:25], v[32:33], off glc
	s_waitcnt vmcnt(0)
	global_atomic_cmpswap_b64 v[32:33], v9, v[24:27], s[2:3] offset:24 glc
	s_waitcnt vmcnt(0)
	buffer_gl1_inv
	buffer_gl0_inv
	v_cmp_eq_u64_e32 vcc_lo, v[32:33], v[26:27]
	s_or_b32 s5, vcc_lo, s5
	s_delay_alu instid0(SALU_CYCLE_1)
	s_and_not1_b32 exec_lo, exec_lo, s5
	s_cbranch_execnz .LBB1_90
; %bb.91:                               ;   in Loop: Header=BB1_31 Depth=1
	s_or_b32 exec_lo, exec_lo, s5
.LBB1_92:                               ;   in Loop: Header=BB1_31 Depth=1
	s_delay_alu instid0(SALU_CYCLE_1)
	s_or_b32 exec_lo, exec_lo, s4
.LBB1_93:                               ;   in Loop: Header=BB1_31 Depth=1
	s_delay_alu instid0(SALU_CYCLE_1)
	s_or_b32 exec_lo, exec_lo, s1
	s_clause 0x1
	global_load_b64 v[38:39], v9, s[2:3] offset:40
	global_load_b128 v[24:27], v9, s[2:3]
	v_readfirstlane_b32 s4, v32
	v_readfirstlane_b32 s5, v33
	s_mov_b32 s1, exec_lo
	s_waitcnt vmcnt(1)
	v_readfirstlane_b32 s6, v38
	v_readfirstlane_b32 s7, v39
	s_delay_alu instid0(VALU_DEP_1) | instskip(NEXT) | instid1(SALU_CYCLE_1)
	s_and_b64 s[6:7], s[4:5], s[6:7]
	s_mul_i32 s12, s7, 24
	s_mul_hi_u32 s13, s6, 24
	s_mul_i32 s14, s6, 24
	s_add_i32 s13, s13, s12
	s_waitcnt vmcnt(0)
	v_add_co_u32 v32, vcc_lo, v24, s14
	v_add_co_ci_u32_e32 v33, vcc_lo, s13, v25, vcc_lo
	s_and_saveexec_b32 s12, s0
	s_cbranch_execz .LBB1_95
; %bb.94:                               ;   in Loop: Header=BB1_31 Depth=1
	v_mov_b32_e32 v8, s1
	global_store_b128 v[32:33], v[8:11], off offset:8
.LBB1_95:                               ;   in Loop: Header=BB1_31 Depth=1
	s_or_b32 exec_lo, exec_lo, s12
	v_cmp_lt_u64_e32 vcc_lo, 56, v[28:29]
	v_or_b32_e32 v8, 0, v1
	v_or_b32_e32 v38, v0, v36
	v_lshl_add_u32 v39, v30, 2, 28
	s_lshl_b64 s[6:7], s[6:7], 12
	s_delay_alu instid0(SALU_CYCLE_1) | instskip(NEXT) | instid1(VALU_DEP_1)
	v_add_co_u32 v26, s1, v26, s6
	v_add_co_ci_u32_e64 v27, s1, s7, v27, s1
	v_dual_cndmask_b32 v1, v8, v1 :: v_dual_cndmask_b32 v0, v38, v0
	v_and_b32_e32 v8, 0x1e0, v39
	s_delay_alu instid0(VALU_DEP_4) | instskip(NEXT) | instid1(VALU_DEP_4)
	v_readfirstlane_b32 s6, v26
	v_readfirstlane_b32 s7, v27
	s_delay_alu instid0(VALU_DEP_3)
	v_and_or_b32 v0, 0xffffff1f, v0, v8
	s_clause 0x3
	global_store_b128 v34, v[0:3], s[6:7]
	global_store_b128 v34, v[12:15], s[6:7] offset:16
	global_store_b128 v34, v[16:19], s[6:7] offset:32
	;; [unrolled: 1-line block ×3, first 2 shown]
	s_and_saveexec_b32 s1, s0
	s_cbranch_execz .LBB1_103
; %bb.96:                               ;   in Loop: Header=BB1_31 Depth=1
	s_clause 0x1
	global_load_b64 v[16:17], v9, s[2:3] offset:32 glc
	global_load_b64 v[0:1], v9, s[2:3] offset:40
	v_dual_mov_b32 v14, s4 :: v_dual_mov_b32 v15, s5
	s_waitcnt vmcnt(0)
	v_readfirstlane_b32 s6, v0
	v_readfirstlane_b32 s7, v1
	s_delay_alu instid0(VALU_DEP_1) | instskip(NEXT) | instid1(SALU_CYCLE_1)
	s_and_b64 s[6:7], s[6:7], s[4:5]
	s_mul_i32 s7, s7, 24
	s_mul_hi_u32 s12, s6, 24
	s_mul_i32 s6, s6, 24
	s_add_i32 s12, s12, s7
	v_add_co_u32 v12, vcc_lo, v24, s6
	v_add_co_ci_u32_e32 v13, vcc_lo, s12, v25, vcc_lo
	s_mov_b32 s6, exec_lo
	global_store_b64 v[12:13], v[16:17], off
	s_waitcnt_vscnt null, 0x0
	global_atomic_cmpswap_b64 v[2:3], v9, v[14:17], s[2:3] offset:32 glc
	s_waitcnt vmcnt(0)
	v_cmpx_ne_u64_e64 v[2:3], v[16:17]
	s_cbranch_execz .LBB1_99
; %bb.97:                               ;   in Loop: Header=BB1_31 Depth=1
	s_mov_b32 s7, 0
.LBB1_98:                               ;   Parent Loop BB1_31 Depth=1
                                        ; =>  This Inner Loop Header: Depth=2
	v_dual_mov_b32 v0, s4 :: v_dual_mov_b32 v1, s5
	s_sleep 1
	global_store_b64 v[12:13], v[2:3], off
	s_waitcnt_vscnt null, 0x0
	global_atomic_cmpswap_b64 v[0:1], v9, v[0:3], s[2:3] offset:32 glc
	s_waitcnt vmcnt(0)
	v_cmp_eq_u64_e32 vcc_lo, v[0:1], v[2:3]
	v_dual_mov_b32 v3, v1 :: v_dual_mov_b32 v2, v0
	s_or_b32 s7, vcc_lo, s7
	s_delay_alu instid0(SALU_CYCLE_1)
	s_and_not1_b32 exec_lo, exec_lo, s7
	s_cbranch_execnz .LBB1_98
.LBB1_99:                               ;   in Loop: Header=BB1_31 Depth=1
	s_or_b32 exec_lo, exec_lo, s6
	global_load_b64 v[0:1], v9, s[2:3] offset:16
	s_mov_b32 s7, exec_lo
	s_mov_b32 s6, exec_lo
	v_mbcnt_lo_u32_b32 v2, s7, 0
	s_delay_alu instid0(VALU_DEP_1)
	v_cmpx_eq_u32_e32 0, v2
	s_cbranch_execz .LBB1_101
; %bb.100:                              ;   in Loop: Header=BB1_31 Depth=1
	s_bcnt1_i32_b32 s7, s7
	s_delay_alu instid0(SALU_CYCLE_1)
	v_mov_b32_e32 v8, s7
	s_waitcnt vmcnt(0)
	global_atomic_add_u64 v[0:1], v[8:9], off offset:8
.LBB1_101:                              ;   in Loop: Header=BB1_31 Depth=1
	s_or_b32 exec_lo, exec_lo, s6
	s_waitcnt vmcnt(0)
	global_load_b64 v[2:3], v[0:1], off offset:16
	s_waitcnt vmcnt(0)
	v_cmp_eq_u64_e32 vcc_lo, 0, v[2:3]
	s_cbranch_vccnz .LBB1_103
; %bb.102:                              ;   in Loop: Header=BB1_31 Depth=1
	global_load_b32 v8, v[0:1], off offset:24
	s_waitcnt vmcnt(0)
	v_and_b32_e32 v0, 0xffffff, v8
	s_waitcnt_vscnt null, 0x0
	global_store_b64 v[2:3], v[8:9], off
	v_readfirstlane_b32 m0, v0
	s_sendmsg sendmsg(MSG_INTERRUPT)
.LBB1_103:                              ;   in Loop: Header=BB1_31 Depth=1
	s_or_b32 exec_lo, exec_lo, s1
	v_add_co_u32 v0, vcc_lo, v26, v34
	v_add_co_ci_u32_e32 v1, vcc_lo, 0, v27, vcc_lo
	s_branch .LBB1_107
	.p2align	6
.LBB1_104:                              ;   in Loop: Header=BB1_107 Depth=2
	s_or_b32 exec_lo, exec_lo, s1
	s_delay_alu instid0(VALU_DEP_1) | instskip(NEXT) | instid1(VALU_DEP_1)
	v_readfirstlane_b32 s1, v2
	s_cmp_eq_u32 s1, 0
	s_cbranch_scc1 .LBB1_106
; %bb.105:                              ;   in Loop: Header=BB1_107 Depth=2
	s_sleep 1
	s_cbranch_execnz .LBB1_107
	s_branch .LBB1_109
	.p2align	6
.LBB1_106:                              ;   in Loop: Header=BB1_31 Depth=1
	s_branch .LBB1_109
.LBB1_107:                              ;   Parent Loop BB1_31 Depth=1
                                        ; =>  This Inner Loop Header: Depth=2
	v_mov_b32_e32 v2, 1
	s_and_saveexec_b32 s1, s0
	s_cbranch_execz .LBB1_104
; %bb.108:                              ;   in Loop: Header=BB1_107 Depth=2
	global_load_b32 v2, v[32:33], off offset:20 glc
	s_waitcnt vmcnt(0)
	buffer_gl1_inv
	buffer_gl0_inv
	v_and_b32_e32 v2, 1, v2
	s_branch .LBB1_104
.LBB1_109:                              ;   in Loop: Header=BB1_31 Depth=1
	global_load_b128 v[0:3], v[0:1], off
	s_and_saveexec_b32 s1, s0
	s_cbranch_execz .LBB1_30
; %bb.110:                              ;   in Loop: Header=BB1_31 Depth=1
	s_clause 0x2
	global_load_b64 v[2:3], v9, s[2:3] offset:40
	global_load_b64 v[16:17], v9, s[2:3] offset:24 glc
	global_load_b64 v[14:15], v9, s[2:3]
	s_waitcnt vmcnt(2)
	v_add_co_u32 v8, vcc_lo, v2, 1
	v_add_co_ci_u32_e32 v18, vcc_lo, 0, v3, vcc_lo
	s_delay_alu instid0(VALU_DEP_2) | instskip(NEXT) | instid1(VALU_DEP_2)
	v_add_co_u32 v12, vcc_lo, v8, s4
	v_add_co_ci_u32_e32 v13, vcc_lo, s5, v18, vcc_lo
	s_delay_alu instid0(VALU_DEP_1) | instskip(SKIP_1) | instid1(VALU_DEP_1)
	v_cmp_eq_u64_e32 vcc_lo, 0, v[12:13]
	v_dual_cndmask_b32 v13, v13, v18 :: v_dual_cndmask_b32 v12, v12, v8
	v_and_b32_e32 v3, v13, v3
	s_delay_alu instid0(VALU_DEP_2) | instskip(NEXT) | instid1(VALU_DEP_1)
	v_and_b32_e32 v2, v12, v2
	v_mul_hi_u32 v8, v2, 24
	v_mul_lo_u32 v2, v2, 24
	s_waitcnt vmcnt(0)
	s_delay_alu instid0(VALU_DEP_1) | instskip(SKIP_2) | instid1(VALU_DEP_1)
	v_add_co_u32 v2, vcc_lo, v14, v2
	v_mov_b32_e32 v14, v16
	v_mul_lo_u32 v3, v3, 24
	v_add_nc_u32_e32 v3, v8, v3
	s_delay_alu instid0(VALU_DEP_1)
	v_add_co_ci_u32_e32 v3, vcc_lo, v15, v3, vcc_lo
	v_mov_b32_e32 v15, v17
	global_store_b64 v[2:3], v[16:17], off
	s_waitcnt_vscnt null, 0x0
	global_atomic_cmpswap_b64 v[14:15], v9, v[12:15], s[2:3] offset:24 glc
	s_waitcnt vmcnt(0)
	v_cmp_ne_u64_e32 vcc_lo, v[14:15], v[16:17]
	s_and_b32 exec_lo, exec_lo, vcc_lo
	s_cbranch_execz .LBB1_30
; %bb.111:                              ;   in Loop: Header=BB1_31 Depth=1
	s_mov_b32 s0, 0
.LBB1_112:                              ;   Parent Loop BB1_31 Depth=1
                                        ; =>  This Inner Loop Header: Depth=2
	s_sleep 1
	global_store_b64 v[2:3], v[14:15], off
	s_waitcnt_vscnt null, 0x0
	global_atomic_cmpswap_b64 v[16:17], v9, v[12:15], s[2:3] offset:24 glc
	s_waitcnt vmcnt(0)
	v_cmp_eq_u64_e32 vcc_lo, v[16:17], v[14:15]
	v_dual_mov_b32 v14, v16 :: v_dual_mov_b32 v15, v17
	s_or_b32 s0, vcc_lo, s0
	s_delay_alu instid0(SALU_CYCLE_1)
	s_and_not1_b32 exec_lo, exec_lo, s0
	s_cbranch_execnz .LBB1_112
	s_branch .LBB1_30
.LBB1_113:
                                        ; implicit-def: $vgpr0_vgpr1
	s_cbranch_execnz .LBB1_115
	s_branch .LBB1_142
.LBB1_114:
	s_or_b32 exec_lo, exec_lo, s10
	s_branch .LBB1_142
.LBB1_115:
	v_readfirstlane_b32 s0, v35
	v_mov_b32_e32 v9, 0
	v_mov_b32_e32 v10, 0
	s_delay_alu instid0(VALU_DEP_3) | instskip(NEXT) | instid1(VALU_DEP_1)
	v_cmp_eq_u32_e64 s0, s0, v35
	s_and_saveexec_b32 s1, s0
	s_cbranch_execz .LBB1_121
; %bb.116:
	s_waitcnt vmcnt(0)
	v_mov_b32_e32 v0, 0
	s_mov_b32 s4, exec_lo
	global_load_b64 v[11:12], v0, s[2:3] offset:24 glc
	s_waitcnt vmcnt(0)
	buffer_gl1_inv
	buffer_gl0_inv
	s_clause 0x1
	global_load_b64 v[1:2], v0, s[2:3] offset:40
	global_load_b64 v[8:9], v0, s[2:3]
	s_waitcnt vmcnt(1)
	v_and_b32_e32 v1, v1, v11
	v_and_b32_e32 v2, v2, v12
	s_delay_alu instid0(VALU_DEP_2) | instskip(NEXT) | instid1(VALU_DEP_2)
	v_mul_hi_u32 v3, v1, 24
	v_mul_lo_u32 v2, v2, 24
	v_mul_lo_u32 v1, v1, 24
	s_delay_alu instid0(VALU_DEP_2) | instskip(SKIP_1) | instid1(VALU_DEP_2)
	v_add_nc_u32_e32 v2, v3, v2
	s_waitcnt vmcnt(0)
	v_add_co_u32 v1, vcc_lo, v8, v1
	s_delay_alu instid0(VALU_DEP_2)
	v_add_co_ci_u32_e32 v2, vcc_lo, v9, v2, vcc_lo
	global_load_b64 v[9:10], v[1:2], off glc
	s_waitcnt vmcnt(0)
	global_atomic_cmpswap_b64 v[9:10], v0, v[9:12], s[2:3] offset:24 glc
	s_waitcnt vmcnt(0)
	buffer_gl1_inv
	buffer_gl0_inv
	v_cmpx_ne_u64_e64 v[9:10], v[11:12]
	s_cbranch_execz .LBB1_120
; %bb.117:
	s_mov_b32 s5, 0
	.p2align	6
.LBB1_118:                              ; =>This Inner Loop Header: Depth=1
	s_sleep 1
	s_clause 0x1
	global_load_b64 v[1:2], v0, s[2:3] offset:40
	global_load_b64 v[13:14], v0, s[2:3]
	v_dual_mov_b32 v12, v10 :: v_dual_mov_b32 v11, v9
	s_waitcnt vmcnt(1)
	s_delay_alu instid0(VALU_DEP_1) | instskip(SKIP_1) | instid1(VALU_DEP_1)
	v_and_b32_e32 v1, v1, v11
	s_waitcnt vmcnt(0)
	v_mad_u64_u32 v[8:9], null, v1, 24, v[13:14]
	s_delay_alu instid0(VALU_DEP_1) | instskip(NEXT) | instid1(VALU_DEP_1)
	v_dual_mov_b32 v1, v9 :: v_dual_and_b32 v10, v2, v12
	v_mad_u64_u32 v[2:3], null, v10, 24, v[1:2]
	s_delay_alu instid0(VALU_DEP_1)
	v_mov_b32_e32 v9, v2
	global_load_b64 v[9:10], v[8:9], off glc
	s_waitcnt vmcnt(0)
	global_atomic_cmpswap_b64 v[9:10], v0, v[9:12], s[2:3] offset:24 glc
	s_waitcnt vmcnt(0)
	buffer_gl1_inv
	buffer_gl0_inv
	v_cmp_eq_u64_e32 vcc_lo, v[9:10], v[11:12]
	s_or_b32 s5, vcc_lo, s5
	s_delay_alu instid0(SALU_CYCLE_1)
	s_and_not1_b32 exec_lo, exec_lo, s5
	s_cbranch_execnz .LBB1_118
; %bb.119:
	s_or_b32 exec_lo, exec_lo, s5
.LBB1_120:
	s_delay_alu instid0(SALU_CYCLE_1)
	s_or_b32 exec_lo, exec_lo, s4
.LBB1_121:
	s_delay_alu instid0(SALU_CYCLE_1)
	s_or_b32 exec_lo, exec_lo, s1
	v_mov_b32_e32 v8, 0
	v_readfirstlane_b32 s4, v9
	v_readfirstlane_b32 s5, v10
	s_mov_b32 s1, exec_lo
	s_clause 0x1
	global_load_b64 v[11:12], v8, s[2:3] offset:40
	global_load_b128 v[0:3], v8, s[2:3]
	s_waitcnt vmcnt(1)
	v_readfirstlane_b32 s6, v11
	v_readfirstlane_b32 s7, v12
	s_delay_alu instid0(VALU_DEP_1) | instskip(NEXT) | instid1(SALU_CYCLE_1)
	s_and_b64 s[6:7], s[4:5], s[6:7]
	s_mul_i32 s10, s7, 24
	s_mul_hi_u32 s11, s6, 24
	s_mul_i32 s12, s6, 24
	s_add_i32 s11, s11, s10
	s_waitcnt vmcnt(0)
	v_add_co_u32 v10, vcc_lo, v0, s12
	v_add_co_ci_u32_e32 v11, vcc_lo, s11, v1, vcc_lo
	s_and_saveexec_b32 s10, s0
	s_cbranch_execz .LBB1_123
; %bb.122:
	v_dual_mov_b32 v12, s1 :: v_dual_mov_b32 v13, v8
	v_dual_mov_b32 v14, 2 :: v_dual_mov_b32 v15, 1
	global_store_b128 v[10:11], v[12:15], off offset:8
.LBB1_123:
	s_or_b32 exec_lo, exec_lo, s10
	s_lshl_b64 s[6:7], s[6:7], 12
	s_mov_b32 s12, 0
	v_add_co_u32 v2, vcc_lo, v2, s6
	v_add_co_ci_u32_e32 v3, vcc_lo, s7, v3, vcc_lo
	s_mov_b32 s15, s12
	s_delay_alu instid0(VALU_DEP_2)
	v_add_co_u32 v12, vcc_lo, v2, v34
	s_mov_b32 s13, s12
	s_mov_b32 s14, s12
	v_and_or_b32 v6, 0xffffff1f, v6, 32
	v_mov_b32_e32 v9, v8
	v_readfirstlane_b32 s6, v2
	v_readfirstlane_b32 s7, v3
	v_dual_mov_b32 v17, s15 :: v_dual_mov_b32 v14, s12
	v_add_co_ci_u32_e32 v13, vcc_lo, 0, v3, vcc_lo
	v_dual_mov_b32 v16, s14 :: v_dual_mov_b32 v15, s13
	s_clause 0x3
	global_store_b128 v34, v[6:9], s[6:7]
	global_store_b128 v34, v[14:17], s[6:7] offset:16
	global_store_b128 v34, v[14:17], s[6:7] offset:32
	;; [unrolled: 1-line block ×3, first 2 shown]
	s_and_saveexec_b32 s1, s0
	s_cbranch_execz .LBB1_131
; %bb.124:
	v_dual_mov_b32 v8, 0 :: v_dual_mov_b32 v15, s5
	v_mov_b32_e32 v14, s4
	s_clause 0x1
	global_load_b64 v[16:17], v8, s[2:3] offset:32 glc
	global_load_b64 v[2:3], v8, s[2:3] offset:40
	s_waitcnt vmcnt(0)
	v_readfirstlane_b32 s6, v2
	v_readfirstlane_b32 s7, v3
	s_delay_alu instid0(VALU_DEP_1) | instskip(NEXT) | instid1(SALU_CYCLE_1)
	s_and_b64 s[6:7], s[6:7], s[4:5]
	s_mul_i32 s7, s7, 24
	s_mul_hi_u32 s10, s6, 24
	s_mul_i32 s6, s6, 24
	s_add_i32 s10, s10, s7
	v_add_co_u32 v6, vcc_lo, v0, s6
	v_add_co_ci_u32_e32 v7, vcc_lo, s10, v1, vcc_lo
	s_mov_b32 s6, exec_lo
	global_store_b64 v[6:7], v[16:17], off
	s_waitcnt_vscnt null, 0x0
	global_atomic_cmpswap_b64 v[2:3], v8, v[14:17], s[2:3] offset:32 glc
	s_waitcnt vmcnt(0)
	v_cmpx_ne_u64_e64 v[2:3], v[16:17]
	s_cbranch_execz .LBB1_127
; %bb.125:
	s_mov_b32 s7, 0
.LBB1_126:                              ; =>This Inner Loop Header: Depth=1
	v_dual_mov_b32 v0, s4 :: v_dual_mov_b32 v1, s5
	s_sleep 1
	global_store_b64 v[6:7], v[2:3], off
	s_waitcnt_vscnt null, 0x0
	global_atomic_cmpswap_b64 v[0:1], v8, v[0:3], s[2:3] offset:32 glc
	s_waitcnt vmcnt(0)
	v_cmp_eq_u64_e32 vcc_lo, v[0:1], v[2:3]
	v_dual_mov_b32 v3, v1 :: v_dual_mov_b32 v2, v0
	s_or_b32 s7, vcc_lo, s7
	s_delay_alu instid0(SALU_CYCLE_1)
	s_and_not1_b32 exec_lo, exec_lo, s7
	s_cbranch_execnz .LBB1_126
.LBB1_127:
	s_or_b32 exec_lo, exec_lo, s6
	v_mov_b32_e32 v3, 0
	s_mov_b32 s7, exec_lo
	s_mov_b32 s6, exec_lo
	v_mbcnt_lo_u32_b32 v2, s7, 0
	global_load_b64 v[0:1], v3, s[2:3] offset:16
	v_cmpx_eq_u32_e32 0, v2
	s_cbranch_execz .LBB1_129
; %bb.128:
	s_bcnt1_i32_b32 s7, s7
	s_delay_alu instid0(SALU_CYCLE_1)
	v_mov_b32_e32 v2, s7
	s_waitcnt vmcnt(0)
	global_atomic_add_u64 v[0:1], v[2:3], off offset:8
.LBB1_129:
	s_or_b32 exec_lo, exec_lo, s6
	s_waitcnt vmcnt(0)
	global_load_b64 v[2:3], v[0:1], off offset:16
	s_waitcnt vmcnt(0)
	v_cmp_eq_u64_e32 vcc_lo, 0, v[2:3]
	s_cbranch_vccnz .LBB1_131
; %bb.130:
	global_load_b32 v0, v[0:1], off offset:24
	s_waitcnt vmcnt(0)
	v_dual_mov_b32 v1, 0 :: v_dual_and_b32 v6, 0xffffff, v0
	s_waitcnt_vscnt null, 0x0
	global_store_b64 v[2:3], v[0:1], off
	v_readfirstlane_b32 m0, v6
	s_sendmsg sendmsg(MSG_INTERRUPT)
.LBB1_131:
	s_or_b32 exec_lo, exec_lo, s1
	s_branch .LBB1_135
	.p2align	6
.LBB1_132:                              ;   in Loop: Header=BB1_135 Depth=1
	s_or_b32 exec_lo, exec_lo, s1
	s_delay_alu instid0(VALU_DEP_1) | instskip(NEXT) | instid1(VALU_DEP_1)
	v_readfirstlane_b32 s1, v0
	s_cmp_eq_u32 s1, 0
	s_cbranch_scc1 .LBB1_134
; %bb.133:                              ;   in Loop: Header=BB1_135 Depth=1
	s_sleep 1
	s_cbranch_execnz .LBB1_135
	s_branch .LBB1_137
	.p2align	6
.LBB1_134:
	s_branch .LBB1_137
.LBB1_135:                              ; =>This Inner Loop Header: Depth=1
	v_mov_b32_e32 v0, 1
	s_and_saveexec_b32 s1, s0
	s_cbranch_execz .LBB1_132
; %bb.136:                              ;   in Loop: Header=BB1_135 Depth=1
	global_load_b32 v0, v[10:11], off offset:20 glc
	s_waitcnt vmcnt(0)
	buffer_gl1_inv
	buffer_gl0_inv
	v_and_b32_e32 v0, 1, v0
	s_branch .LBB1_132
.LBB1_137:
	global_load_b64 v[0:1], v[12:13], off
	s_and_saveexec_b32 s1, s0
	s_cbranch_execz .LBB1_141
; %bb.138:
	v_mov_b32_e32 v10, 0
	s_clause 0x2
	global_load_b64 v[2:3], v10, s[2:3] offset:40
	global_load_b64 v[11:12], v10, s[2:3] offset:24 glc
	global_load_b64 v[8:9], v10, s[2:3]
	s_waitcnt vmcnt(2)
	v_add_co_u32 v13, vcc_lo, v2, 1
	v_add_co_ci_u32_e32 v14, vcc_lo, 0, v3, vcc_lo
	s_delay_alu instid0(VALU_DEP_2) | instskip(NEXT) | instid1(VALU_DEP_2)
	v_add_co_u32 v6, vcc_lo, v13, s4
	v_add_co_ci_u32_e32 v7, vcc_lo, s5, v14, vcc_lo
	s_delay_alu instid0(VALU_DEP_1) | instskip(SKIP_1) | instid1(VALU_DEP_1)
	v_cmp_eq_u64_e32 vcc_lo, 0, v[6:7]
	v_dual_cndmask_b32 v7, v7, v14 :: v_dual_cndmask_b32 v6, v6, v13
	v_and_b32_e32 v3, v7, v3
	s_delay_alu instid0(VALU_DEP_2) | instskip(NEXT) | instid1(VALU_DEP_2)
	v_and_b32_e32 v2, v6, v2
	v_mul_lo_u32 v3, v3, 24
	s_delay_alu instid0(VALU_DEP_2) | instskip(SKIP_1) | instid1(VALU_DEP_2)
	v_mul_hi_u32 v13, v2, 24
	v_mul_lo_u32 v2, v2, 24
	v_add_nc_u32_e32 v3, v13, v3
	s_waitcnt vmcnt(0)
	s_delay_alu instid0(VALU_DEP_2) | instskip(SKIP_1) | instid1(VALU_DEP_3)
	v_add_co_u32 v2, vcc_lo, v8, v2
	v_mov_b32_e32 v8, v11
	v_add_co_ci_u32_e32 v3, vcc_lo, v9, v3, vcc_lo
	v_mov_b32_e32 v9, v12
	global_store_b64 v[2:3], v[11:12], off
	s_waitcnt_vscnt null, 0x0
	global_atomic_cmpswap_b64 v[8:9], v10, v[6:9], s[2:3] offset:24 glc
	s_waitcnt vmcnt(0)
	v_cmp_ne_u64_e32 vcc_lo, v[8:9], v[11:12]
	s_and_b32 exec_lo, exec_lo, vcc_lo
	s_cbranch_execz .LBB1_141
; %bb.139:
	s_mov_b32 s0, 0
.LBB1_140:                              ; =>This Inner Loop Header: Depth=1
	s_sleep 1
	global_store_b64 v[2:3], v[8:9], off
	s_waitcnt_vscnt null, 0x0
	global_atomic_cmpswap_b64 v[11:12], v10, v[6:9], s[2:3] offset:24 glc
	s_waitcnt vmcnt(0)
	v_cmp_eq_u64_e32 vcc_lo, v[11:12], v[8:9]
	v_dual_mov_b32 v8, v11 :: v_dual_mov_b32 v9, v12
	s_or_b32 s0, vcc_lo, s0
	s_delay_alu instid0(SALU_CYCLE_1)
	s_and_not1_b32 exec_lo, exec_lo, s0
	s_cbranch_execnz .LBB1_140
.LBB1_141:
	s_or_b32 exec_lo, exec_lo, s1
.LBB1_142:
	s_getpc_b64 s[4:5]
	s_add_u32 s4, s4, .str.2@rel32@lo+4
	s_addc_u32 s5, s5, .str.2@rel32@hi+12
	s_delay_alu instid0(SALU_CYCLE_1)
	s_cmp_lg_u64 s[4:5], 0
	s_cbranch_scc0 .LBB1_220
; %bb.143:
	s_getpc_b64 s[0:1]
	s_add_u32 s0, s0, .str.2@rel32@lo+80
	s_addc_u32 s1, s1, .str.2@rel32@hi+88
	s_waitcnt vmcnt(0)
	v_dual_mov_b32 v10, 0 :: v_dual_and_b32 v33, 2, v0
	v_dual_mov_b32 v7, v1 :: v_dual_and_b32 v6, -3, v0
	v_dual_mov_b32 v11, 2 :: v_dual_mov_b32 v12, 1
	s_sub_i32 s6, s0, s4
	s_delay_alu instid0(SALU_CYCLE_1)
	s_ashr_i32 s7, s6, 31
	s_branch .LBB1_145
.LBB1_144:                              ;   in Loop: Header=BB1_145 Depth=1
	s_or_b32 exec_lo, exec_lo, s1
	s_sub_u32 s6, s6, s10
	s_subb_u32 s7, s7, s11
	s_add_u32 s4, s4, s10
	s_addc_u32 s5, s5, s11
	s_cmp_lg_u64 s[6:7], 0
	s_cbranch_scc0 .LBB1_221
.LBB1_145:                              ; =>This Loop Header: Depth=1
                                        ;     Child Loop BB1_154 Depth 2
                                        ;     Child Loop BB1_150 Depth 2
                                        ;     Child Loop BB1_162 Depth 2
                                        ;     Child Loop BB1_169 Depth 2
                                        ;     Child Loop BB1_176 Depth 2
                                        ;     Child Loop BB1_183 Depth 2
                                        ;     Child Loop BB1_190 Depth 2
                                        ;     Child Loop BB1_197 Depth 2
                                        ;     Child Loop BB1_205 Depth 2
                                        ;     Child Loop BB1_214 Depth 2
                                        ;     Child Loop BB1_219 Depth 2
	v_cmp_lt_u64_e64 s0, s[6:7], 56
	v_cmp_gt_u64_e64 s1, s[6:7], 7
                                        ; implicit-def: $vgpr15_vgpr16
                                        ; implicit-def: $sgpr16
	s_delay_alu instid0(VALU_DEP_2) | instskip(SKIP_2) | instid1(VALU_DEP_1)
	s_and_b32 s0, s0, exec_lo
	s_cselect_b32 s11, s7, 0
	s_cselect_b32 s10, s6, 56
	s_and_b32 vcc_lo, exec_lo, s1
	s_mov_b32 s0, -1
	s_cbranch_vccz .LBB1_152
; %bb.146:                              ;   in Loop: Header=BB1_145 Depth=1
	s_and_not1_b32 vcc_lo, exec_lo, s0
	s_mov_b64 s[0:1], s[4:5]
	s_cbranch_vccz .LBB1_156
.LBB1_147:                              ;   in Loop: Header=BB1_145 Depth=1
	s_cmp_gt_u32 s16, 7
	s_cbranch_scc1 .LBB1_157
.LBB1_148:                              ;   in Loop: Header=BB1_145 Depth=1
	v_mov_b32_e32 v17, 0
	v_mov_b32_e32 v18, 0
	s_cmp_eq_u32 s16, 0
	s_cbranch_scc1 .LBB1_151
; %bb.149:                              ;   in Loop: Header=BB1_145 Depth=1
	s_mov_b64 s[12:13], 0
	s_mov_b64 s[14:15], 0
.LBB1_150:                              ;   Parent Loop BB1_145 Depth=1
                                        ; =>  This Inner Loop Header: Depth=2
	s_delay_alu instid0(SALU_CYCLE_1)
	s_add_u32 s18, s0, s14
	s_addc_u32 s19, s1, s15
	s_add_u32 s14, s14, 1
	global_load_u8 v2, v10, s[18:19]
	s_addc_u32 s15, s15, 0
	s_waitcnt vmcnt(0)
	v_and_b32_e32 v9, 0xffff, v2
	s_delay_alu instid0(VALU_DEP_1) | instskip(SKIP_3) | instid1(VALU_DEP_1)
	v_lshlrev_b64 v[2:3], s12, v[9:10]
	s_add_u32 s12, s12, 8
	s_addc_u32 s13, s13, 0
	s_cmp_lg_u32 s16, s14
	v_or_b32_e32 v17, v2, v17
	s_delay_alu instid0(VALU_DEP_2)
	v_or_b32_e32 v18, v3, v18
	s_cbranch_scc1 .LBB1_150
.LBB1_151:                              ;   in Loop: Header=BB1_145 Depth=1
	s_mov_b32 s17, 0
	s_cbranch_execz .LBB1_158
	s_branch .LBB1_159
.LBB1_152:                              ;   in Loop: Header=BB1_145 Depth=1
	v_mov_b32_e32 v15, 0
	v_mov_b32_e32 v16, 0
	s_cmp_eq_u64 s[6:7], 0
	s_mov_b64 s[0:1], 0
	s_cbranch_scc1 .LBB1_155
; %bb.153:                              ;   in Loop: Header=BB1_145 Depth=1
	v_mov_b32_e32 v15, 0
	v_mov_b32_e32 v16, 0
	s_lshl_b64 s[12:13], s[10:11], 3
	s_mov_b64 s[14:15], s[4:5]
.LBB1_154:                              ;   Parent Loop BB1_145 Depth=1
                                        ; =>  This Inner Loop Header: Depth=2
	global_load_u8 v2, v10, s[14:15]
	s_waitcnt vmcnt(0)
	v_and_b32_e32 v9, 0xffff, v2
	s_delay_alu instid0(VALU_DEP_1)
	v_lshlrev_b64 v[2:3], s0, v[9:10]
	s_add_u32 s0, s0, 8
	s_addc_u32 s1, s1, 0
	s_add_u32 s14, s14, 1
	s_addc_u32 s15, s15, 0
	s_cmp_lg_u32 s12, s0
	v_or_b32_e32 v15, v2, v15
	v_or_b32_e32 v16, v3, v16
	s_cbranch_scc1 .LBB1_154
.LBB1_155:                              ;   in Loop: Header=BB1_145 Depth=1
	s_mov_b32 s16, 0
	s_mov_b64 s[0:1], s[4:5]
	s_cbranch_execnz .LBB1_147
.LBB1_156:                              ;   in Loop: Header=BB1_145 Depth=1
	global_load_b64 v[15:16], v10, s[4:5]
	s_add_i32 s16, s10, -8
	s_add_u32 s0, s4, 8
	s_addc_u32 s1, s5, 0
	s_cmp_gt_u32 s16, 7
	s_cbranch_scc0 .LBB1_148
.LBB1_157:                              ;   in Loop: Header=BB1_145 Depth=1
                                        ; implicit-def: $vgpr17_vgpr18
                                        ; implicit-def: $sgpr17
.LBB1_158:                              ;   in Loop: Header=BB1_145 Depth=1
	global_load_b64 v[17:18], v10, s[0:1]
	s_add_i32 s17, s16, -8
	s_add_u32 s0, s0, 8
	s_addc_u32 s1, s1, 0
.LBB1_159:                              ;   in Loop: Header=BB1_145 Depth=1
	s_cmp_gt_u32 s17, 7
	s_cbranch_scc1 .LBB1_164
; %bb.160:                              ;   in Loop: Header=BB1_145 Depth=1
	v_mov_b32_e32 v19, 0
	v_mov_b32_e32 v20, 0
	s_cmp_eq_u32 s17, 0
	s_cbranch_scc1 .LBB1_163
; %bb.161:                              ;   in Loop: Header=BB1_145 Depth=1
	s_mov_b64 s[12:13], 0
	s_mov_b64 s[14:15], 0
.LBB1_162:                              ;   Parent Loop BB1_145 Depth=1
                                        ; =>  This Inner Loop Header: Depth=2
	s_delay_alu instid0(SALU_CYCLE_1)
	s_add_u32 s18, s0, s14
	s_addc_u32 s19, s1, s15
	s_add_u32 s14, s14, 1
	global_load_u8 v2, v10, s[18:19]
	s_addc_u32 s15, s15, 0
	s_waitcnt vmcnt(0)
	v_and_b32_e32 v9, 0xffff, v2
	s_delay_alu instid0(VALU_DEP_1) | instskip(SKIP_3) | instid1(VALU_DEP_1)
	v_lshlrev_b64 v[2:3], s12, v[9:10]
	s_add_u32 s12, s12, 8
	s_addc_u32 s13, s13, 0
	s_cmp_lg_u32 s17, s14
	v_or_b32_e32 v19, v2, v19
	s_delay_alu instid0(VALU_DEP_2)
	v_or_b32_e32 v20, v3, v20
	s_cbranch_scc1 .LBB1_162
.LBB1_163:                              ;   in Loop: Header=BB1_145 Depth=1
	s_mov_b32 s16, 0
	s_cbranch_execz .LBB1_165
	s_branch .LBB1_166
.LBB1_164:                              ;   in Loop: Header=BB1_145 Depth=1
                                        ; implicit-def: $sgpr16
.LBB1_165:                              ;   in Loop: Header=BB1_145 Depth=1
	global_load_b64 v[19:20], v10, s[0:1]
	s_add_i32 s16, s17, -8
	s_add_u32 s0, s0, 8
	s_addc_u32 s1, s1, 0
.LBB1_166:                              ;   in Loop: Header=BB1_145 Depth=1
	s_cmp_gt_u32 s16, 7
	s_cbranch_scc1 .LBB1_171
; %bb.167:                              ;   in Loop: Header=BB1_145 Depth=1
	v_mov_b32_e32 v21, 0
	v_mov_b32_e32 v22, 0
	s_cmp_eq_u32 s16, 0
	s_cbranch_scc1 .LBB1_170
; %bb.168:                              ;   in Loop: Header=BB1_145 Depth=1
	s_mov_b64 s[12:13], 0
	s_mov_b64 s[14:15], 0
.LBB1_169:                              ;   Parent Loop BB1_145 Depth=1
                                        ; =>  This Inner Loop Header: Depth=2
	s_delay_alu instid0(SALU_CYCLE_1)
	s_add_u32 s18, s0, s14
	s_addc_u32 s19, s1, s15
	s_add_u32 s14, s14, 1
	global_load_u8 v2, v10, s[18:19]
	s_addc_u32 s15, s15, 0
	s_waitcnt vmcnt(0)
	v_and_b32_e32 v9, 0xffff, v2
	s_delay_alu instid0(VALU_DEP_1) | instskip(SKIP_3) | instid1(VALU_DEP_1)
	v_lshlrev_b64 v[2:3], s12, v[9:10]
	s_add_u32 s12, s12, 8
	s_addc_u32 s13, s13, 0
	s_cmp_lg_u32 s16, s14
	v_or_b32_e32 v21, v2, v21
	s_delay_alu instid0(VALU_DEP_2)
	v_or_b32_e32 v22, v3, v22
	s_cbranch_scc1 .LBB1_169
.LBB1_170:                              ;   in Loop: Header=BB1_145 Depth=1
	s_mov_b32 s17, 0
	s_cbranch_execz .LBB1_172
	s_branch .LBB1_173
.LBB1_171:                              ;   in Loop: Header=BB1_145 Depth=1
                                        ; implicit-def: $vgpr21_vgpr22
                                        ; implicit-def: $sgpr17
.LBB1_172:                              ;   in Loop: Header=BB1_145 Depth=1
	global_load_b64 v[21:22], v10, s[0:1]
	s_add_i32 s17, s16, -8
	s_add_u32 s0, s0, 8
	s_addc_u32 s1, s1, 0
.LBB1_173:                              ;   in Loop: Header=BB1_145 Depth=1
	s_cmp_gt_u32 s17, 7
	s_cbranch_scc1 .LBB1_178
; %bb.174:                              ;   in Loop: Header=BB1_145 Depth=1
	v_mov_b32_e32 v23, 0
	v_mov_b32_e32 v24, 0
	s_cmp_eq_u32 s17, 0
	s_cbranch_scc1 .LBB1_177
; %bb.175:                              ;   in Loop: Header=BB1_145 Depth=1
	s_mov_b64 s[12:13], 0
	s_mov_b64 s[14:15], 0
.LBB1_176:                              ;   Parent Loop BB1_145 Depth=1
                                        ; =>  This Inner Loop Header: Depth=2
	s_delay_alu instid0(SALU_CYCLE_1)
	s_add_u32 s18, s0, s14
	s_addc_u32 s19, s1, s15
	s_add_u32 s14, s14, 1
	global_load_u8 v2, v10, s[18:19]
	s_addc_u32 s15, s15, 0
	s_waitcnt vmcnt(0)
	v_and_b32_e32 v9, 0xffff, v2
	s_delay_alu instid0(VALU_DEP_1) | instskip(SKIP_3) | instid1(VALU_DEP_1)
	v_lshlrev_b64 v[2:3], s12, v[9:10]
	s_add_u32 s12, s12, 8
	s_addc_u32 s13, s13, 0
	s_cmp_lg_u32 s17, s14
	v_or_b32_e32 v23, v2, v23
	s_delay_alu instid0(VALU_DEP_2)
	v_or_b32_e32 v24, v3, v24
	s_cbranch_scc1 .LBB1_176
.LBB1_177:                              ;   in Loop: Header=BB1_145 Depth=1
	s_mov_b32 s16, 0
	s_cbranch_execz .LBB1_179
	s_branch .LBB1_180
.LBB1_178:                              ;   in Loop: Header=BB1_145 Depth=1
                                        ; implicit-def: $sgpr16
.LBB1_179:                              ;   in Loop: Header=BB1_145 Depth=1
	global_load_b64 v[23:24], v10, s[0:1]
	s_add_i32 s16, s17, -8
	s_add_u32 s0, s0, 8
	s_addc_u32 s1, s1, 0
.LBB1_180:                              ;   in Loop: Header=BB1_145 Depth=1
	s_cmp_gt_u32 s16, 7
	s_cbranch_scc1 .LBB1_185
; %bb.181:                              ;   in Loop: Header=BB1_145 Depth=1
	v_mov_b32_e32 v25, 0
	v_mov_b32_e32 v26, 0
	s_cmp_eq_u32 s16, 0
	s_cbranch_scc1 .LBB1_184
; %bb.182:                              ;   in Loop: Header=BB1_145 Depth=1
	s_mov_b64 s[12:13], 0
	s_mov_b64 s[14:15], 0
.LBB1_183:                              ;   Parent Loop BB1_145 Depth=1
                                        ; =>  This Inner Loop Header: Depth=2
	s_delay_alu instid0(SALU_CYCLE_1)
	s_add_u32 s18, s0, s14
	s_addc_u32 s19, s1, s15
	s_add_u32 s14, s14, 1
	global_load_u8 v2, v10, s[18:19]
	s_addc_u32 s15, s15, 0
	s_waitcnt vmcnt(0)
	v_and_b32_e32 v9, 0xffff, v2
	s_delay_alu instid0(VALU_DEP_1) | instskip(SKIP_3) | instid1(VALU_DEP_1)
	v_lshlrev_b64 v[2:3], s12, v[9:10]
	s_add_u32 s12, s12, 8
	s_addc_u32 s13, s13, 0
	s_cmp_lg_u32 s16, s14
	v_or_b32_e32 v25, v2, v25
	s_delay_alu instid0(VALU_DEP_2)
	v_or_b32_e32 v26, v3, v26
	s_cbranch_scc1 .LBB1_183
.LBB1_184:                              ;   in Loop: Header=BB1_145 Depth=1
	s_mov_b32 s17, 0
	s_cbranch_execz .LBB1_186
	s_branch .LBB1_187
.LBB1_185:                              ;   in Loop: Header=BB1_145 Depth=1
                                        ; implicit-def: $vgpr25_vgpr26
                                        ; implicit-def: $sgpr17
.LBB1_186:                              ;   in Loop: Header=BB1_145 Depth=1
	global_load_b64 v[25:26], v10, s[0:1]
	s_add_i32 s17, s16, -8
	s_add_u32 s0, s0, 8
	s_addc_u32 s1, s1, 0
.LBB1_187:                              ;   in Loop: Header=BB1_145 Depth=1
	s_cmp_gt_u32 s17, 7
	s_cbranch_scc1 .LBB1_192
; %bb.188:                              ;   in Loop: Header=BB1_145 Depth=1
	v_mov_b32_e32 v27, 0
	v_mov_b32_e32 v28, 0
	s_cmp_eq_u32 s17, 0
	s_cbranch_scc1 .LBB1_191
; %bb.189:                              ;   in Loop: Header=BB1_145 Depth=1
	s_mov_b64 s[12:13], 0
	s_mov_b64 s[14:15], s[0:1]
.LBB1_190:                              ;   Parent Loop BB1_145 Depth=1
                                        ; =>  This Inner Loop Header: Depth=2
	global_load_u8 v2, v10, s[14:15]
	s_add_i32 s17, s17, -1
	s_waitcnt vmcnt(0)
	v_and_b32_e32 v9, 0xffff, v2
	s_delay_alu instid0(VALU_DEP_1)
	v_lshlrev_b64 v[2:3], s12, v[9:10]
	s_add_u32 s12, s12, 8
	s_addc_u32 s13, s13, 0
	s_add_u32 s14, s14, 1
	s_addc_u32 s15, s15, 0
	s_cmp_lg_u32 s17, 0
	v_or_b32_e32 v27, v2, v27
	v_or_b32_e32 v28, v3, v28
	s_cbranch_scc1 .LBB1_190
.LBB1_191:                              ;   in Loop: Header=BB1_145 Depth=1
	s_cbranch_execz .LBB1_193
	s_branch .LBB1_194
.LBB1_192:                              ;   in Loop: Header=BB1_145 Depth=1
.LBB1_193:                              ;   in Loop: Header=BB1_145 Depth=1
	global_load_b64 v[27:28], v10, s[0:1]
.LBB1_194:                              ;   in Loop: Header=BB1_145 Depth=1
	v_readfirstlane_b32 s0, v35
	v_mov_b32_e32 v2, 0
	v_mov_b32_e32 v3, 0
	s_delay_alu instid0(VALU_DEP_3) | instskip(NEXT) | instid1(VALU_DEP_1)
	v_cmp_eq_u32_e64 s0, s0, v35
	s_and_saveexec_b32 s1, s0
	s_cbranch_execz .LBB1_200
; %bb.195:                              ;   in Loop: Header=BB1_145 Depth=1
	global_load_b64 v[31:32], v10, s[2:3] offset:24 glc
	s_waitcnt vmcnt(0)
	buffer_gl1_inv
	buffer_gl0_inv
	s_clause 0x1
	global_load_b64 v[2:3], v10, s[2:3] offset:40
	global_load_b64 v[8:9], v10, s[2:3]
	s_mov_b32 s12, exec_lo
	s_waitcnt vmcnt(1)
	v_and_b32_e32 v3, v3, v32
	v_and_b32_e32 v2, v2, v31
	s_delay_alu instid0(VALU_DEP_2) | instskip(NEXT) | instid1(VALU_DEP_2)
	v_mul_lo_u32 v3, v3, 24
	v_mul_hi_u32 v13, v2, 24
	v_mul_lo_u32 v2, v2, 24
	s_delay_alu instid0(VALU_DEP_2) | instskip(SKIP_1) | instid1(VALU_DEP_2)
	v_add_nc_u32_e32 v3, v13, v3
	s_waitcnt vmcnt(0)
	v_add_co_u32 v2, vcc_lo, v8, v2
	s_delay_alu instid0(VALU_DEP_2)
	v_add_co_ci_u32_e32 v3, vcc_lo, v9, v3, vcc_lo
	global_load_b64 v[29:30], v[2:3], off glc
	s_waitcnt vmcnt(0)
	global_atomic_cmpswap_b64 v[2:3], v10, v[29:32], s[2:3] offset:24 glc
	s_waitcnt vmcnt(0)
	buffer_gl1_inv
	buffer_gl0_inv
	v_cmpx_ne_u64_e64 v[2:3], v[31:32]
	s_cbranch_execz .LBB1_199
; %bb.196:                              ;   in Loop: Header=BB1_145 Depth=1
	s_mov_b32 s13, 0
	.p2align	6
.LBB1_197:                              ;   Parent Loop BB1_145 Depth=1
                                        ; =>  This Inner Loop Header: Depth=2
	s_sleep 1
	s_clause 0x1
	global_load_b64 v[8:9], v10, s[2:3] offset:40
	global_load_b64 v[13:14], v10, s[2:3]
	v_dual_mov_b32 v32, v3 :: v_dual_mov_b32 v31, v2
	s_waitcnt vmcnt(1)
	s_delay_alu instid0(VALU_DEP_1) | instskip(SKIP_1) | instid1(VALU_DEP_1)
	v_and_b32_e32 v8, v8, v31
	s_waitcnt vmcnt(0)
	v_mad_u64_u32 v[2:3], null, v8, 24, v[13:14]
	v_and_b32_e32 v13, v9, v32
	s_delay_alu instid0(VALU_DEP_1) | instskip(NEXT) | instid1(VALU_DEP_1)
	v_mad_u64_u32 v[8:9], null, v13, 24, v[3:4]
	v_mov_b32_e32 v3, v8
	global_load_b64 v[29:30], v[2:3], off glc
	s_waitcnt vmcnt(0)
	global_atomic_cmpswap_b64 v[2:3], v10, v[29:32], s[2:3] offset:24 glc
	s_waitcnt vmcnt(0)
	buffer_gl1_inv
	buffer_gl0_inv
	v_cmp_eq_u64_e32 vcc_lo, v[2:3], v[31:32]
	s_or_b32 s13, vcc_lo, s13
	s_delay_alu instid0(SALU_CYCLE_1)
	s_and_not1_b32 exec_lo, exec_lo, s13
	s_cbranch_execnz .LBB1_197
; %bb.198:                              ;   in Loop: Header=BB1_145 Depth=1
	s_or_b32 exec_lo, exec_lo, s13
.LBB1_199:                              ;   in Loop: Header=BB1_145 Depth=1
	s_delay_alu instid0(SALU_CYCLE_1)
	s_or_b32 exec_lo, exec_lo, s12
.LBB1_200:                              ;   in Loop: Header=BB1_145 Depth=1
	s_delay_alu instid0(SALU_CYCLE_1)
	s_or_b32 exec_lo, exec_lo, s1
	s_clause 0x1
	global_load_b64 v[8:9], v10, s[2:3] offset:40
	global_load_b128 v[29:32], v10, s[2:3]
	v_readfirstlane_b32 s12, v2
	v_readfirstlane_b32 s13, v3
	s_mov_b32 s1, exec_lo
	s_waitcnt vmcnt(1)
	v_readfirstlane_b32 s14, v8
	v_readfirstlane_b32 s15, v9
	s_delay_alu instid0(VALU_DEP_1) | instskip(NEXT) | instid1(SALU_CYCLE_1)
	s_and_b64 s[14:15], s[12:13], s[14:15]
	s_mul_i32 s16, s15, 24
	s_mul_hi_u32 s17, s14, 24
	s_mul_i32 s18, s14, 24
	s_add_i32 s17, s17, s16
	s_waitcnt vmcnt(0)
	v_add_co_u32 v2, vcc_lo, v29, s18
	v_add_co_ci_u32_e32 v3, vcc_lo, s17, v30, vcc_lo
	s_and_saveexec_b32 s16, s0
	s_cbranch_execz .LBB1_202
; %bb.201:                              ;   in Loop: Header=BB1_145 Depth=1
	v_mov_b32_e32 v9, s1
	global_store_b128 v[2:3], v[9:12], off offset:8
.LBB1_202:                              ;   in Loop: Header=BB1_145 Depth=1
	s_or_b32 exec_lo, exec_lo, s16
	s_lshl_b64 s[14:15], s[14:15], 12
	v_cmp_gt_u64_e64 vcc_lo, s[6:7], 56
	v_or_b32_e32 v9, v6, v33
	v_add_co_u32 v31, s1, v31, s14
	s_delay_alu instid0(VALU_DEP_1)
	v_add_co_ci_u32_e64 v32, s1, s15, v32, s1
	s_lshl_b32 s1, s10, 2
	v_or_b32_e32 v8, 0, v7
	v_cndmask_b32_e32 v6, v9, v6, vcc_lo
	s_add_i32 s1, s1, 28
	v_readfirstlane_b32 s14, v31
	s_and_b32 s1, s1, 0x1e0
	v_cndmask_b32_e32 v14, v8, v7, vcc_lo
	v_readfirstlane_b32 s15, v32
	v_and_or_b32 v13, 0xffffff1f, v6, s1
	s_clause 0x3
	global_store_b128 v34, v[13:16], s[14:15]
	global_store_b128 v34, v[17:20], s[14:15] offset:16
	global_store_b128 v34, v[21:24], s[14:15] offset:32
	;; [unrolled: 1-line block ×3, first 2 shown]
	s_and_saveexec_b32 s1, s0
	s_cbranch_execz .LBB1_210
; %bb.203:                              ;   in Loop: Header=BB1_145 Depth=1
	s_clause 0x1
	global_load_b64 v[17:18], v10, s[2:3] offset:32 glc
	global_load_b64 v[6:7], v10, s[2:3] offset:40
	v_dual_mov_b32 v15, s12 :: v_dual_mov_b32 v16, s13
	s_waitcnt vmcnt(0)
	v_readfirstlane_b32 s14, v6
	v_readfirstlane_b32 s15, v7
	s_delay_alu instid0(VALU_DEP_1) | instskip(NEXT) | instid1(SALU_CYCLE_1)
	s_and_b64 s[14:15], s[14:15], s[12:13]
	s_mul_i32 s15, s15, 24
	s_mul_hi_u32 s16, s14, 24
	s_mul_i32 s14, s14, 24
	s_add_i32 s16, s16, s15
	v_add_co_u32 v13, vcc_lo, v29, s14
	v_add_co_ci_u32_e32 v14, vcc_lo, s16, v30, vcc_lo
	s_mov_b32 s14, exec_lo
	global_store_b64 v[13:14], v[17:18], off
	s_waitcnt_vscnt null, 0x0
	global_atomic_cmpswap_b64 v[8:9], v10, v[15:18], s[2:3] offset:32 glc
	s_waitcnt vmcnt(0)
	v_cmpx_ne_u64_e64 v[8:9], v[17:18]
	s_cbranch_execz .LBB1_206
; %bb.204:                              ;   in Loop: Header=BB1_145 Depth=1
	s_mov_b32 s15, 0
.LBB1_205:                              ;   Parent Loop BB1_145 Depth=1
                                        ; =>  This Inner Loop Header: Depth=2
	v_dual_mov_b32 v6, s12 :: v_dual_mov_b32 v7, s13
	s_sleep 1
	global_store_b64 v[13:14], v[8:9], off
	s_waitcnt_vscnt null, 0x0
	global_atomic_cmpswap_b64 v[6:7], v10, v[6:9], s[2:3] offset:32 glc
	s_waitcnt vmcnt(0)
	v_cmp_eq_u64_e32 vcc_lo, v[6:7], v[8:9]
	v_dual_mov_b32 v9, v7 :: v_dual_mov_b32 v8, v6
	s_or_b32 s15, vcc_lo, s15
	s_delay_alu instid0(SALU_CYCLE_1)
	s_and_not1_b32 exec_lo, exec_lo, s15
	s_cbranch_execnz .LBB1_205
.LBB1_206:                              ;   in Loop: Header=BB1_145 Depth=1
	s_or_b32 exec_lo, exec_lo, s14
	global_load_b64 v[6:7], v10, s[2:3] offset:16
	s_mov_b32 s15, exec_lo
	s_mov_b32 s14, exec_lo
	v_mbcnt_lo_u32_b32 v8, s15, 0
	s_delay_alu instid0(VALU_DEP_1)
	v_cmpx_eq_u32_e32 0, v8
	s_cbranch_execz .LBB1_208
; %bb.207:                              ;   in Loop: Header=BB1_145 Depth=1
	s_bcnt1_i32_b32 s15, s15
	s_delay_alu instid0(SALU_CYCLE_1)
	v_mov_b32_e32 v9, s15
	s_waitcnt vmcnt(0)
	global_atomic_add_u64 v[6:7], v[9:10], off offset:8
.LBB1_208:                              ;   in Loop: Header=BB1_145 Depth=1
	s_or_b32 exec_lo, exec_lo, s14
	s_waitcnt vmcnt(0)
	global_load_b64 v[13:14], v[6:7], off offset:16
	s_waitcnt vmcnt(0)
	v_cmp_eq_u64_e32 vcc_lo, 0, v[13:14]
	s_cbranch_vccnz .LBB1_210
; %bb.209:                              ;   in Loop: Header=BB1_145 Depth=1
	global_load_b32 v9, v[6:7], off offset:24
	s_waitcnt vmcnt(0)
	v_and_b32_e32 v6, 0xffffff, v9
	s_waitcnt_vscnt null, 0x0
	global_store_b64 v[13:14], v[9:10], off
	v_readfirstlane_b32 m0, v6
	s_sendmsg sendmsg(MSG_INTERRUPT)
.LBB1_210:                              ;   in Loop: Header=BB1_145 Depth=1
	s_or_b32 exec_lo, exec_lo, s1
	v_add_co_u32 v6, vcc_lo, v31, v34
	v_add_co_ci_u32_e32 v7, vcc_lo, 0, v32, vcc_lo
	s_branch .LBB1_214
	.p2align	6
.LBB1_211:                              ;   in Loop: Header=BB1_214 Depth=2
	s_or_b32 exec_lo, exec_lo, s1
	s_delay_alu instid0(VALU_DEP_1) | instskip(NEXT) | instid1(VALU_DEP_1)
	v_readfirstlane_b32 s1, v8
	s_cmp_eq_u32 s1, 0
	s_cbranch_scc1 .LBB1_213
; %bb.212:                              ;   in Loop: Header=BB1_214 Depth=2
	s_sleep 1
	s_cbranch_execnz .LBB1_214
	s_branch .LBB1_216
	.p2align	6
.LBB1_213:                              ;   in Loop: Header=BB1_145 Depth=1
	s_branch .LBB1_216
.LBB1_214:                              ;   Parent Loop BB1_145 Depth=1
                                        ; =>  This Inner Loop Header: Depth=2
	v_mov_b32_e32 v8, 1
	s_and_saveexec_b32 s1, s0
	s_cbranch_execz .LBB1_211
; %bb.215:                              ;   in Loop: Header=BB1_214 Depth=2
	global_load_b32 v8, v[2:3], off offset:20 glc
	s_waitcnt vmcnt(0)
	buffer_gl1_inv
	buffer_gl0_inv
	v_and_b32_e32 v8, 1, v8
	s_branch .LBB1_211
.LBB1_216:                              ;   in Loop: Header=BB1_145 Depth=1
	global_load_b128 v[6:9], v[6:7], off
	s_and_saveexec_b32 s1, s0
	s_cbranch_execz .LBB1_144
; %bb.217:                              ;   in Loop: Header=BB1_145 Depth=1
	s_clause 0x2
	global_load_b64 v[2:3], v10, s[2:3] offset:40
	global_load_b64 v[8:9], v10, s[2:3] offset:24 glc
	global_load_b64 v[15:16], v10, s[2:3]
	s_waitcnt vmcnt(2)
	v_add_co_u32 v17, vcc_lo, v2, 1
	v_add_co_ci_u32_e32 v18, vcc_lo, 0, v3, vcc_lo
	s_delay_alu instid0(VALU_DEP_2) | instskip(NEXT) | instid1(VALU_DEP_2)
	v_add_co_u32 v13, vcc_lo, v17, s12
	v_add_co_ci_u32_e32 v14, vcc_lo, s13, v18, vcc_lo
	s_delay_alu instid0(VALU_DEP_1) | instskip(SKIP_1) | instid1(VALU_DEP_1)
	v_cmp_eq_u64_e32 vcc_lo, 0, v[13:14]
	v_dual_cndmask_b32 v14, v14, v18 :: v_dual_cndmask_b32 v13, v13, v17
	v_and_b32_e32 v3, v14, v3
	s_delay_alu instid0(VALU_DEP_2) | instskip(NEXT) | instid1(VALU_DEP_2)
	v_and_b32_e32 v2, v13, v2
	v_mul_lo_u32 v3, v3, 24
	s_delay_alu instid0(VALU_DEP_2) | instskip(SKIP_1) | instid1(VALU_DEP_2)
	v_mul_hi_u32 v17, v2, 24
	v_mul_lo_u32 v2, v2, 24
	v_add_nc_u32_e32 v3, v17, v3
	s_waitcnt vmcnt(0)
	s_delay_alu instid0(VALU_DEP_2) | instskip(SKIP_1) | instid1(VALU_DEP_3)
	v_add_co_u32 v2, vcc_lo, v15, v2
	v_mov_b32_e32 v15, v8
	v_add_co_ci_u32_e32 v3, vcc_lo, v16, v3, vcc_lo
	v_mov_b32_e32 v16, v9
	global_store_b64 v[2:3], v[8:9], off
	s_waitcnt_vscnt null, 0x0
	global_atomic_cmpswap_b64 v[15:16], v10, v[13:16], s[2:3] offset:24 glc
	s_waitcnt vmcnt(0)
	v_cmp_ne_u64_e32 vcc_lo, v[15:16], v[8:9]
	s_and_b32 exec_lo, exec_lo, vcc_lo
	s_cbranch_execz .LBB1_144
; %bb.218:                              ;   in Loop: Header=BB1_145 Depth=1
	s_mov_b32 s0, 0
.LBB1_219:                              ;   Parent Loop BB1_145 Depth=1
                                        ; =>  This Inner Loop Header: Depth=2
	s_sleep 1
	global_store_b64 v[2:3], v[15:16], off
	s_waitcnt_vscnt null, 0x0
	global_atomic_cmpswap_b64 v[8:9], v10, v[13:16], s[2:3] offset:24 glc
	s_waitcnt vmcnt(0)
	v_cmp_eq_u64_e32 vcc_lo, v[8:9], v[15:16]
	v_dual_mov_b32 v16, v9 :: v_dual_mov_b32 v15, v8
	s_or_b32 s0, vcc_lo, s0
	s_delay_alu instid0(SALU_CYCLE_1)
	s_and_not1_b32 exec_lo, exec_lo, s0
	s_cbranch_execnz .LBB1_219
	s_branch .LBB1_144
.LBB1_220:
                                        ; implicit-def: $vgpr6_vgpr7
	s_cbranch_execnz .LBB1_222
	s_branch .LBB1_249
.LBB1_221:
	s_branch .LBB1_249
.LBB1_222:
	v_readfirstlane_b32 s0, v35
	v_mov_b32_e32 v10, 0
	v_mov_b32_e32 v11, 0
	s_delay_alu instid0(VALU_DEP_3) | instskip(NEXT) | instid1(VALU_DEP_1)
	v_cmp_eq_u32_e64 s0, s0, v35
	s_and_saveexec_b32 s1, s0
	s_cbranch_execz .LBB1_228
; %bb.223:
	s_waitcnt vmcnt(0)
	v_mov_b32_e32 v2, 0
	s_mov_b32 s4, exec_lo
	global_load_b64 v[8:9], v2, s[2:3] offset:24 glc
	s_waitcnt vmcnt(0)
	buffer_gl1_inv
	buffer_gl0_inv
	s_clause 0x1
	global_load_b64 v[6:7], v2, s[2:3] offset:40
	global_load_b64 v[10:11], v2, s[2:3]
	s_waitcnt vmcnt(1)
	v_and_b32_e32 v3, v7, v9
	v_and_b32_e32 v6, v6, v8
	s_delay_alu instid0(VALU_DEP_2) | instskip(NEXT) | instid1(VALU_DEP_2)
	v_mul_lo_u32 v3, v3, 24
	v_mul_hi_u32 v7, v6, 24
	v_mul_lo_u32 v6, v6, 24
	s_delay_alu instid0(VALU_DEP_2) | instskip(SKIP_1) | instid1(VALU_DEP_2)
	v_add_nc_u32_e32 v3, v7, v3
	s_waitcnt vmcnt(0)
	v_add_co_u32 v6, vcc_lo, v10, v6
	s_delay_alu instid0(VALU_DEP_2)
	v_add_co_ci_u32_e32 v7, vcc_lo, v11, v3, vcc_lo
	global_load_b64 v[6:7], v[6:7], off glc
	s_waitcnt vmcnt(0)
	global_atomic_cmpswap_b64 v[10:11], v2, v[6:9], s[2:3] offset:24 glc
	s_waitcnt vmcnt(0)
	buffer_gl1_inv
	buffer_gl0_inv
	v_cmpx_ne_u64_e64 v[10:11], v[8:9]
	s_cbranch_execz .LBB1_227
; %bb.224:
	s_mov_b32 s5, 0
	.p2align	6
.LBB1_225:                              ; =>This Inner Loop Header: Depth=1
	s_sleep 1
	s_clause 0x1
	global_load_b64 v[6:7], v2, s[2:3] offset:40
	global_load_b64 v[12:13], v2, s[2:3]
	v_dual_mov_b32 v8, v10 :: v_dual_mov_b32 v9, v11
	s_waitcnt vmcnt(1)
	s_delay_alu instid0(VALU_DEP_1) | instskip(SKIP_1) | instid1(VALU_DEP_1)
	v_and_b32_e32 v3, v6, v8
	s_waitcnt vmcnt(0)
	v_mad_u64_u32 v[10:11], null, v3, 24, v[12:13]
	v_and_b32_e32 v12, v7, v9
	s_delay_alu instid0(VALU_DEP_2) | instskip(NEXT) | instid1(VALU_DEP_1)
	v_mov_b32_e32 v3, v11
	v_mad_u64_u32 v[6:7], null, v12, 24, v[3:4]
	s_delay_alu instid0(VALU_DEP_1)
	v_mov_b32_e32 v11, v6
	global_load_b64 v[6:7], v[10:11], off glc
	s_waitcnt vmcnt(0)
	global_atomic_cmpswap_b64 v[10:11], v2, v[6:9], s[2:3] offset:24 glc
	s_waitcnt vmcnt(0)
	buffer_gl1_inv
	buffer_gl0_inv
	v_cmp_eq_u64_e32 vcc_lo, v[10:11], v[8:9]
	s_or_b32 s5, vcc_lo, s5
	s_delay_alu instid0(SALU_CYCLE_1)
	s_and_not1_b32 exec_lo, exec_lo, s5
	s_cbranch_execnz .LBB1_225
; %bb.226:
	s_or_b32 exec_lo, exec_lo, s5
.LBB1_227:
	s_delay_alu instid0(SALU_CYCLE_1)
	s_or_b32 exec_lo, exec_lo, s4
.LBB1_228:
	s_delay_alu instid0(SALU_CYCLE_1)
	s_or_b32 exec_lo, exec_lo, s1
	s_waitcnt vmcnt(0)
	v_mov_b32_e32 v2, 0
	v_readfirstlane_b32 s4, v10
	v_readfirstlane_b32 s5, v11
	s_mov_b32 s1, exec_lo
	s_clause 0x1
	global_load_b64 v[12:13], v2, s[2:3] offset:40
	global_load_b128 v[6:9], v2, s[2:3]
	s_waitcnt vmcnt(1)
	v_readfirstlane_b32 s6, v12
	v_readfirstlane_b32 s7, v13
	s_delay_alu instid0(VALU_DEP_1) | instskip(NEXT) | instid1(SALU_CYCLE_1)
	s_and_b64 s[6:7], s[4:5], s[6:7]
	s_mul_i32 s10, s7, 24
	s_mul_hi_u32 s11, s6, 24
	s_mul_i32 s12, s6, 24
	s_add_i32 s11, s11, s10
	s_waitcnt vmcnt(0)
	v_add_co_u32 v10, vcc_lo, v6, s12
	v_add_co_ci_u32_e32 v11, vcc_lo, s11, v7, vcc_lo
	s_and_saveexec_b32 s10, s0
	s_cbranch_execz .LBB1_230
; %bb.229:
	v_dual_mov_b32 v12, s1 :: v_dual_mov_b32 v13, v2
	v_dual_mov_b32 v14, 2 :: v_dual_mov_b32 v15, 1
	global_store_b128 v[10:11], v[12:15], off offset:8
.LBB1_230:
	s_or_b32 exec_lo, exec_lo, s10
	s_lshl_b64 s[6:7], s[6:7], 12
	s_mov_b32 s12, 0
	v_add_co_u32 v8, vcc_lo, v8, s6
	v_add_co_ci_u32_e32 v9, vcc_lo, s7, v9, vcc_lo
	s_mov_b32 s13, s12
	s_delay_alu instid0(VALU_DEP_2)
	v_readfirstlane_b32 s6, v8
	v_add_co_u32 v8, vcc_lo, v8, v34
	s_mov_b32 s14, s12
	s_mov_b32 s15, s12
	v_and_or_b32 v0, 0xffffff1f, v0, 32
	v_dual_mov_b32 v3, v2 :: v_dual_mov_b32 v12, s12
	v_readfirstlane_b32 s7, v9
	v_add_co_ci_u32_e32 v9, vcc_lo, 0, v9, vcc_lo
	v_dual_mov_b32 v13, s13 :: v_dual_mov_b32 v14, s14
	v_mov_b32_e32 v15, s15
	s_clause 0x3
	global_store_b128 v34, v[0:3], s[6:7]
	global_store_b128 v34, v[12:15], s[6:7] offset:16
	global_store_b128 v34, v[12:15], s[6:7] offset:32
	;; [unrolled: 1-line block ×3, first 2 shown]
	s_and_saveexec_b32 s1, s0
	s_cbranch_execz .LBB1_238
; %bb.231:
	v_dual_mov_b32 v12, 0 :: v_dual_mov_b32 v13, s4
	v_mov_b32_e32 v14, s5
	s_clause 0x1
	global_load_b64 v[15:16], v12, s[2:3] offset:32 glc
	global_load_b64 v[0:1], v12, s[2:3] offset:40
	s_waitcnt vmcnt(0)
	v_readfirstlane_b32 s6, v0
	v_readfirstlane_b32 s7, v1
	s_delay_alu instid0(VALU_DEP_1) | instskip(NEXT) | instid1(SALU_CYCLE_1)
	s_and_b64 s[6:7], s[6:7], s[4:5]
	s_mul_i32 s7, s7, 24
	s_mul_hi_u32 s10, s6, 24
	s_mul_i32 s6, s6, 24
	s_add_i32 s10, s10, s7
	v_add_co_u32 v6, vcc_lo, v6, s6
	v_add_co_ci_u32_e32 v7, vcc_lo, s10, v7, vcc_lo
	s_mov_b32 s6, exec_lo
	global_store_b64 v[6:7], v[15:16], off
	s_waitcnt_vscnt null, 0x0
	global_atomic_cmpswap_b64 v[2:3], v12, v[13:16], s[2:3] offset:32 glc
	s_waitcnt vmcnt(0)
	v_cmpx_ne_u64_e64 v[2:3], v[15:16]
	s_cbranch_execz .LBB1_234
; %bb.232:
	s_mov_b32 s7, 0
.LBB1_233:                              ; =>This Inner Loop Header: Depth=1
	v_dual_mov_b32 v0, s4 :: v_dual_mov_b32 v1, s5
	s_sleep 1
	global_store_b64 v[6:7], v[2:3], off
	s_waitcnt_vscnt null, 0x0
	global_atomic_cmpswap_b64 v[0:1], v12, v[0:3], s[2:3] offset:32 glc
	s_waitcnt vmcnt(0)
	v_cmp_eq_u64_e32 vcc_lo, v[0:1], v[2:3]
	v_dual_mov_b32 v3, v1 :: v_dual_mov_b32 v2, v0
	s_or_b32 s7, vcc_lo, s7
	s_delay_alu instid0(SALU_CYCLE_1)
	s_and_not1_b32 exec_lo, exec_lo, s7
	s_cbranch_execnz .LBB1_233
.LBB1_234:
	s_or_b32 exec_lo, exec_lo, s6
	v_mov_b32_e32 v3, 0
	s_mov_b32 s7, exec_lo
	s_mov_b32 s6, exec_lo
	v_mbcnt_lo_u32_b32 v2, s7, 0
	global_load_b64 v[0:1], v3, s[2:3] offset:16
	v_cmpx_eq_u32_e32 0, v2
	s_cbranch_execz .LBB1_236
; %bb.235:
	s_bcnt1_i32_b32 s7, s7
	s_delay_alu instid0(SALU_CYCLE_1)
	v_mov_b32_e32 v2, s7
	s_waitcnt vmcnt(0)
	global_atomic_add_u64 v[0:1], v[2:3], off offset:8
.LBB1_236:
	s_or_b32 exec_lo, exec_lo, s6
	s_waitcnt vmcnt(0)
	global_load_b64 v[2:3], v[0:1], off offset:16
	s_waitcnt vmcnt(0)
	v_cmp_eq_u64_e32 vcc_lo, 0, v[2:3]
	s_cbranch_vccnz .LBB1_238
; %bb.237:
	global_load_b32 v0, v[0:1], off offset:24
	s_waitcnt vmcnt(0)
	v_dual_mov_b32 v1, 0 :: v_dual_and_b32 v6, 0xffffff, v0
	s_waitcnt_vscnt null, 0x0
	global_store_b64 v[2:3], v[0:1], off
	v_readfirstlane_b32 m0, v6
	s_sendmsg sendmsg(MSG_INTERRUPT)
.LBB1_238:
	s_or_b32 exec_lo, exec_lo, s1
	s_branch .LBB1_242
	.p2align	6
.LBB1_239:                              ;   in Loop: Header=BB1_242 Depth=1
	s_or_b32 exec_lo, exec_lo, s1
	s_delay_alu instid0(VALU_DEP_1) | instskip(NEXT) | instid1(VALU_DEP_1)
	v_readfirstlane_b32 s1, v0
	s_cmp_eq_u32 s1, 0
	s_cbranch_scc1 .LBB1_241
; %bb.240:                              ;   in Loop: Header=BB1_242 Depth=1
	s_sleep 1
	s_cbranch_execnz .LBB1_242
	s_branch .LBB1_244
	.p2align	6
.LBB1_241:
	s_branch .LBB1_244
.LBB1_242:                              ; =>This Inner Loop Header: Depth=1
	v_mov_b32_e32 v0, 1
	s_and_saveexec_b32 s1, s0
	s_cbranch_execz .LBB1_239
; %bb.243:                              ;   in Loop: Header=BB1_242 Depth=1
	global_load_b32 v0, v[10:11], off offset:20 glc
	s_waitcnt vmcnt(0)
	buffer_gl1_inv
	buffer_gl0_inv
	v_and_b32_e32 v0, 1, v0
	s_branch .LBB1_239
.LBB1_244:
	global_load_b64 v[6:7], v[8:9], off
	s_and_saveexec_b32 s1, s0
	s_cbranch_execz .LBB1_248
; %bb.245:
	v_mov_b32_e32 v10, 0
	s_clause 0x2
	global_load_b64 v[2:3], v10, s[2:3] offset:40
	global_load_b64 v[11:12], v10, s[2:3] offset:24 glc
	global_load_b64 v[8:9], v10, s[2:3]
	s_waitcnt vmcnt(2)
	v_add_co_u32 v13, vcc_lo, v2, 1
	v_add_co_ci_u32_e32 v14, vcc_lo, 0, v3, vcc_lo
	s_delay_alu instid0(VALU_DEP_2) | instskip(NEXT) | instid1(VALU_DEP_2)
	v_add_co_u32 v0, vcc_lo, v13, s4
	v_add_co_ci_u32_e32 v1, vcc_lo, s5, v14, vcc_lo
	s_delay_alu instid0(VALU_DEP_1) | instskip(SKIP_1) | instid1(VALU_DEP_1)
	v_cmp_eq_u64_e32 vcc_lo, 0, v[0:1]
	v_dual_cndmask_b32 v1, v1, v14 :: v_dual_cndmask_b32 v0, v0, v13
	v_and_b32_e32 v3, v1, v3
	s_delay_alu instid0(VALU_DEP_2) | instskip(NEXT) | instid1(VALU_DEP_2)
	v_and_b32_e32 v2, v0, v2
	v_mul_lo_u32 v3, v3, 24
	s_delay_alu instid0(VALU_DEP_2) | instskip(SKIP_1) | instid1(VALU_DEP_2)
	v_mul_hi_u32 v13, v2, 24
	v_mul_lo_u32 v2, v2, 24
	v_add_nc_u32_e32 v3, v13, v3
	s_waitcnt vmcnt(0)
	s_delay_alu instid0(VALU_DEP_2) | instskip(SKIP_1) | instid1(VALU_DEP_3)
	v_add_co_u32 v8, vcc_lo, v8, v2
	v_mov_b32_e32 v2, v11
	v_add_co_ci_u32_e32 v9, vcc_lo, v9, v3, vcc_lo
	v_mov_b32_e32 v3, v12
	global_store_b64 v[8:9], v[11:12], off
	s_waitcnt_vscnt null, 0x0
	global_atomic_cmpswap_b64 v[2:3], v10, v[0:3], s[2:3] offset:24 glc
	s_waitcnt vmcnt(0)
	v_cmp_ne_u64_e32 vcc_lo, v[2:3], v[11:12]
	s_and_b32 exec_lo, exec_lo, vcc_lo
	s_cbranch_execz .LBB1_248
; %bb.246:
	s_mov_b32 s0, 0
.LBB1_247:                              ; =>This Inner Loop Header: Depth=1
	s_sleep 1
	global_store_b64 v[8:9], v[2:3], off
	s_waitcnt_vscnt null, 0x0
	global_atomic_cmpswap_b64 v[11:12], v10, v[0:3], s[2:3] offset:24 glc
	s_waitcnt vmcnt(0)
	v_cmp_eq_u64_e32 vcc_lo, v[11:12], v[2:3]
	v_dual_mov_b32 v2, v11 :: v_dual_mov_b32 v3, v12
	s_or_b32 s0, vcc_lo, s0
	s_delay_alu instid0(SALU_CYCLE_1)
	s_and_not1_b32 exec_lo, exec_lo, s0
	s_cbranch_execnz .LBB1_247
.LBB1_248:
	s_or_b32 exec_lo, exec_lo, s1
.LBB1_249:
	v_readfirstlane_b32 s0, v35
	v_mov_b32_e32 v10, 0
	v_mov_b32_e32 v11, 0
	s_delay_alu instid0(VALU_DEP_3) | instskip(NEXT) | instid1(VALU_DEP_1)
	v_cmp_eq_u32_e64 s0, s0, v35
	s_and_saveexec_b32 s1, s0
	s_cbranch_execz .LBB1_255
; %bb.250:
	s_waitcnt vmcnt(0)
	v_mov_b32_e32 v0, 0
	s_mov_b32 s4, exec_lo
	global_load_b64 v[12:13], v0, s[2:3] offset:24 glc
	s_waitcnt vmcnt(0)
	buffer_gl1_inv
	buffer_gl0_inv
	s_clause 0x1
	global_load_b64 v[1:2], v0, s[2:3] offset:40
	global_load_b64 v[8:9], v0, s[2:3]
	s_waitcnt vmcnt(1)
	v_and_b32_e32 v1, v1, v12
	v_and_b32_e32 v2, v2, v13
	s_delay_alu instid0(VALU_DEP_2) | instskip(NEXT) | instid1(VALU_DEP_2)
	v_mul_hi_u32 v3, v1, 24
	v_mul_lo_u32 v2, v2, 24
	v_mul_lo_u32 v1, v1, 24
	s_delay_alu instid0(VALU_DEP_2) | instskip(SKIP_1) | instid1(VALU_DEP_2)
	v_add_nc_u32_e32 v2, v3, v2
	s_waitcnt vmcnt(0)
	v_add_co_u32 v1, vcc_lo, v8, v1
	s_delay_alu instid0(VALU_DEP_2)
	v_add_co_ci_u32_e32 v2, vcc_lo, v9, v2, vcc_lo
	global_load_b64 v[10:11], v[1:2], off glc
	s_waitcnt vmcnt(0)
	global_atomic_cmpswap_b64 v[10:11], v0, v[10:13], s[2:3] offset:24 glc
	s_waitcnt vmcnt(0)
	buffer_gl1_inv
	buffer_gl0_inv
	v_cmpx_ne_u64_e64 v[10:11], v[12:13]
	s_cbranch_execz .LBB1_254
; %bb.251:
	s_mov_b32 s5, 0
	.p2align	6
.LBB1_252:                              ; =>This Inner Loop Header: Depth=1
	s_sleep 1
	s_clause 0x1
	global_load_b64 v[1:2], v0, s[2:3] offset:40
	global_load_b64 v[8:9], v0, s[2:3]
	v_dual_mov_b32 v13, v11 :: v_dual_mov_b32 v12, v10
	s_waitcnt vmcnt(1)
	s_delay_alu instid0(VALU_DEP_1) | instskip(SKIP_1) | instid1(VALU_DEP_1)
	v_and_b32_e32 v1, v1, v12
	s_waitcnt vmcnt(0)
	v_mad_u64_u32 v[10:11], null, v1, 24, v[8:9]
	s_delay_alu instid0(VALU_DEP_1) | instskip(NEXT) | instid1(VALU_DEP_1)
	v_dual_mov_b32 v1, v11 :: v_dual_and_b32 v8, v2, v13
	v_mad_u64_u32 v[2:3], null, v8, 24, v[1:2]
	s_delay_alu instid0(VALU_DEP_1)
	v_mov_b32_e32 v11, v2
	global_load_b64 v[10:11], v[10:11], off glc
	s_waitcnt vmcnt(0)
	global_atomic_cmpswap_b64 v[10:11], v0, v[10:13], s[2:3] offset:24 glc
	s_waitcnt vmcnt(0)
	buffer_gl1_inv
	buffer_gl0_inv
	v_cmp_eq_u64_e32 vcc_lo, v[10:11], v[12:13]
	s_or_b32 s5, vcc_lo, s5
	s_delay_alu instid0(SALU_CYCLE_1)
	s_and_not1_b32 exec_lo, exec_lo, s5
	s_cbranch_execnz .LBB1_252
; %bb.253:
	s_or_b32 exec_lo, exec_lo, s5
.LBB1_254:
	s_delay_alu instid0(SALU_CYCLE_1)
	s_or_b32 exec_lo, exec_lo, s4
.LBB1_255:
	s_delay_alu instid0(SALU_CYCLE_1)
	s_or_b32 exec_lo, exec_lo, s1
	s_waitcnt vmcnt(0)
	v_mov_b32_e32 v9, 0
	v_readfirstlane_b32 s4, v10
	v_readfirstlane_b32 s5, v11
	s_mov_b32 s1, exec_lo
	s_clause 0x1
	global_load_b64 v[12:13], v9, s[2:3] offset:40
	global_load_b128 v[0:3], v9, s[2:3]
	s_waitcnt vmcnt(1)
	v_readfirstlane_b32 s6, v12
	v_readfirstlane_b32 s7, v13
	s_delay_alu instid0(VALU_DEP_1) | instskip(NEXT) | instid1(SALU_CYCLE_1)
	s_and_b64 s[6:7], s[4:5], s[6:7]
	s_mul_i32 s10, s7, 24
	s_mul_hi_u32 s11, s6, 24
	s_mul_i32 s12, s6, 24
	s_add_i32 s11, s11, s10
	s_waitcnt vmcnt(0)
	v_add_co_u32 v10, vcc_lo, v0, s12
	v_add_co_ci_u32_e32 v11, vcc_lo, s11, v1, vcc_lo
	s_and_saveexec_b32 s10, s0
	s_cbranch_execz .LBB1_257
; %bb.256:
	v_dual_mov_b32 v8, s1 :: v_dual_mov_b32 v15, 1
	v_dual_mov_b32 v14, 2 :: v_dual_mov_b32 v13, v9
	s_delay_alu instid0(VALU_DEP_2)
	v_mov_b32_e32 v12, v8
	global_store_b128 v[10:11], v[12:15], off offset:8
.LBB1_257:
	s_or_b32 exec_lo, exec_lo, s10
	s_lshl_b64 s[6:7], s[6:7], 12
	s_mov_b32 s12, 0
	v_add_co_u32 v2, vcc_lo, v2, s6
	v_add_co_ci_u32_e32 v3, vcc_lo, s7, v3, vcc_lo
	s_mov_b32 s15, s12
	s_delay_alu instid0(VALU_DEP_2)
	v_add_co_u32 v12, vcc_lo, v2, v34
	s_mov_b32 s13, s12
	s_mov_b32 s14, s12
	v_and_or_b32 v6, 0xffffff1f, v6, 32
	v_dual_mov_b32 v8, 0x331 :: v_dual_mov_b32 v17, s15
	v_readfirstlane_b32 s6, v2
	v_readfirstlane_b32 s7, v3
	v_add_co_ci_u32_e32 v13, vcc_lo, 0, v3, vcc_lo
	v_dual_mov_b32 v16, s14 :: v_dual_mov_b32 v15, s13
	v_mov_b32_e32 v14, s12
	s_clause 0x3
	global_store_b128 v34, v[6:9], s[6:7]
	global_store_b128 v34, v[14:17], s[6:7] offset:16
	global_store_b128 v34, v[14:17], s[6:7] offset:32
	;; [unrolled: 1-line block ×3, first 2 shown]
	s_and_saveexec_b32 s1, s0
	s_cbranch_execz .LBB1_265
; %bb.258:
	v_dual_mov_b32 v8, 0 :: v_dual_mov_b32 v15, s5
	v_mov_b32_e32 v14, s4
	s_clause 0x1
	global_load_b64 v[16:17], v8, s[2:3] offset:32 glc
	global_load_b64 v[2:3], v8, s[2:3] offset:40
	s_waitcnt vmcnt(0)
	v_readfirstlane_b32 s6, v2
	v_readfirstlane_b32 s7, v3
	s_delay_alu instid0(VALU_DEP_1) | instskip(NEXT) | instid1(SALU_CYCLE_1)
	s_and_b64 s[6:7], s[6:7], s[4:5]
	s_mul_i32 s7, s7, 24
	s_mul_hi_u32 s10, s6, 24
	s_mul_i32 s6, s6, 24
	s_add_i32 s10, s10, s7
	v_add_co_u32 v6, vcc_lo, v0, s6
	v_add_co_ci_u32_e32 v7, vcc_lo, s10, v1, vcc_lo
	s_mov_b32 s6, exec_lo
	global_store_b64 v[6:7], v[16:17], off
	s_waitcnt_vscnt null, 0x0
	global_atomic_cmpswap_b64 v[2:3], v8, v[14:17], s[2:3] offset:32 glc
	s_waitcnt vmcnt(0)
	v_cmpx_ne_u64_e64 v[2:3], v[16:17]
	s_cbranch_execz .LBB1_261
; %bb.259:
	s_mov_b32 s7, 0
.LBB1_260:                              ; =>This Inner Loop Header: Depth=1
	v_dual_mov_b32 v0, s4 :: v_dual_mov_b32 v1, s5
	s_sleep 1
	global_store_b64 v[6:7], v[2:3], off
	s_waitcnt_vscnt null, 0x0
	global_atomic_cmpswap_b64 v[0:1], v8, v[0:3], s[2:3] offset:32 glc
	s_waitcnt vmcnt(0)
	v_cmp_eq_u64_e32 vcc_lo, v[0:1], v[2:3]
	v_dual_mov_b32 v3, v1 :: v_dual_mov_b32 v2, v0
	s_or_b32 s7, vcc_lo, s7
	s_delay_alu instid0(SALU_CYCLE_1)
	s_and_not1_b32 exec_lo, exec_lo, s7
	s_cbranch_execnz .LBB1_260
.LBB1_261:
	s_or_b32 exec_lo, exec_lo, s6
	v_mov_b32_e32 v3, 0
	s_mov_b32 s7, exec_lo
	s_mov_b32 s6, exec_lo
	v_mbcnt_lo_u32_b32 v2, s7, 0
	global_load_b64 v[0:1], v3, s[2:3] offset:16
	v_cmpx_eq_u32_e32 0, v2
	s_cbranch_execz .LBB1_263
; %bb.262:
	s_bcnt1_i32_b32 s7, s7
	s_delay_alu instid0(SALU_CYCLE_1)
	v_mov_b32_e32 v2, s7
	s_waitcnt vmcnt(0)
	global_atomic_add_u64 v[0:1], v[2:3], off offset:8
.LBB1_263:
	s_or_b32 exec_lo, exec_lo, s6
	s_waitcnt vmcnt(0)
	global_load_b64 v[2:3], v[0:1], off offset:16
	s_waitcnt vmcnt(0)
	v_cmp_eq_u64_e32 vcc_lo, 0, v[2:3]
	s_cbranch_vccnz .LBB1_265
; %bb.264:
	global_load_b32 v0, v[0:1], off offset:24
	s_waitcnt vmcnt(0)
	v_dual_mov_b32 v1, 0 :: v_dual_and_b32 v6, 0xffffff, v0
	s_waitcnt_vscnt null, 0x0
	global_store_b64 v[2:3], v[0:1], off
	v_readfirstlane_b32 m0, v6
	s_sendmsg sendmsg(MSG_INTERRUPT)
.LBB1_265:
	s_or_b32 exec_lo, exec_lo, s1
	s_branch .LBB1_269
	.p2align	6
.LBB1_266:                              ;   in Loop: Header=BB1_269 Depth=1
	s_or_b32 exec_lo, exec_lo, s1
	s_delay_alu instid0(VALU_DEP_1) | instskip(NEXT) | instid1(VALU_DEP_1)
	v_readfirstlane_b32 s1, v0
	s_cmp_eq_u32 s1, 0
	s_cbranch_scc1 .LBB1_268
; %bb.267:                              ;   in Loop: Header=BB1_269 Depth=1
	s_sleep 1
	s_cbranch_execnz .LBB1_269
	s_branch .LBB1_271
	.p2align	6
.LBB1_268:
	s_branch .LBB1_271
.LBB1_269:                              ; =>This Inner Loop Header: Depth=1
	v_mov_b32_e32 v0, 1
	s_and_saveexec_b32 s1, s0
	s_cbranch_execz .LBB1_266
; %bb.270:                              ;   in Loop: Header=BB1_269 Depth=1
	global_load_b32 v0, v[10:11], off offset:20 glc
	s_waitcnt vmcnt(0)
	buffer_gl1_inv
	buffer_gl0_inv
	v_and_b32_e32 v0, 1, v0
	s_branch .LBB1_266
.LBB1_271:
	global_load_b64 v[0:1], v[12:13], off
	s_and_saveexec_b32 s1, s0
	s_cbranch_execz .LBB1_275
; %bb.272:
	v_mov_b32_e32 v10, 0
	s_clause 0x2
	global_load_b64 v[2:3], v10, s[2:3] offset:40
	global_load_b64 v[11:12], v10, s[2:3] offset:24 glc
	global_load_b64 v[8:9], v10, s[2:3]
	s_waitcnt vmcnt(2)
	v_add_co_u32 v13, vcc_lo, v2, 1
	v_add_co_ci_u32_e32 v14, vcc_lo, 0, v3, vcc_lo
	s_delay_alu instid0(VALU_DEP_2) | instskip(NEXT) | instid1(VALU_DEP_2)
	v_add_co_u32 v6, vcc_lo, v13, s4
	v_add_co_ci_u32_e32 v7, vcc_lo, s5, v14, vcc_lo
	s_delay_alu instid0(VALU_DEP_1) | instskip(SKIP_1) | instid1(VALU_DEP_1)
	v_cmp_eq_u64_e32 vcc_lo, 0, v[6:7]
	v_dual_cndmask_b32 v7, v7, v14 :: v_dual_cndmask_b32 v6, v6, v13
	v_and_b32_e32 v3, v7, v3
	s_delay_alu instid0(VALU_DEP_2) | instskip(NEXT) | instid1(VALU_DEP_2)
	v_and_b32_e32 v2, v6, v2
	v_mul_lo_u32 v3, v3, 24
	s_delay_alu instid0(VALU_DEP_2) | instskip(SKIP_1) | instid1(VALU_DEP_2)
	v_mul_hi_u32 v13, v2, 24
	v_mul_lo_u32 v2, v2, 24
	v_add_nc_u32_e32 v3, v13, v3
	s_waitcnt vmcnt(0)
	s_delay_alu instid0(VALU_DEP_2) | instskip(SKIP_1) | instid1(VALU_DEP_3)
	v_add_co_u32 v2, vcc_lo, v8, v2
	v_mov_b32_e32 v8, v11
	v_add_co_ci_u32_e32 v3, vcc_lo, v9, v3, vcc_lo
	v_mov_b32_e32 v9, v12
	global_store_b64 v[2:3], v[11:12], off
	s_waitcnt_vscnt null, 0x0
	global_atomic_cmpswap_b64 v[8:9], v10, v[6:9], s[2:3] offset:24 glc
	s_waitcnt vmcnt(0)
	v_cmp_ne_u64_e32 vcc_lo, v[8:9], v[11:12]
	s_and_b32 exec_lo, exec_lo, vcc_lo
	s_cbranch_execz .LBB1_275
; %bb.273:
	s_mov_b32 s0, 0
.LBB1_274:                              ; =>This Inner Loop Header: Depth=1
	s_sleep 1
	global_store_b64 v[2:3], v[8:9], off
	s_waitcnt_vscnt null, 0x0
	global_atomic_cmpswap_b64 v[11:12], v10, v[6:9], s[2:3] offset:24 glc
	s_waitcnt vmcnt(0)
	v_cmp_eq_u64_e32 vcc_lo, v[11:12], v[8:9]
	v_dual_mov_b32 v8, v11 :: v_dual_mov_b32 v9, v12
	s_or_b32 s0, vcc_lo, s0
	s_delay_alu instid0(SALU_CYCLE_1)
	s_and_not1_b32 exec_lo, exec_lo, s0
	s_cbranch_execnz .LBB1_274
.LBB1_275:
	s_or_b32 exec_lo, exec_lo, s1
	v_dual_mov_b32 v7, v5 :: v_dual_mov_b32 v6, v4
	s_mov_b32 s0, 0
.LBB1_276:                              ; =>This Inner Loop Header: Depth=1
	flat_load_u8 v8, v[6:7]
	v_add_co_u32 v2, vcc_lo, v6, 1
	v_add_co_ci_u32_e32 v3, vcc_lo, 0, v7, vcc_lo
	s_delay_alu instid0(VALU_DEP_1) | instskip(SKIP_3) | instid1(SALU_CYCLE_1)
	v_dual_mov_b32 v7, v3 :: v_dual_mov_b32 v6, v2
	s_waitcnt vmcnt(0) lgkmcnt(0)
	v_cmp_eq_u16_e32 vcc_lo, 0, v8
	s_or_b32 s0, vcc_lo, s0
	s_and_not1_b32 exec_lo, exec_lo, s0
	s_cbranch_execnz .LBB1_276
; %bb.277:
	s_or_b32 exec_lo, exec_lo, s0
	s_delay_alu instid0(SALU_CYCLE_1)
	s_mov_b32 s0, exec_lo
	v_cmpx_ne_u64_e32 0, v[4:5]
	s_xor_b32 s10, exec_lo, s0
	s_cbranch_execz .LBB1_363
; %bb.278:
	v_sub_nc_u32_e32 v26, v2, v4
	v_dual_mov_b32 v7, 0 :: v_dual_and_b32 v32, 2, v0
	v_dual_mov_b32 v9, 1 :: v_dual_and_b32 v0, -3, v0
	v_mov_b32_e32 v8, 2
	s_delay_alu instid0(VALU_DEP_4)
	v_ashrrev_i32_e32 v27, 31, v26
	s_mov_b32 s12, 0
	s_mov_b32 s11, 0
	s_branch .LBB1_280
.LBB1_279:                              ;   in Loop: Header=BB1_280 Depth=1
	s_or_b32 exec_lo, exec_lo, s1
	v_sub_co_u32 v26, vcc_lo, v26, v28
	v_sub_co_ci_u32_e32 v27, vcc_lo, v27, v29, vcc_lo
	v_add_co_u32 v4, s0, v4, v28
	s_delay_alu instid0(VALU_DEP_1) | instskip(NEXT) | instid1(VALU_DEP_3)
	v_add_co_ci_u32_e64 v5, s0, v5, v29, s0
	v_cmp_eq_u64_e32 vcc_lo, 0, v[26:27]
	s_or_b32 s11, vcc_lo, s11
	s_delay_alu instid0(SALU_CYCLE_1)
	s_and_not1_b32 exec_lo, exec_lo, s11
	s_cbranch_execz .LBB1_362
.LBB1_280:                              ; =>This Loop Header: Depth=1
                                        ;     Child Loop BB1_283 Depth 2
                                        ;     Child Loop BB1_291 Depth 2
	;; [unrolled: 1-line block ×11, first 2 shown]
	s_delay_alu instid0(VALU_DEP_1)
	v_cmp_gt_u64_e32 vcc_lo, 56, v[26:27]
	s_mov_b32 s1, exec_lo
                                        ; implicit-def: $vgpr2_vgpr3
                                        ; implicit-def: $sgpr4
	v_dual_cndmask_b32 v29, 0, v27 :: v_dual_cndmask_b32 v28, 56, v26
	v_cmpx_gt_u64_e32 8, v[26:27]
	s_xor_b32 s1, exec_lo, s1
	s_cbranch_execz .LBB1_286
; %bb.281:                              ;   in Loop: Header=BB1_280 Depth=1
	s_waitcnt vmcnt(0)
	v_mov_b32_e32 v2, 0
	v_mov_b32_e32 v3, 0
	s_mov_b64 s[4:5], 0
	s_mov_b32 s6, exec_lo
	v_cmpx_ne_u64_e32 0, v[26:27]
	s_cbranch_execz .LBB1_285
; %bb.282:                              ;   in Loop: Header=BB1_280 Depth=1
	v_lshlrev_b64 v[10:11], 3, v[28:29]
	v_mov_b32_e32 v2, 0
	v_dual_mov_b32 v3, 0 :: v_dual_mov_b32 v12, v5
	v_mov_b32_e32 v11, v4
	s_mov_b32 s7, 0
	.p2align	6
.LBB1_283:                              ;   Parent Loop BB1_280 Depth=1
                                        ; =>  This Inner Loop Header: Depth=2
	flat_load_u8 v6, v[11:12]
	v_mov_b32_e32 v14, s12
	v_add_co_u32 v11, vcc_lo, v11, 1
	v_add_co_ci_u32_e32 v12, vcc_lo, 0, v12, vcc_lo
	s_waitcnt vmcnt(0) lgkmcnt(0)
	v_and_b32_e32 v13, 0xffff, v6
	s_delay_alu instid0(VALU_DEP_1) | instskip(SKIP_3) | instid1(VALU_DEP_2)
	v_lshlrev_b64 v[13:14], s4, v[13:14]
	s_add_u32 s4, s4, 8
	s_addc_u32 s5, s5, 0
	v_cmp_eq_u32_e64 s0, s4, v10
	v_or_b32_e32 v3, v14, v3
	s_delay_alu instid0(VALU_DEP_3) | instskip(NEXT) | instid1(VALU_DEP_3)
	v_or_b32_e32 v2, v13, v2
	s_or_b32 s7, s0, s7
	s_delay_alu instid0(SALU_CYCLE_1)
	s_and_not1_b32 exec_lo, exec_lo, s7
	s_cbranch_execnz .LBB1_283
; %bb.284:                              ;   in Loop: Header=BB1_280 Depth=1
	s_or_b32 exec_lo, exec_lo, s7
.LBB1_285:                              ;   in Loop: Header=BB1_280 Depth=1
	s_delay_alu instid0(SALU_CYCLE_1)
	s_or_b32 exec_lo, exec_lo, s6
	s_mov_b32 s4, 0
.LBB1_286:                              ;   in Loop: Header=BB1_280 Depth=1
	s_or_saveexec_b32 s0, s1
	v_dual_mov_b32 v6, s4 :: v_dual_mov_b32 v23, v5
	v_mov_b32_e32 v22, v4
	s_xor_b32 exec_lo, exec_lo, s0
	s_cbranch_execz .LBB1_288
; %bb.287:                              ;   in Loop: Header=BB1_280 Depth=1
	s_waitcnt vmcnt(0)
	flat_load_b64 v[2:3], v[4:5]
	v_add_co_u32 v22, vcc_lo, v4, 8
	v_add_co_ci_u32_e32 v23, vcc_lo, 0, v5, vcc_lo
	s_waitcnt vmcnt(0) lgkmcnt(0)
	v_and_b32_e32 v6, 0xff, v3
	v_and_b32_e32 v10, 0xff00, v3
	;; [unrolled: 1-line block ×4, first 2 shown]
	v_or3_b32 v2, v2, 0, 0
	s_delay_alu instid0(VALU_DEP_4) | instskip(SKIP_1) | instid1(VALU_DEP_2)
	v_or_b32_e32 v10, v6, v10
	v_add_nc_u32_e32 v6, -8, v28
	v_or3_b32 v3, v10, v11, v3
.LBB1_288:                              ;   in Loop: Header=BB1_280 Depth=1
	s_or_b32 exec_lo, exec_lo, s0
                                        ; implicit-def: $vgpr10_vgpr11
                                        ; implicit-def: $sgpr1
	s_delay_alu instid0(SALU_CYCLE_1) | instskip(NEXT) | instid1(VALU_DEP_2)
	s_mov_b32 s0, exec_lo
	v_cmpx_gt_u32_e32 8, v6
	s_xor_b32 s6, exec_lo, s0
	s_cbranch_execz .LBB1_294
; %bb.289:                              ;   in Loop: Header=BB1_280 Depth=1
	v_mov_b32_e32 v10, 0
	v_mov_b32_e32 v11, 0
	s_mov_b32 s7, exec_lo
	v_cmpx_ne_u32_e32 0, v6
	s_cbranch_execz .LBB1_293
; %bb.290:                              ;   in Loop: Header=BB1_280 Depth=1
	v_mov_b32_e32 v10, 0
	v_mov_b32_e32 v11, 0
	s_mov_b64 s[0:1], 0
	s_mov_b32 s13, 0
	s_mov_b64 s[4:5], 0
	.p2align	6
.LBB1_291:                              ;   Parent Loop BB1_280 Depth=1
                                        ; =>  This Inner Loop Header: Depth=2
	s_delay_alu instid0(SALU_CYCLE_1)
	v_add_co_u32 v12, vcc_lo, v22, s4
	v_add_co_ci_u32_e32 v13, vcc_lo, s5, v23, vcc_lo
	s_add_u32 s4, s4, 1
	s_addc_u32 s5, s5, 0
	v_cmp_eq_u32_e32 vcc_lo, s4, v6
	flat_load_u8 v12, v[12:13]
	s_waitcnt vmcnt(0) lgkmcnt(0)
	v_dual_mov_b32 v13, s12 :: v_dual_and_b32 v12, 0xffff, v12
	s_delay_alu instid0(VALU_DEP_1) | instskip(SKIP_3) | instid1(VALU_DEP_1)
	v_lshlrev_b64 v[12:13], s0, v[12:13]
	s_add_u32 s0, s0, 8
	s_addc_u32 s1, s1, 0
	s_or_b32 s13, vcc_lo, s13
	v_or_b32_e32 v11, v13, v11
	s_delay_alu instid0(VALU_DEP_2)
	v_or_b32_e32 v10, v12, v10
	s_and_not1_b32 exec_lo, exec_lo, s13
	s_cbranch_execnz .LBB1_291
; %bb.292:                              ;   in Loop: Header=BB1_280 Depth=1
	s_or_b32 exec_lo, exec_lo, s13
.LBB1_293:                              ;   in Loop: Header=BB1_280 Depth=1
	s_delay_alu instid0(SALU_CYCLE_1)
	s_or_b32 exec_lo, exec_lo, s7
	s_mov_b32 s1, 0
                                        ; implicit-def: $vgpr6
.LBB1_294:                              ;   in Loop: Header=BB1_280 Depth=1
	s_or_saveexec_b32 s0, s6
	v_mov_b32_e32 v14, s1
	s_xor_b32 exec_lo, exec_lo, s0
	s_cbranch_execz .LBB1_296
; %bb.295:                              ;   in Loop: Header=BB1_280 Depth=1
	flat_load_b64 v[10:11], v[22:23]
	v_add_co_u32 v22, vcc_lo, v22, 8
	v_add_nc_u32_e32 v14, -8, v6
	v_add_co_ci_u32_e32 v23, vcc_lo, 0, v23, vcc_lo
	s_waitcnt vmcnt(0) lgkmcnt(0)
	v_and_b32_e32 v12, 0xff, v11
	v_and_b32_e32 v13, 0xff00, v11
	;; [unrolled: 1-line block ×4, first 2 shown]
	v_or3_b32 v10, v10, 0, 0
	s_delay_alu instid0(VALU_DEP_4) | instskip(NEXT) | instid1(VALU_DEP_1)
	v_or_b32_e32 v12, v12, v13
	v_or3_b32 v11, v12, v15, v11
.LBB1_296:                              ;   in Loop: Header=BB1_280 Depth=1
	s_or_b32 exec_lo, exec_lo, s0
                                        ; implicit-def: $sgpr1
	s_delay_alu instid0(SALU_CYCLE_1)
	s_mov_b32 s0, exec_lo
	v_cmpx_gt_u32_e32 8, v14
	s_xor_b32 s6, exec_lo, s0
	s_cbranch_execz .LBB1_302
; %bb.297:                              ;   in Loop: Header=BB1_280 Depth=1
	v_mov_b32_e32 v12, 0
	v_mov_b32_e32 v13, 0
	s_mov_b32 s7, exec_lo
	v_cmpx_ne_u32_e32 0, v14
	s_cbranch_execz .LBB1_301
; %bb.298:                              ;   in Loop: Header=BB1_280 Depth=1
	v_mov_b32_e32 v12, 0
	v_mov_b32_e32 v13, 0
	s_mov_b64 s[0:1], 0
	s_mov_b32 s13, 0
	s_mov_b64 s[4:5], 0
	.p2align	6
.LBB1_299:                              ;   Parent Loop BB1_280 Depth=1
                                        ; =>  This Inner Loop Header: Depth=2
	s_delay_alu instid0(SALU_CYCLE_1)
	v_add_co_u32 v15, vcc_lo, v22, s4
	v_add_co_ci_u32_e32 v16, vcc_lo, s5, v23, vcc_lo
	s_add_u32 s4, s4, 1
	s_addc_u32 s5, s5, 0
	v_cmp_eq_u32_e32 vcc_lo, s4, v14
	flat_load_u8 v6, v[15:16]
	s_waitcnt vmcnt(0) lgkmcnt(0)
	v_dual_mov_b32 v16, s12 :: v_dual_and_b32 v15, 0xffff, v6
	s_delay_alu instid0(VALU_DEP_1) | instskip(SKIP_3) | instid1(VALU_DEP_1)
	v_lshlrev_b64 v[15:16], s0, v[15:16]
	s_add_u32 s0, s0, 8
	s_addc_u32 s1, s1, 0
	s_or_b32 s13, vcc_lo, s13
	v_or_b32_e32 v13, v16, v13
	s_delay_alu instid0(VALU_DEP_2)
	v_or_b32_e32 v12, v15, v12
	s_and_not1_b32 exec_lo, exec_lo, s13
	s_cbranch_execnz .LBB1_299
; %bb.300:                              ;   in Loop: Header=BB1_280 Depth=1
	s_or_b32 exec_lo, exec_lo, s13
.LBB1_301:                              ;   in Loop: Header=BB1_280 Depth=1
	s_delay_alu instid0(SALU_CYCLE_1)
	s_or_b32 exec_lo, exec_lo, s7
	s_mov_b32 s1, 0
                                        ; implicit-def: $vgpr14
.LBB1_302:                              ;   in Loop: Header=BB1_280 Depth=1
	s_or_saveexec_b32 s0, s6
	v_mov_b32_e32 v6, s1
	s_xor_b32 exec_lo, exec_lo, s0
	s_cbranch_execz .LBB1_304
; %bb.303:                              ;   in Loop: Header=BB1_280 Depth=1
	flat_load_b64 v[12:13], v[22:23]
	v_add_co_u32 v22, vcc_lo, v22, 8
	v_add_co_ci_u32_e32 v23, vcc_lo, 0, v23, vcc_lo
	s_waitcnt vmcnt(0) lgkmcnt(0)
	v_and_b32_e32 v6, 0xff, v13
	v_and_b32_e32 v15, 0xff00, v13
	;; [unrolled: 1-line block ×4, first 2 shown]
	v_or3_b32 v12, v12, 0, 0
	s_delay_alu instid0(VALU_DEP_4) | instskip(SKIP_1) | instid1(VALU_DEP_2)
	v_or_b32_e32 v15, v6, v15
	v_add_nc_u32_e32 v6, -8, v14
	v_or3_b32 v13, v15, v16, v13
.LBB1_304:                              ;   in Loop: Header=BB1_280 Depth=1
	s_or_b32 exec_lo, exec_lo, s0
                                        ; implicit-def: $vgpr14_vgpr15
                                        ; implicit-def: $sgpr1
	s_delay_alu instid0(SALU_CYCLE_1) | instskip(NEXT) | instid1(VALU_DEP_1)
	s_mov_b32 s0, exec_lo
	v_cmpx_gt_u32_e32 8, v6
	s_xor_b32 s6, exec_lo, s0
	s_cbranch_execz .LBB1_310
; %bb.305:                              ;   in Loop: Header=BB1_280 Depth=1
	v_mov_b32_e32 v14, 0
	v_mov_b32_e32 v15, 0
	s_mov_b32 s7, exec_lo
	v_cmpx_ne_u32_e32 0, v6
	s_cbranch_execz .LBB1_309
; %bb.306:                              ;   in Loop: Header=BB1_280 Depth=1
	v_mov_b32_e32 v14, 0
	v_mov_b32_e32 v15, 0
	s_mov_b64 s[0:1], 0
	s_mov_b32 s13, 0
	s_mov_b64 s[4:5], 0
	.p2align	6
.LBB1_307:                              ;   Parent Loop BB1_280 Depth=1
                                        ; =>  This Inner Loop Header: Depth=2
	s_delay_alu instid0(SALU_CYCLE_1)
	v_add_co_u32 v16, vcc_lo, v22, s4
	v_add_co_ci_u32_e32 v17, vcc_lo, s5, v23, vcc_lo
	s_add_u32 s4, s4, 1
	s_addc_u32 s5, s5, 0
	v_cmp_eq_u32_e32 vcc_lo, s4, v6
	flat_load_u8 v16, v[16:17]
	s_waitcnt vmcnt(0) lgkmcnt(0)
	v_dual_mov_b32 v17, s12 :: v_dual_and_b32 v16, 0xffff, v16
	s_delay_alu instid0(VALU_DEP_1) | instskip(SKIP_3) | instid1(VALU_DEP_1)
	v_lshlrev_b64 v[16:17], s0, v[16:17]
	s_add_u32 s0, s0, 8
	s_addc_u32 s1, s1, 0
	s_or_b32 s13, vcc_lo, s13
	v_or_b32_e32 v15, v17, v15
	s_delay_alu instid0(VALU_DEP_2)
	v_or_b32_e32 v14, v16, v14
	s_and_not1_b32 exec_lo, exec_lo, s13
	s_cbranch_execnz .LBB1_307
; %bb.308:                              ;   in Loop: Header=BB1_280 Depth=1
	s_or_b32 exec_lo, exec_lo, s13
.LBB1_309:                              ;   in Loop: Header=BB1_280 Depth=1
	s_delay_alu instid0(SALU_CYCLE_1)
	s_or_b32 exec_lo, exec_lo, s7
	s_mov_b32 s1, 0
                                        ; implicit-def: $vgpr6
.LBB1_310:                              ;   in Loop: Header=BB1_280 Depth=1
	s_or_saveexec_b32 s0, s6
	v_mov_b32_e32 v18, s1
	s_xor_b32 exec_lo, exec_lo, s0
	s_cbranch_execz .LBB1_312
; %bb.311:                              ;   in Loop: Header=BB1_280 Depth=1
	flat_load_b64 v[14:15], v[22:23]
	v_add_co_u32 v22, vcc_lo, v22, 8
	v_add_nc_u32_e32 v18, -8, v6
	v_add_co_ci_u32_e32 v23, vcc_lo, 0, v23, vcc_lo
	s_waitcnt vmcnt(0) lgkmcnt(0)
	v_and_b32_e32 v16, 0xff, v15
	v_and_b32_e32 v17, 0xff00, v15
	;; [unrolled: 1-line block ×4, first 2 shown]
	v_or3_b32 v14, v14, 0, 0
	s_delay_alu instid0(VALU_DEP_4) | instskip(NEXT) | instid1(VALU_DEP_1)
	v_or_b32_e32 v16, v16, v17
	v_or3_b32 v15, v16, v19, v15
.LBB1_312:                              ;   in Loop: Header=BB1_280 Depth=1
	s_or_b32 exec_lo, exec_lo, s0
                                        ; implicit-def: $sgpr1
	s_delay_alu instid0(SALU_CYCLE_1)
	s_mov_b32 s0, exec_lo
	v_cmpx_gt_u32_e32 8, v18
	s_xor_b32 s6, exec_lo, s0
	s_cbranch_execz .LBB1_318
; %bb.313:                              ;   in Loop: Header=BB1_280 Depth=1
	v_mov_b32_e32 v16, 0
	v_mov_b32_e32 v17, 0
	s_mov_b32 s7, exec_lo
	v_cmpx_ne_u32_e32 0, v18
	s_cbranch_execz .LBB1_317
; %bb.314:                              ;   in Loop: Header=BB1_280 Depth=1
	v_mov_b32_e32 v16, 0
	v_mov_b32_e32 v17, 0
	s_mov_b64 s[0:1], 0
	s_mov_b32 s13, 0
	s_mov_b64 s[4:5], 0
	.p2align	6
.LBB1_315:                              ;   Parent Loop BB1_280 Depth=1
                                        ; =>  This Inner Loop Header: Depth=2
	s_delay_alu instid0(SALU_CYCLE_1)
	v_add_co_u32 v19, vcc_lo, v22, s4
	v_add_co_ci_u32_e32 v20, vcc_lo, s5, v23, vcc_lo
	s_add_u32 s4, s4, 1
	s_addc_u32 s5, s5, 0
	v_cmp_eq_u32_e32 vcc_lo, s4, v18
	flat_load_u8 v6, v[19:20]
	s_waitcnt vmcnt(0) lgkmcnt(0)
	v_dual_mov_b32 v20, s12 :: v_dual_and_b32 v19, 0xffff, v6
	s_delay_alu instid0(VALU_DEP_1) | instskip(SKIP_3) | instid1(VALU_DEP_1)
	v_lshlrev_b64 v[19:20], s0, v[19:20]
	s_add_u32 s0, s0, 8
	s_addc_u32 s1, s1, 0
	s_or_b32 s13, vcc_lo, s13
	v_or_b32_e32 v17, v20, v17
	s_delay_alu instid0(VALU_DEP_2)
	v_or_b32_e32 v16, v19, v16
	s_and_not1_b32 exec_lo, exec_lo, s13
	s_cbranch_execnz .LBB1_315
; %bb.316:                              ;   in Loop: Header=BB1_280 Depth=1
	s_or_b32 exec_lo, exec_lo, s13
.LBB1_317:                              ;   in Loop: Header=BB1_280 Depth=1
	s_delay_alu instid0(SALU_CYCLE_1)
	s_or_b32 exec_lo, exec_lo, s7
	s_mov_b32 s1, 0
                                        ; implicit-def: $vgpr18
.LBB1_318:                              ;   in Loop: Header=BB1_280 Depth=1
	s_or_saveexec_b32 s0, s6
	v_mov_b32_e32 v6, s1
	s_xor_b32 exec_lo, exec_lo, s0
	s_cbranch_execz .LBB1_320
; %bb.319:                              ;   in Loop: Header=BB1_280 Depth=1
	flat_load_b64 v[16:17], v[22:23]
	v_add_co_u32 v22, vcc_lo, v22, 8
	v_add_co_ci_u32_e32 v23, vcc_lo, 0, v23, vcc_lo
	s_waitcnt vmcnt(0) lgkmcnt(0)
	v_and_b32_e32 v6, 0xff, v17
	v_and_b32_e32 v19, 0xff00, v17
	v_and_b32_e32 v20, 0xff0000, v17
	v_and_b32_e32 v17, 0xff000000, v17
	v_or3_b32 v16, v16, 0, 0
	s_delay_alu instid0(VALU_DEP_4) | instskip(SKIP_1) | instid1(VALU_DEP_2)
	v_or_b32_e32 v19, v6, v19
	v_add_nc_u32_e32 v6, -8, v18
	v_or3_b32 v17, v19, v20, v17
.LBB1_320:                              ;   in Loop: Header=BB1_280 Depth=1
	s_or_b32 exec_lo, exec_lo, s0
                                        ; implicit-def: $vgpr18_vgpr19
                                        ; implicit-def: $sgpr1
	s_delay_alu instid0(SALU_CYCLE_1) | instskip(NEXT) | instid1(VALU_DEP_1)
	s_mov_b32 s0, exec_lo
	v_cmpx_gt_u32_e32 8, v6
	s_xor_b32 s6, exec_lo, s0
	s_cbranch_execz .LBB1_326
; %bb.321:                              ;   in Loop: Header=BB1_280 Depth=1
	v_mov_b32_e32 v18, 0
	v_mov_b32_e32 v19, 0
	s_mov_b32 s7, exec_lo
	v_cmpx_ne_u32_e32 0, v6
	s_cbranch_execz .LBB1_325
; %bb.322:                              ;   in Loop: Header=BB1_280 Depth=1
	v_mov_b32_e32 v18, 0
	v_mov_b32_e32 v19, 0
	s_mov_b64 s[0:1], 0
	s_mov_b32 s13, 0
	s_mov_b64 s[4:5], 0
	.p2align	6
.LBB1_323:                              ;   Parent Loop BB1_280 Depth=1
                                        ; =>  This Inner Loop Header: Depth=2
	s_delay_alu instid0(SALU_CYCLE_1)
	v_add_co_u32 v20, vcc_lo, v22, s4
	v_add_co_ci_u32_e32 v21, vcc_lo, s5, v23, vcc_lo
	s_add_u32 s4, s4, 1
	s_addc_u32 s5, s5, 0
	v_cmp_eq_u32_e32 vcc_lo, s4, v6
	flat_load_u8 v20, v[20:21]
	s_waitcnt vmcnt(0) lgkmcnt(0)
	v_dual_mov_b32 v21, s12 :: v_dual_and_b32 v20, 0xffff, v20
	s_delay_alu instid0(VALU_DEP_1) | instskip(SKIP_3) | instid1(VALU_DEP_1)
	v_lshlrev_b64 v[20:21], s0, v[20:21]
	s_add_u32 s0, s0, 8
	s_addc_u32 s1, s1, 0
	s_or_b32 s13, vcc_lo, s13
	v_or_b32_e32 v19, v21, v19
	s_delay_alu instid0(VALU_DEP_2)
	v_or_b32_e32 v18, v20, v18
	s_and_not1_b32 exec_lo, exec_lo, s13
	s_cbranch_execnz .LBB1_323
; %bb.324:                              ;   in Loop: Header=BB1_280 Depth=1
	s_or_b32 exec_lo, exec_lo, s13
.LBB1_325:                              ;   in Loop: Header=BB1_280 Depth=1
	s_delay_alu instid0(SALU_CYCLE_1)
	s_or_b32 exec_lo, exec_lo, s7
	s_mov_b32 s1, 0
                                        ; implicit-def: $vgpr6
.LBB1_326:                              ;   in Loop: Header=BB1_280 Depth=1
	s_or_saveexec_b32 s0, s6
	v_mov_b32_e32 v24, s1
	s_xor_b32 exec_lo, exec_lo, s0
	s_cbranch_execz .LBB1_328
; %bb.327:                              ;   in Loop: Header=BB1_280 Depth=1
	flat_load_b64 v[18:19], v[22:23]
	v_add_co_u32 v22, vcc_lo, v22, 8
	v_add_nc_u32_e32 v24, -8, v6
	v_add_co_ci_u32_e32 v23, vcc_lo, 0, v23, vcc_lo
	s_waitcnt vmcnt(0) lgkmcnt(0)
	v_and_b32_e32 v20, 0xff, v19
	v_and_b32_e32 v21, 0xff00, v19
	;; [unrolled: 1-line block ×4, first 2 shown]
	v_or3_b32 v18, v18, 0, 0
	s_delay_alu instid0(VALU_DEP_4) | instskip(NEXT) | instid1(VALU_DEP_1)
	v_or_b32_e32 v20, v20, v21
	v_or3_b32 v19, v20, v25, v19
.LBB1_328:                              ;   in Loop: Header=BB1_280 Depth=1
	s_or_b32 exec_lo, exec_lo, s0
	s_delay_alu instid0(SALU_CYCLE_1)
	s_mov_b32 s0, exec_lo
	v_cmpx_gt_u32_e32 8, v24
	s_xor_b32 s4, exec_lo, s0
	s_cbranch_execz .LBB1_334
; %bb.329:                              ;   in Loop: Header=BB1_280 Depth=1
	v_mov_b32_e32 v20, 0
	v_mov_b32_e32 v21, 0
	s_mov_b32 s5, exec_lo
	v_cmpx_ne_u32_e32 0, v24
	s_cbranch_execz .LBB1_333
; %bb.330:                              ;   in Loop: Header=BB1_280 Depth=1
	v_mov_b32_e32 v20, 0
	v_mov_b32_e32 v21, 0
	s_mov_b64 s[0:1], 0
	s_mov_b32 s6, 0
	.p2align	6
.LBB1_331:                              ;   Parent Loop BB1_280 Depth=1
                                        ; =>  This Inner Loop Header: Depth=2
	flat_load_u8 v6, v[22:23]
	v_dual_mov_b32 v31, s12 :: v_dual_add_nc_u32 v24, -1, v24
	v_add_co_u32 v22, vcc_lo, v22, 1
	v_add_co_ci_u32_e32 v23, vcc_lo, 0, v23, vcc_lo
	s_delay_alu instid0(VALU_DEP_3) | instskip(SKIP_2) | instid1(VALU_DEP_1)
	v_cmp_eq_u32_e32 vcc_lo, 0, v24
	s_waitcnt vmcnt(0) lgkmcnt(0)
	v_and_b32_e32 v30, 0xffff, v6
	v_lshlrev_b64 v[30:31], s0, v[30:31]
	s_add_u32 s0, s0, 8
	s_addc_u32 s1, s1, 0
	s_or_b32 s6, vcc_lo, s6
	s_delay_alu instid0(VALU_DEP_1) | instskip(NEXT) | instid1(VALU_DEP_2)
	v_or_b32_e32 v21, v31, v21
	v_or_b32_e32 v20, v30, v20
	s_and_not1_b32 exec_lo, exec_lo, s6
	s_cbranch_execnz .LBB1_331
; %bb.332:                              ;   in Loop: Header=BB1_280 Depth=1
	s_or_b32 exec_lo, exec_lo, s6
.LBB1_333:                              ;   in Loop: Header=BB1_280 Depth=1
	s_delay_alu instid0(SALU_CYCLE_1)
	s_or_b32 exec_lo, exec_lo, s5
                                        ; implicit-def: $vgpr22_vgpr23
.LBB1_334:                              ;   in Loop: Header=BB1_280 Depth=1
	s_and_not1_saveexec_b32 s0, s4
	s_cbranch_execz .LBB1_336
; %bb.335:                              ;   in Loop: Header=BB1_280 Depth=1
	flat_load_b64 v[20:21], v[22:23]
	s_waitcnt vmcnt(0) lgkmcnt(0)
	v_and_b32_e32 v6, 0xff, v21
	v_and_b32_e32 v22, 0xff00, v21
	;; [unrolled: 1-line block ×4, first 2 shown]
	v_or3_b32 v20, v20, 0, 0
	s_delay_alu instid0(VALU_DEP_4) | instskip(NEXT) | instid1(VALU_DEP_1)
	v_or_b32_e32 v6, v6, v22
	v_or3_b32 v21, v6, v23, v21
.LBB1_336:                              ;   in Loop: Header=BB1_280 Depth=1
	s_or_b32 exec_lo, exec_lo, s0
	v_readfirstlane_b32 s0, v35
	v_mov_b32_e32 v30, 0
	v_mov_b32_e32 v31, 0
	s_delay_alu instid0(VALU_DEP_3) | instskip(NEXT) | instid1(VALU_DEP_1)
	v_cmp_eq_u32_e64 s0, s0, v35
	s_and_saveexec_b32 s1, s0
	s_cbranch_execz .LBB1_342
; %bb.337:                              ;   in Loop: Header=BB1_280 Depth=1
	global_load_b64 v[24:25], v7, s[2:3] offset:24 glc
	s_waitcnt vmcnt(0)
	buffer_gl1_inv
	buffer_gl0_inv
	s_clause 0x1
	global_load_b64 v[22:23], v7, s[2:3] offset:40
	global_load_b64 v[30:31], v7, s[2:3]
	s_mov_b32 s4, exec_lo
	s_waitcnt vmcnt(1)
	v_and_b32_e32 v6, v23, v25
	v_and_b32_e32 v22, v22, v24
	s_delay_alu instid0(VALU_DEP_2) | instskip(NEXT) | instid1(VALU_DEP_2)
	v_mul_lo_u32 v6, v6, 24
	v_mul_hi_u32 v23, v22, 24
	v_mul_lo_u32 v22, v22, 24
	s_delay_alu instid0(VALU_DEP_2) | instskip(SKIP_1) | instid1(VALU_DEP_2)
	v_add_nc_u32_e32 v6, v23, v6
	s_waitcnt vmcnt(0)
	v_add_co_u32 v22, vcc_lo, v30, v22
	s_delay_alu instid0(VALU_DEP_2)
	v_add_co_ci_u32_e32 v23, vcc_lo, v31, v6, vcc_lo
	global_load_b64 v[22:23], v[22:23], off glc
	s_waitcnt vmcnt(0)
	global_atomic_cmpswap_b64 v[30:31], v7, v[22:25], s[2:3] offset:24 glc
	s_waitcnt vmcnt(0)
	buffer_gl1_inv
	buffer_gl0_inv
	v_cmpx_ne_u64_e64 v[30:31], v[24:25]
	s_cbranch_execz .LBB1_341
; %bb.338:                              ;   in Loop: Header=BB1_280 Depth=1
	s_mov_b32 s5, 0
	.p2align	6
.LBB1_339:                              ;   Parent Loop BB1_280 Depth=1
                                        ; =>  This Inner Loop Header: Depth=2
	s_sleep 1
	s_clause 0x1
	global_load_b64 v[22:23], v7, s[2:3] offset:40
	global_load_b64 v[36:37], v7, s[2:3]
	v_dual_mov_b32 v24, v30 :: v_dual_mov_b32 v25, v31
	s_waitcnt vmcnt(1)
	s_delay_alu instid0(VALU_DEP_1) | instskip(NEXT) | instid1(VALU_DEP_2)
	v_and_b32_e32 v6, v22, v24
	v_and_b32_e32 v33, v23, v25
	s_waitcnt vmcnt(0)
	s_delay_alu instid0(VALU_DEP_2) | instskip(NEXT) | instid1(VALU_DEP_1)
	v_mad_u64_u32 v[30:31], null, v6, 24, v[36:37]
	v_mov_b32_e32 v6, v31
	s_delay_alu instid0(VALU_DEP_1) | instskip(NEXT) | instid1(VALU_DEP_1)
	v_mad_u64_u32 v[22:23], null, v33, 24, v[6:7]
	v_mov_b32_e32 v31, v22
	global_load_b64 v[22:23], v[30:31], off glc
	s_waitcnt vmcnt(0)
	global_atomic_cmpswap_b64 v[30:31], v7, v[22:25], s[2:3] offset:24 glc
	s_waitcnt vmcnt(0)
	buffer_gl1_inv
	buffer_gl0_inv
	v_cmp_eq_u64_e32 vcc_lo, v[30:31], v[24:25]
	s_or_b32 s5, vcc_lo, s5
	s_delay_alu instid0(SALU_CYCLE_1)
	s_and_not1_b32 exec_lo, exec_lo, s5
	s_cbranch_execnz .LBB1_339
; %bb.340:                              ;   in Loop: Header=BB1_280 Depth=1
	s_or_b32 exec_lo, exec_lo, s5
.LBB1_341:                              ;   in Loop: Header=BB1_280 Depth=1
	s_delay_alu instid0(SALU_CYCLE_1)
	s_or_b32 exec_lo, exec_lo, s4
.LBB1_342:                              ;   in Loop: Header=BB1_280 Depth=1
	s_delay_alu instid0(SALU_CYCLE_1)
	s_or_b32 exec_lo, exec_lo, s1
	s_clause 0x1
	global_load_b64 v[36:37], v7, s[2:3] offset:40
	global_load_b128 v[22:25], v7, s[2:3]
	v_readfirstlane_b32 s4, v30
	v_readfirstlane_b32 s5, v31
	s_mov_b32 s1, exec_lo
	s_waitcnt vmcnt(1)
	v_readfirstlane_b32 s6, v36
	v_readfirstlane_b32 s7, v37
	s_delay_alu instid0(VALU_DEP_1) | instskip(NEXT) | instid1(SALU_CYCLE_1)
	s_and_b64 s[6:7], s[4:5], s[6:7]
	s_mul_i32 s13, s7, 24
	s_mul_hi_u32 s14, s6, 24
	s_mul_i32 s15, s6, 24
	s_add_i32 s14, s14, s13
	s_waitcnt vmcnt(0)
	v_add_co_u32 v30, vcc_lo, v22, s15
	v_add_co_ci_u32_e32 v31, vcc_lo, s14, v23, vcc_lo
	s_and_saveexec_b32 s13, s0
	s_cbranch_execz .LBB1_344
; %bb.343:                              ;   in Loop: Header=BB1_280 Depth=1
	v_mov_b32_e32 v6, s1
	global_store_b128 v[30:31], v[6:9], off offset:8
.LBB1_344:                              ;   in Loop: Header=BB1_280 Depth=1
	s_or_b32 exec_lo, exec_lo, s13
	v_cmp_lt_u64_e32 vcc_lo, 56, v[26:27]
	v_or_b32_e32 v6, 0, v1
	v_or_b32_e32 v33, v0, v32
	v_lshl_add_u32 v36, v28, 2, 28
	s_lshl_b64 s[6:7], s[6:7], 12
	s_delay_alu instid0(SALU_CYCLE_1) | instskip(NEXT) | instid1(VALU_DEP_1)
	v_add_co_u32 v24, s1, v24, s6
	v_add_co_ci_u32_e64 v25, s1, s7, v25, s1
	v_dual_cndmask_b32 v1, v6, v1 :: v_dual_cndmask_b32 v0, v33, v0
	v_and_b32_e32 v6, 0x1e0, v36
	s_delay_alu instid0(VALU_DEP_4) | instskip(NEXT) | instid1(VALU_DEP_4)
	v_readfirstlane_b32 s6, v24
	v_readfirstlane_b32 s7, v25
	s_delay_alu instid0(VALU_DEP_3)
	v_and_or_b32 v0, 0xffffff1f, v0, v6
	s_clause 0x3
	global_store_b128 v34, v[0:3], s[6:7]
	global_store_b128 v34, v[10:13], s[6:7] offset:16
	global_store_b128 v34, v[14:17], s[6:7] offset:32
	;; [unrolled: 1-line block ×3, first 2 shown]
	s_and_saveexec_b32 s1, s0
	s_cbranch_execz .LBB1_352
; %bb.345:                              ;   in Loop: Header=BB1_280 Depth=1
	s_clause 0x1
	global_load_b64 v[14:15], v7, s[2:3] offset:32 glc
	global_load_b64 v[0:1], v7, s[2:3] offset:40
	v_dual_mov_b32 v12, s4 :: v_dual_mov_b32 v13, s5
	s_waitcnt vmcnt(0)
	v_readfirstlane_b32 s6, v0
	v_readfirstlane_b32 s7, v1
	s_delay_alu instid0(VALU_DEP_1) | instskip(NEXT) | instid1(SALU_CYCLE_1)
	s_and_b64 s[6:7], s[6:7], s[4:5]
	s_mul_i32 s7, s7, 24
	s_mul_hi_u32 s13, s6, 24
	s_mul_i32 s6, s6, 24
	s_add_i32 s13, s13, s7
	v_add_co_u32 v10, vcc_lo, v22, s6
	v_add_co_ci_u32_e32 v11, vcc_lo, s13, v23, vcc_lo
	s_mov_b32 s6, exec_lo
	global_store_b64 v[10:11], v[14:15], off
	s_waitcnt_vscnt null, 0x0
	global_atomic_cmpswap_b64 v[2:3], v7, v[12:15], s[2:3] offset:32 glc
	s_waitcnt vmcnt(0)
	v_cmpx_ne_u64_e64 v[2:3], v[14:15]
	s_cbranch_execz .LBB1_348
; %bb.346:                              ;   in Loop: Header=BB1_280 Depth=1
	s_mov_b32 s7, 0
.LBB1_347:                              ;   Parent Loop BB1_280 Depth=1
                                        ; =>  This Inner Loop Header: Depth=2
	v_dual_mov_b32 v0, s4 :: v_dual_mov_b32 v1, s5
	s_sleep 1
	global_store_b64 v[10:11], v[2:3], off
	s_waitcnt_vscnt null, 0x0
	global_atomic_cmpswap_b64 v[0:1], v7, v[0:3], s[2:3] offset:32 glc
	s_waitcnt vmcnt(0)
	v_cmp_eq_u64_e32 vcc_lo, v[0:1], v[2:3]
	v_dual_mov_b32 v3, v1 :: v_dual_mov_b32 v2, v0
	s_or_b32 s7, vcc_lo, s7
	s_delay_alu instid0(SALU_CYCLE_1)
	s_and_not1_b32 exec_lo, exec_lo, s7
	s_cbranch_execnz .LBB1_347
.LBB1_348:                              ;   in Loop: Header=BB1_280 Depth=1
	s_or_b32 exec_lo, exec_lo, s6
	global_load_b64 v[0:1], v7, s[2:3] offset:16
	s_mov_b32 s7, exec_lo
	s_mov_b32 s6, exec_lo
	v_mbcnt_lo_u32_b32 v2, s7, 0
	s_delay_alu instid0(VALU_DEP_1)
	v_cmpx_eq_u32_e32 0, v2
	s_cbranch_execz .LBB1_350
; %bb.349:                              ;   in Loop: Header=BB1_280 Depth=1
	s_bcnt1_i32_b32 s7, s7
	s_delay_alu instid0(SALU_CYCLE_1)
	v_mov_b32_e32 v6, s7
	s_waitcnt vmcnt(0)
	global_atomic_add_u64 v[0:1], v[6:7], off offset:8
.LBB1_350:                              ;   in Loop: Header=BB1_280 Depth=1
	s_or_b32 exec_lo, exec_lo, s6
	s_waitcnt vmcnt(0)
	global_load_b64 v[2:3], v[0:1], off offset:16
	s_waitcnt vmcnt(0)
	v_cmp_eq_u64_e32 vcc_lo, 0, v[2:3]
	s_cbranch_vccnz .LBB1_352
; %bb.351:                              ;   in Loop: Header=BB1_280 Depth=1
	global_load_b32 v6, v[0:1], off offset:24
	s_waitcnt vmcnt(0)
	v_and_b32_e32 v0, 0xffffff, v6
	s_waitcnt_vscnt null, 0x0
	global_store_b64 v[2:3], v[6:7], off
	v_readfirstlane_b32 m0, v0
	s_sendmsg sendmsg(MSG_INTERRUPT)
.LBB1_352:                              ;   in Loop: Header=BB1_280 Depth=1
	s_or_b32 exec_lo, exec_lo, s1
	v_add_co_u32 v0, vcc_lo, v24, v34
	v_add_co_ci_u32_e32 v1, vcc_lo, 0, v25, vcc_lo
	s_branch .LBB1_356
	.p2align	6
.LBB1_353:                              ;   in Loop: Header=BB1_356 Depth=2
	s_or_b32 exec_lo, exec_lo, s1
	s_delay_alu instid0(VALU_DEP_1) | instskip(NEXT) | instid1(VALU_DEP_1)
	v_readfirstlane_b32 s1, v2
	s_cmp_eq_u32 s1, 0
	s_cbranch_scc1 .LBB1_355
; %bb.354:                              ;   in Loop: Header=BB1_356 Depth=2
	s_sleep 1
	s_cbranch_execnz .LBB1_356
	s_branch .LBB1_358
	.p2align	6
.LBB1_355:                              ;   in Loop: Header=BB1_280 Depth=1
	s_branch .LBB1_358
.LBB1_356:                              ;   Parent Loop BB1_280 Depth=1
                                        ; =>  This Inner Loop Header: Depth=2
	v_mov_b32_e32 v2, 1
	s_and_saveexec_b32 s1, s0
	s_cbranch_execz .LBB1_353
; %bb.357:                              ;   in Loop: Header=BB1_356 Depth=2
	global_load_b32 v2, v[30:31], off offset:20 glc
	s_waitcnt vmcnt(0)
	buffer_gl1_inv
	buffer_gl0_inv
	v_and_b32_e32 v2, 1, v2
	s_branch .LBB1_353
.LBB1_358:                              ;   in Loop: Header=BB1_280 Depth=1
	global_load_b128 v[0:3], v[0:1], off
	s_and_saveexec_b32 s1, s0
	s_cbranch_execz .LBB1_279
; %bb.359:                              ;   in Loop: Header=BB1_280 Depth=1
	s_clause 0x2
	global_load_b64 v[2:3], v7, s[2:3] offset:40
	global_load_b64 v[14:15], v7, s[2:3] offset:24 glc
	global_load_b64 v[12:13], v7, s[2:3]
	s_waitcnt vmcnt(2)
	v_add_co_u32 v6, vcc_lo, v2, 1
	v_add_co_ci_u32_e32 v16, vcc_lo, 0, v3, vcc_lo
	s_delay_alu instid0(VALU_DEP_2) | instskip(NEXT) | instid1(VALU_DEP_2)
	v_add_co_u32 v10, vcc_lo, v6, s4
	v_add_co_ci_u32_e32 v11, vcc_lo, s5, v16, vcc_lo
	s_delay_alu instid0(VALU_DEP_1) | instskip(SKIP_1) | instid1(VALU_DEP_1)
	v_cmp_eq_u64_e32 vcc_lo, 0, v[10:11]
	v_dual_cndmask_b32 v11, v11, v16 :: v_dual_cndmask_b32 v10, v10, v6
	v_and_b32_e32 v3, v11, v3
	s_delay_alu instid0(VALU_DEP_2) | instskip(NEXT) | instid1(VALU_DEP_1)
	v_and_b32_e32 v2, v10, v2
	v_mul_hi_u32 v6, v2, 24
	v_mul_lo_u32 v2, v2, 24
	s_waitcnt vmcnt(0)
	s_delay_alu instid0(VALU_DEP_1) | instskip(SKIP_2) | instid1(VALU_DEP_1)
	v_add_co_u32 v2, vcc_lo, v12, v2
	v_mov_b32_e32 v12, v14
	v_mul_lo_u32 v3, v3, 24
	v_add_nc_u32_e32 v3, v6, v3
	s_delay_alu instid0(VALU_DEP_1)
	v_add_co_ci_u32_e32 v3, vcc_lo, v13, v3, vcc_lo
	v_mov_b32_e32 v13, v15
	global_store_b64 v[2:3], v[14:15], off
	s_waitcnt_vscnt null, 0x0
	global_atomic_cmpswap_b64 v[12:13], v7, v[10:13], s[2:3] offset:24 glc
	s_waitcnt vmcnt(0)
	v_cmp_ne_u64_e32 vcc_lo, v[12:13], v[14:15]
	s_and_b32 exec_lo, exec_lo, vcc_lo
	s_cbranch_execz .LBB1_279
; %bb.360:                              ;   in Loop: Header=BB1_280 Depth=1
	s_mov_b32 s0, 0
.LBB1_361:                              ;   Parent Loop BB1_280 Depth=1
                                        ; =>  This Inner Loop Header: Depth=2
	s_sleep 1
	global_store_b64 v[2:3], v[12:13], off
	s_waitcnt_vscnt null, 0x0
	global_atomic_cmpswap_b64 v[14:15], v7, v[10:13], s[2:3] offset:24 glc
	s_waitcnt vmcnt(0)
	v_cmp_eq_u64_e32 vcc_lo, v[14:15], v[12:13]
	v_dual_mov_b32 v12, v14 :: v_dual_mov_b32 v13, v15
	s_or_b32 s0, vcc_lo, s0
	s_delay_alu instid0(SALU_CYCLE_1)
	s_and_not1_b32 exec_lo, exec_lo, s0
	s_cbranch_execnz .LBB1_361
	s_branch .LBB1_279
.LBB1_362:
	s_or_b32 exec_lo, exec_lo, s11
                                        ; implicit-def: $vgpr34
                                        ; implicit-def: $vgpr35
.LBB1_363:
	s_and_not1_saveexec_b32 s1, s10
	s_cbranch_execz .LBB1_391
; %bb.364:
	v_readfirstlane_b32 s0, v35
	v_mov_b32_e32 v8, 0
	v_mov_b32_e32 v9, 0
	s_delay_alu instid0(VALU_DEP_3) | instskip(NEXT) | instid1(VALU_DEP_1)
	v_cmp_eq_u32_e64 s0, s0, v35
	s_and_saveexec_b32 s4, s0
	s_cbranch_execz .LBB1_370
; %bb.365:
	s_waitcnt vmcnt(0)
	v_mov_b32_e32 v2, 0
	s_mov_b32 s5, exec_lo
	global_load_b64 v[5:6], v2, s[2:3] offset:24 glc
	s_waitcnt vmcnt(0)
	buffer_gl1_inv
	buffer_gl0_inv
	s_clause 0x1
	global_load_b64 v[3:4], v2, s[2:3] offset:40
	global_load_b64 v[7:8], v2, s[2:3]
	s_waitcnt vmcnt(1)
	v_and_b32_e32 v3, v3, v5
	v_and_b32_e32 v4, v4, v6
	s_delay_alu instid0(VALU_DEP_2) | instskip(NEXT) | instid1(VALU_DEP_2)
	v_mul_hi_u32 v9, v3, 24
	v_mul_lo_u32 v4, v4, 24
	v_mul_lo_u32 v3, v3, 24
	s_delay_alu instid0(VALU_DEP_2) | instskip(SKIP_1) | instid1(VALU_DEP_2)
	v_add_nc_u32_e32 v4, v9, v4
	s_waitcnt vmcnt(0)
	v_add_co_u32 v3, vcc_lo, v7, v3
	s_delay_alu instid0(VALU_DEP_2)
	v_add_co_ci_u32_e32 v4, vcc_lo, v8, v4, vcc_lo
	global_load_b64 v[3:4], v[3:4], off glc
	s_waitcnt vmcnt(0)
	global_atomic_cmpswap_b64 v[8:9], v2, v[3:6], s[2:3] offset:24 glc
	s_waitcnt vmcnt(0)
	buffer_gl1_inv
	buffer_gl0_inv
	v_cmpx_ne_u64_e64 v[8:9], v[5:6]
	s_cbranch_execz .LBB1_369
; %bb.366:
	s_mov_b32 s6, 0
	.p2align	6
.LBB1_367:                              ; =>This Inner Loop Header: Depth=1
	s_sleep 1
	s_clause 0x1
	global_load_b64 v[3:4], v2, s[2:3] offset:40
	global_load_b64 v[10:11], v2, s[2:3]
	v_dual_mov_b32 v5, v8 :: v_dual_mov_b32 v6, v9
	s_waitcnt vmcnt(1)
	s_delay_alu instid0(VALU_DEP_1) | instskip(NEXT) | instid1(VALU_DEP_2)
	v_and_b32_e32 v3, v3, v5
	v_and_b32_e32 v4, v4, v6
	s_waitcnt vmcnt(0)
	s_delay_alu instid0(VALU_DEP_2) | instskip(NEXT) | instid1(VALU_DEP_1)
	v_mad_u64_u32 v[7:8], null, v3, 24, v[10:11]
	v_mov_b32_e32 v3, v8
	s_delay_alu instid0(VALU_DEP_1)
	v_mad_u64_u32 v[8:9], null, v4, 24, v[3:4]
	global_load_b64 v[3:4], v[7:8], off glc
	s_waitcnt vmcnt(0)
	global_atomic_cmpswap_b64 v[8:9], v2, v[3:6], s[2:3] offset:24 glc
	s_waitcnt vmcnt(0)
	buffer_gl1_inv
	buffer_gl0_inv
	v_cmp_eq_u64_e32 vcc_lo, v[8:9], v[5:6]
	s_or_b32 s6, vcc_lo, s6
	s_delay_alu instid0(SALU_CYCLE_1)
	s_and_not1_b32 exec_lo, exec_lo, s6
	s_cbranch_execnz .LBB1_367
; %bb.368:
	s_or_b32 exec_lo, exec_lo, s6
.LBB1_369:
	s_delay_alu instid0(SALU_CYCLE_1)
	s_or_b32 exec_lo, exec_lo, s5
.LBB1_370:
	s_delay_alu instid0(SALU_CYCLE_1)
	s_or_b32 exec_lo, exec_lo, s4
	s_waitcnt vmcnt(0)
	v_mov_b32_e32 v2, 0
	v_readfirstlane_b32 s4, v8
	v_readfirstlane_b32 s5, v9
	s_mov_b32 s10, exec_lo
	s_clause 0x1
	global_load_b64 v[10:11], v2, s[2:3] offset:40
	global_load_b128 v[4:7], v2, s[2:3]
	s_waitcnt vmcnt(1)
	v_readfirstlane_b32 s6, v10
	v_readfirstlane_b32 s7, v11
	s_delay_alu instid0(VALU_DEP_1) | instskip(NEXT) | instid1(SALU_CYCLE_1)
	s_and_b64 s[6:7], s[4:5], s[6:7]
	s_mul_i32 s11, s7, 24
	s_mul_hi_u32 s12, s6, 24
	s_mul_i32 s13, s6, 24
	s_add_i32 s12, s12, s11
	s_waitcnt vmcnt(0)
	v_add_co_u32 v8, vcc_lo, v4, s13
	v_add_co_ci_u32_e32 v9, vcc_lo, s12, v5, vcc_lo
	s_and_saveexec_b32 s11, s0
	s_cbranch_execz .LBB1_372
; %bb.371:
	v_dual_mov_b32 v10, s10 :: v_dual_mov_b32 v11, v2
	v_dual_mov_b32 v12, 2 :: v_dual_mov_b32 v13, 1
	global_store_b128 v[8:9], v[10:13], off offset:8
.LBB1_372:
	s_or_b32 exec_lo, exec_lo, s11
	s_lshl_b64 s[6:7], s[6:7], 12
	s_mov_b32 s12, 0
	v_add_co_u32 v6, vcc_lo, v6, s6
	v_add_co_ci_u32_e32 v7, vcc_lo, s7, v7, vcc_lo
	s_mov_b32 s13, s12
	s_delay_alu instid0(VALU_DEP_2)
	v_readfirstlane_b32 s6, v6
	v_add_co_u32 v6, vcc_lo, v6, v34
	s_mov_b32 s14, s12
	s_mov_b32 s15, s12
	v_and_or_b32 v0, 0xffffff1f, v0, 32
	v_dual_mov_b32 v3, v2 :: v_dual_mov_b32 v10, s12
	v_readfirstlane_b32 s7, v7
	v_add_co_ci_u32_e32 v7, vcc_lo, 0, v7, vcc_lo
	v_dual_mov_b32 v11, s13 :: v_dual_mov_b32 v12, s14
	v_mov_b32_e32 v13, s15
	s_clause 0x3
	global_store_b128 v34, v[0:3], s[6:7]
	global_store_b128 v34, v[10:13], s[6:7] offset:16
	global_store_b128 v34, v[10:13], s[6:7] offset:32
	;; [unrolled: 1-line block ×3, first 2 shown]
	s_and_saveexec_b32 s6, s0
	s_cbranch_execz .LBB1_380
; %bb.373:
	v_dual_mov_b32 v10, 0 :: v_dual_mov_b32 v11, s4
	v_mov_b32_e32 v12, s5
	s_clause 0x1
	global_load_b64 v[13:14], v10, s[2:3] offset:32 glc
	global_load_b64 v[0:1], v10, s[2:3] offset:40
	s_waitcnt vmcnt(0)
	v_readfirstlane_b32 s10, v0
	v_readfirstlane_b32 s11, v1
	s_delay_alu instid0(VALU_DEP_1) | instskip(NEXT) | instid1(SALU_CYCLE_1)
	s_and_b64 s[10:11], s[10:11], s[4:5]
	s_mul_i32 s7, s11, 24
	s_mul_hi_u32 s11, s10, 24
	s_mul_i32 s10, s10, 24
	s_add_i32 s11, s11, s7
	v_add_co_u32 v4, vcc_lo, v4, s10
	v_add_co_ci_u32_e32 v5, vcc_lo, s11, v5, vcc_lo
	s_mov_b32 s7, exec_lo
	global_store_b64 v[4:5], v[13:14], off
	s_waitcnt_vscnt null, 0x0
	global_atomic_cmpswap_b64 v[2:3], v10, v[11:14], s[2:3] offset:32 glc
	s_waitcnt vmcnt(0)
	v_cmpx_ne_u64_e64 v[2:3], v[13:14]
	s_cbranch_execz .LBB1_376
; %bb.374:
	s_mov_b32 s10, 0
.LBB1_375:                              ; =>This Inner Loop Header: Depth=1
	v_dual_mov_b32 v0, s4 :: v_dual_mov_b32 v1, s5
	s_sleep 1
	global_store_b64 v[4:5], v[2:3], off
	s_waitcnt_vscnt null, 0x0
	global_atomic_cmpswap_b64 v[0:1], v10, v[0:3], s[2:3] offset:32 glc
	s_waitcnt vmcnt(0)
	v_cmp_eq_u64_e32 vcc_lo, v[0:1], v[2:3]
	v_dual_mov_b32 v3, v1 :: v_dual_mov_b32 v2, v0
	s_or_b32 s10, vcc_lo, s10
	s_delay_alu instid0(SALU_CYCLE_1)
	s_and_not1_b32 exec_lo, exec_lo, s10
	s_cbranch_execnz .LBB1_375
.LBB1_376:
	s_or_b32 exec_lo, exec_lo, s7
	v_mov_b32_e32 v3, 0
	s_mov_b32 s10, exec_lo
	s_mov_b32 s7, exec_lo
	v_mbcnt_lo_u32_b32 v2, s10, 0
	global_load_b64 v[0:1], v3, s[2:3] offset:16
	v_cmpx_eq_u32_e32 0, v2
	s_cbranch_execz .LBB1_378
; %bb.377:
	s_bcnt1_i32_b32 s10, s10
	s_delay_alu instid0(SALU_CYCLE_1)
	v_mov_b32_e32 v2, s10
	s_waitcnt vmcnt(0)
	global_atomic_add_u64 v[0:1], v[2:3], off offset:8
.LBB1_378:
	s_or_b32 exec_lo, exec_lo, s7
	s_waitcnt vmcnt(0)
	global_load_b64 v[2:3], v[0:1], off offset:16
	s_waitcnt vmcnt(0)
	v_cmp_eq_u64_e32 vcc_lo, 0, v[2:3]
	s_cbranch_vccnz .LBB1_380
; %bb.379:
	global_load_b32 v0, v[0:1], off offset:24
	s_waitcnt vmcnt(0)
	v_dual_mov_b32 v1, 0 :: v_dual_and_b32 v4, 0xffffff, v0
	s_waitcnt_vscnt null, 0x0
	global_store_b64 v[2:3], v[0:1], off
	v_readfirstlane_b32 m0, v4
	s_sendmsg sendmsg(MSG_INTERRUPT)
.LBB1_380:
	s_or_b32 exec_lo, exec_lo, s6
	s_branch .LBB1_384
	.p2align	6
.LBB1_381:                              ;   in Loop: Header=BB1_384 Depth=1
	s_or_b32 exec_lo, exec_lo, s6
	s_delay_alu instid0(VALU_DEP_1) | instskip(NEXT) | instid1(VALU_DEP_1)
	v_readfirstlane_b32 s6, v0
	s_cmp_eq_u32 s6, 0
	s_cbranch_scc1 .LBB1_383
; %bb.382:                              ;   in Loop: Header=BB1_384 Depth=1
	s_sleep 1
	s_cbranch_execnz .LBB1_384
	s_branch .LBB1_386
	.p2align	6
.LBB1_383:
	s_branch .LBB1_386
.LBB1_384:                              ; =>This Inner Loop Header: Depth=1
	v_mov_b32_e32 v0, 1
	s_and_saveexec_b32 s6, s0
	s_cbranch_execz .LBB1_381
; %bb.385:                              ;   in Loop: Header=BB1_384 Depth=1
	global_load_b32 v0, v[8:9], off offset:20 glc
	s_waitcnt vmcnt(0)
	buffer_gl1_inv
	buffer_gl0_inv
	v_and_b32_e32 v0, 1, v0
	s_branch .LBB1_381
.LBB1_386:
	global_load_b64 v[0:1], v[6:7], off
	s_and_saveexec_b32 s6, s0
	s_cbranch_execz .LBB1_390
; %bb.387:
	v_mov_b32_e32 v8, 0
	s_clause 0x2
	global_load_b64 v[4:5], v8, s[2:3] offset:40
	global_load_b64 v[9:10], v8, s[2:3] offset:24 glc
	global_load_b64 v[6:7], v8, s[2:3]
	s_waitcnt vmcnt(2)
	v_add_co_u32 v11, vcc_lo, v4, 1
	v_add_co_ci_u32_e32 v12, vcc_lo, 0, v5, vcc_lo
	s_delay_alu instid0(VALU_DEP_2) | instskip(NEXT) | instid1(VALU_DEP_2)
	v_add_co_u32 v2, vcc_lo, v11, s4
	v_add_co_ci_u32_e32 v3, vcc_lo, s5, v12, vcc_lo
	s_delay_alu instid0(VALU_DEP_1) | instskip(SKIP_1) | instid1(VALU_DEP_1)
	v_cmp_eq_u64_e32 vcc_lo, 0, v[2:3]
	v_dual_cndmask_b32 v3, v3, v12 :: v_dual_cndmask_b32 v2, v2, v11
	v_and_b32_e32 v5, v3, v5
	s_delay_alu instid0(VALU_DEP_2) | instskip(NEXT) | instid1(VALU_DEP_2)
	v_and_b32_e32 v4, v2, v4
	v_mul_lo_u32 v5, v5, 24
	s_delay_alu instid0(VALU_DEP_2) | instskip(SKIP_1) | instid1(VALU_DEP_2)
	v_mul_hi_u32 v11, v4, 24
	v_mul_lo_u32 v4, v4, 24
	v_add_nc_u32_e32 v5, v11, v5
	s_waitcnt vmcnt(0)
	s_delay_alu instid0(VALU_DEP_2) | instskip(SKIP_1) | instid1(VALU_DEP_3)
	v_add_co_u32 v6, vcc_lo, v6, v4
	v_mov_b32_e32 v4, v9
	v_add_co_ci_u32_e32 v7, vcc_lo, v7, v5, vcc_lo
	v_mov_b32_e32 v5, v10
	global_store_b64 v[6:7], v[9:10], off
	s_waitcnt_vscnt null, 0x0
	global_atomic_cmpswap_b64 v[4:5], v8, v[2:5], s[2:3] offset:24 glc
	s_waitcnt vmcnt(0)
	v_cmp_ne_u64_e32 vcc_lo, v[4:5], v[9:10]
	s_and_b32 exec_lo, exec_lo, vcc_lo
	s_cbranch_execz .LBB1_390
; %bb.388:
	s_mov_b32 s0, 0
.LBB1_389:                              ; =>This Inner Loop Header: Depth=1
	s_sleep 1
	global_store_b64 v[6:7], v[4:5], off
	s_waitcnt_vscnt null, 0x0
	global_atomic_cmpswap_b64 v[9:10], v8, v[2:5], s[2:3] offset:24 glc
	s_waitcnt vmcnt(0)
	v_cmp_eq_u64_e32 vcc_lo, v[9:10], v[4:5]
	v_dual_mov_b32 v4, v9 :: v_dual_mov_b32 v5, v10
	s_or_b32 s0, vcc_lo, s0
	s_delay_alu instid0(SALU_CYCLE_1)
	s_and_not1_b32 exec_lo, exec_lo, s0
	s_cbranch_execnz .LBB1_389
.LBB1_390:
	s_or_b32 exec_lo, exec_lo, s6
.LBB1_391:
	s_delay_alu instid0(SALU_CYCLE_1)
	s_or_b32 exec_lo, exec_lo, s1
	s_getpc_b64 s[0:1]
	s_add_u32 s0, s0, .str.1@rel32@lo+4
	s_addc_u32 s1, s1, .str.1@rel32@hi+12
	s_getpc_b64 s[2:3]
	s_add_u32 s2, s2, .str.1@rel32@lo+32
	s_addc_u32 s3, s3, .str.1@rel32@hi+40
	s_sub_i32 s4, s2, s0
	s_getpc_b64 s[2:3]
	s_add_u32 s2, s2, __ockl_fprintf_append_string_n@rel32@lo+4
	s_addc_u32 s3, s3, __ockl_fprintf_append_string_n@rel32@hi+12
	s_ashr_i32 s5, s4, 31
	s_waitcnt vmcnt(0)
	v_dual_mov_b32 v2, s0 :: v_dual_mov_b32 v3, s1
	v_dual_mov_b32 v4, s4 :: v_dual_mov_b32 v5, s5
	v_mov_b32_e32 v6, 1
	s_swappc_b64 s[30:31], s[2:3]
	s_trap 2
	s_sendmsg_rtn_b32 s0, sendmsg(MSG_RTN_GET_DOORBELL)
	s_mov_b32 ttmp2, m0
	s_waitcnt lgkmcnt(0)
	s_and_b32 s0, s0, 0x3ff
	s_delay_alu instid0(SALU_CYCLE_1) | instskip(NEXT) | instid1(SALU_CYCLE_1)
	s_bitset1_b32 s0, 10
	s_mov_b32 m0, s0
	s_sendmsg sendmsg(MSG_INTERRUPT)
	s_mov_b32 m0, ttmp2
.LBB1_392:                              ; =>This Inner Loop Header: Depth=1
	s_sethalt 5
	s_branch .LBB1_392
.Lfunc_end1:
	.size	__assert_fail, .Lfunc_end1-__assert_fail
                                        ; -- End function
	.section	.AMDGPU.csdata,"",@progbits
; Function info:
; codeLenInByte = 16148
; NumSgprs: 36
; NumVgprs: 41
; ScratchSize: 64
; MemoryBound: 0
	.text
	.p2align	2                               ; -- Begin function _ZN12_GLOBAL__N_17runRingI11rccl_float810FuncMinMaxIS1_E11ProtoSimpleILi1ELi1ELi0ELi1ELi0ELi0EELi0ELi1ELi0EEEviiP15ncclDevWorkColl
	.type	_ZN12_GLOBAL__N_17runRingI11rccl_float810FuncMinMaxIS1_E11ProtoSimpleILi1ELi1ELi0ELi1ELi0ELi0EELi0ELi1ELi0EEEviiP15ncclDevWorkColl,@function
_ZN12_GLOBAL__N_17runRingI11rccl_float810FuncMinMaxIS1_E11ProtoSimpleILi1ELi1ELi0ELi1ELi0ELi0EELi0ELi1ELi0EEEviiP15ncclDevWorkColl: ; @_ZN12_GLOBAL__N_17runRingI11rccl_float810FuncMinMaxIS1_E11ProtoSimpleILi1ELi1ELi0ELi1ELi0ELi0EELi0ELi1ELi0EEEviiP15ncclDevWorkColl
; %bb.0:
	s_waitcnt vmcnt(0) expcnt(0) lgkmcnt(0)
	s_mov_b32 s0, s33
	s_mov_b32 s33, s32
	s_or_saveexec_b32 s1, -1
	scratch_store_b32 off, v41, s33 offset:4 ; 4-byte Folded Spill
	s_mov_b32 exec_lo, s1
	v_writelane_b32 v41, s0, 2
	s_add_i32 s32, s32, 16
	scratch_store_b32 off, v40, s33         ; 4-byte Folded Spill
	v_writelane_b32 v41, s30, 0
	v_writelane_b32 v41, s31, 1
	s_cbranch_execz .LBB2_1
; %bb.4631:
	s_getpc_b64 s[34:35]
.Lpost_getpc0:
	s_add_u32 s34, s34, (.LBB2_4341-.Lpost_getpc0)&4294967295
	s_addc_u32 s35, s35, (.LBB2_4341-.Lpost_getpc0)>>32
	s_setpc_b64 s[34:35]
.LBB2_1:
	ds_load_b64 v[14:15], v0
	ds_load_b32 v9, v0
	flat_load_b64 v[6:7], v[2:3]
	s_mov_b32 s0, exec_lo
                                        ; implicit-def: $vgpr28_vgpr29
                                        ; implicit-def: $vgpr18_vgpr19
	s_waitcnt lgkmcnt(2)
	v_ashrrev_i32_e32 v5, 31, v15
	v_mov_b32_e32 v4, v15
	s_delay_alu instid0(VALU_DEP_1) | instskip(NEXT) | instid1(VALU_DEP_1)
	v_lshlrev_b64 v[4:5], 2, v[4:5]
	v_add_co_u32 v4, vcc_lo, v14, v4
	s_delay_alu instid0(VALU_DEP_2) | instskip(NEXT) | instid1(VALU_DEP_2)
	v_add_co_ci_u32_e32 v5, vcc_lo, v15, v5, vcc_lo
	v_add_co_u32 v4, vcc_lo, -4, v4
	s_delay_alu instid0(VALU_DEP_2) | instskip(SKIP_4) | instid1(VALU_DEP_1)
	v_add_co_ci_u32_e32 v5, vcc_lo, -1, v5, vcc_lo
	flat_load_u16 v16, v[2:3] offset:8
	flat_load_b32 v36, v[4:5]
                                        ; implicit-def: $vgpr4_vgpr5
	s_waitcnt vmcnt(2) lgkmcnt(2)
	v_dual_mov_b32 v15, v7 :: v_dual_and_b32 v8, 0xff, v6
	v_cmpx_ne_u32_e64 v8, v9
	s_xor_b32 s0, exec_lo, s0
	s_cbranch_execz .LBB2_2
; %bb.4633:
	s_getpc_b64 s[34:35]
.Lpost_getpc1:
	s_add_u32 s34, s34, (.LBB2_4343-.Lpost_getpc1)&4294967295
	s_addc_u32 s35, s35, (.LBB2_4343-.Lpost_getpc1)>>32
	s_setpc_b64 s[34:35]
.LBB2_2:
	s_and_not1_saveexec_b32 s0, s0
	s_cbranch_execz .LBB2_3
; %bb.4635:
	s_getpc_b64 s[34:35]
.Lpost_getpc2:
	s_add_u32 s34, s34, (.LBB2_4348-.Lpost_getpc2)&4294967295
	s_addc_u32 s35, s35, (.LBB2_4348-.Lpost_getpc2)>>32
	s_setpc_b64 s[34:35]
.LBB2_3:
	s_or_b32 exec_lo, exec_lo, s0
	s_cbranch_execz .LBB2_4
; %bb.4637:
	s_getpc_b64 s[34:35]
.Lpost_getpc3:
	s_add_u32 s34, s34, (.LBB2_4349-.Lpost_getpc3)&4294967295
	s_addc_u32 s35, s35, (.LBB2_4349-.Lpost_getpc3)>>32
	s_setpc_b64 s[34:35]
.LBB2_4:
	ds_load_b64 v[6:7], v0
	s_mov_b32 s1, exec_lo
	s_waitcnt lgkmcnt(0)
	v_cmp_ne_u32_e32 vcc_lo, -1, v6
	v_cndmask_b32_e64 v17, 0, 1, vcc_lo
	v_cmp_ne_u32_e32 vcc_lo, -1, v7
	s_delay_alu instid0(VALU_DEP_2) | instskip(NEXT) | instid1(VALU_DEP_1)
	v_add_co_ci_u32_e64 v6, s0, 0, v17, vcc_lo
	v_lshlrev_b32_e32 v7, 1, v6
	s_delay_alu instid0(VALU_DEP_1)
	v_cmpx_le_i32_e64 v7, v1
	s_xor_b32 s13, exec_lo, s1
	s_cbranch_execnz .LBB2_5
; %bb.4639:
	s_getpc_b64 s[34:35]
.Lpost_getpc4:
	s_add_u32 s34, s34, (.LBB2_4552-.Lpost_getpc4)&4294967295
	s_addc_u32 s35, s35, (.LBB2_4552-.Lpost_getpc4)>>32
	s_setpc_b64 s[34:35]
.LBB2_5:
	s_clause 0x1
	flat_load_b128 v[10:13], v[2:3] offset:16
	flat_load_b64 v[29:30], v[2:3] offset:104
	s_cbranch_execz .LBB2_6
; %bb.4641:
	s_getpc_b64 s[34:35]
.Lpost_getpc5:
	s_add_u32 s34, s34, (.LBB2_4351-.Lpost_getpc5)&4294967295
	s_addc_u32 s35, s35, (.LBB2_4351-.Lpost_getpc5)>>32
	s_setpc_b64 s[34:35]
.LBB2_6:
	s_load_b32 s0, s[8:9], 0x0
	v_mov_b32_e32 v2, 0
	v_mov_b32_e32 v64, 4
	s_waitcnt lgkmcnt(0)
	s_cmp_lt_u32 s12, s0
	s_cselect_b32 s0, 12, 18
	s_delay_alu instid0(SALU_CYCLE_1)
	s_add_u32 s0, s8, s0
	s_addc_u32 s1, s9, 0
	global_load_u16 v37, v2, s[0:1]
	ds_load_b32 v2, v0
	s_mov_b32 s1, exec_lo
	s_waitcnt lgkmcnt(0)
	v_readfirstlane_b32 s14, v2
	v_cmpx_ge_i32_e64 v0, v17
	s_cbranch_execz .LBB2_16
; %bb.7:
	v_cmp_le_u32_e64 s0, v6, v0
                                        ; implicit-def: $vgpr64
	s_delay_alu instid0(VALU_DEP_1) | instskip(NEXT) | instid1(SALU_CYCLE_1)
	s_and_saveexec_b32 s2, s0
	s_xor_b32 s0, exec_lo, s2
	s_cbranch_execz .LBB2_13
; %bb.8:
	v_cndmask_b32_e64 v2, 0, 1, vcc_lo
	s_mov_b32 s2, exec_lo
                                        ; implicit-def: $sgpr3
	s_delay_alu instid0(VALU_DEP_1) | instskip(NEXT) | instid1(VALU_DEP_1)
	v_sub_nc_u32_e32 v2, v1, v2
	v_cmpx_ge_u32_e64 v0, v2
	s_xor_b32 s2, exec_lo, s2
; %bb.9:
	s_mov_b32 s3, 16
                                        ; implicit-def: $vgpr6
; %bb.10:
	s_or_saveexec_b32 s2, s2
	v_mov_b32_e32 v64, s3
	s_xor_b32 exec_lo, exec_lo, s2
; %bb.11:
	v_sub_nc_u32_e32 v2, v1, v6
	s_delay_alu instid0(VALU_DEP_1) | instskip(SKIP_1) | instid1(VALU_DEP_1)
	v_cmp_ge_i32_e32 vcc_lo, v0, v2
	v_cndmask_b32_e64 v2, 0, 1, vcc_lo
	v_lshlrev_b32_e32 v64, 5, v2
; %bb.12:
	s_or_b32 exec_lo, exec_lo, s2
.LBB2_13:
	s_and_not1_saveexec_b32 s0, s0
; %bb.14:
	v_mov_b32_e32 v64, 8
; %bb.15:
	s_or_b32 exec_lo, exec_lo, s0
.LBB2_16:
	s_delay_alu instid0(SALU_CYCLE_1) | instskip(NEXT) | instid1(VALU_DEP_1)
	s_or_b32 exec_lo, exec_lo, s1
	v_and_b32_e32 v2, 36, v64
	v_mov_b32_e32 v32, -1
	s_delay_alu instid0(VALU_DEP_2)
	v_cmp_ne_u32_e32 vcc_lo, 0, v2
	s_and_saveexec_b32 s0, vcc_lo
	s_cbranch_execz .LBB2_19
; %bb.17:
	s_cbranch_execz .LBB2_18
; %bb.4643:
	s_getpc_b64 s[34:35]
.Lpost_getpc6:
	s_add_u32 s34, s34, (.LBB2_4353-.Lpost_getpc6)&4294967295
	s_addc_u32 s35, s35, (.LBB2_4353-.Lpost_getpc6)>>32
	s_setpc_b64 s[34:35]
.LBB2_18:
	ds_load_b32 v32, v0
.LBB2_19:
	s_or_b32 exec_lo, exec_lo, s0
	v_and_b32_e32 v2, 24, v64
	s_mov_b32 s1, exec_lo
	s_delay_alu instid0(VALU_DEP_1)
	v_cmpx_ne_u32_e32 0, v2
	s_cbranch_execz .LBB2_22
; %bb.20:
	s_cbranch_execz .LBB2_21
; %bb.4645:
	s_getpc_b64 s[34:35]
.Lpost_getpc7:
	s_add_u32 s34, s34, (.LBB2_4355-.Lpost_getpc7)&4294967295
	s_addc_u32 s35, s35, (.LBB2_4355-.Lpost_getpc7)>>32
	s_setpc_b64 s[34:35]
.LBB2_21:
	s_waitcnt lgkmcnt(0)
	ds_load_b32 v32, v0
.LBB2_22:
	s_or_b32 exec_lo, exec_lo, s1
	s_waitcnt vmcnt(4)
	v_lshrrev_b64 v[2:3], 31, v[15:16]
	v_mov_b32_e32 v20, 0
	v_mov_b32_e32 v21, 0
                                        ; implicit-def: $vgpr65
                                        ; implicit-def: $vgpr26_vgpr27
                                        ; implicit-def: $vgpr24_vgpr25
                                        ; implicit-def: $vgpr22_vgpr23
	s_delay_alu instid0(VALU_DEP_3) | instskip(NEXT) | instid1(VALU_DEP_2)
	v_and_b32_e32 v16, 3, v2
	v_dual_mov_b32 v6, v20 :: v_dual_mov_b32 v7, v21
                                        ; implicit-def: $vgpr2_vgpr3
	s_and_saveexec_b32 s0, vcc_lo
	s_cbranch_execz .LBB2_35
; %bb.23:
	s_cbranch_execz .LBB2_24
; %bb.4647:
	s_getpc_b64 s[34:35]
.Lpost_getpc8:
	s_add_u32 s34, s34, (.LBB2_4357-.Lpost_getpc8)&4294967295
	s_addc_u32 s35, s35, (.LBB2_4357-.Lpost_getpc8)>>32
	s_setpc_b64 s[34:35]
.LBB2_24:
	ds_load_b64 v[2:3], v0
	s_waitcnt lgkmcnt(1)
	v_ashrrev_i32_e32 v33, 31, v32
	v_and_b32_e32 v8, 0xffff, v16
	s_delay_alu instid0(VALU_DEP_2) | instskip(SKIP_1) | instid1(VALU_DEP_1)
	v_lshlrev_b64 v[6:7], 3, v[32:33]
	s_waitcnt lgkmcnt(0)
	v_add_co_u32 v2, vcc_lo, v2, v6
	s_delay_alu instid0(VALU_DEP_2)
	v_add_co_ci_u32_e32 v3, vcc_lo, v3, v7, vcc_lo
	flat_load_b64 v[2:3], v[2:3]
	s_waitcnt vmcnt(0) lgkmcnt(0)
	v_mad_u64_u32 v[6:7], null, 0xa8, v8, v[2:3]
	flat_load_b32 v2, v[6:7] offset:640
	v_add_co_u32 v20, vcc_lo, 0x1f8, v6
	v_add_co_ci_u32_e32 v21, vcc_lo, 0, v7, vcc_lo
	s_waitcnt vmcnt(0) lgkmcnt(0)
	v_cmp_eq_u32_e32 vcc_lo, 1, v2
                                        ; implicit-def: $vgpr2_vgpr3
	s_and_saveexec_b32 s1, vcc_lo
	s_cbranch_execz .LBB2_27
; %bb.25:
	flat_load_b64 v[2:3], v[20:21] offset:144
	s_waitcnt vmcnt(0) lgkmcnt(0)
	flat_load_b64 v[6:7], v[2:3]
	s_cbranch_execz .LBB2_26
; %bb.4649:
	s_getpc_b64 s[34:35]
.Lpost_getpc9:
	s_add_u32 s34, s34, (.LBB2_4363-.Lpost_getpc9)&4294967295
	s_addc_u32 s35, s35, (.LBB2_4363-.Lpost_getpc9)>>32
	s_setpc_b64 s[34:35]
.LBB2_26:
	s_waitcnt vmcnt(0) lgkmcnt(0)
	ds_store_b64 v0, v[6:7]
	flat_load_b64 v[6:7], v[2:3] offset:8
	v_or_b32_e32 v64, 0x2000, v64
	s_waitcnt vmcnt(0) lgkmcnt(0)
	ds_store_b64 v0, v[6:7]
	flat_load_b64 v[6:7], v[2:3] offset:16
	s_waitcnt vmcnt(0) lgkmcnt(0)
	ds_store_b64 v0, v[6:7]
.LBB2_27:
	s_or_b32 exec_lo, exec_lo, s1
	flat_load_b64 v[8:9], v[20:21] offset:104
	v_and_b32_e32 v6, 32, v64
	s_mov_b32 s1, exec_lo
                                        ; implicit-def: $vgpr22_vgpr23
	s_delay_alu instid0(VALU_DEP_1)
	v_cmpx_ne_u32_e32 0, v6
	s_cbranch_execz .LBB2_29
; %bb.28:
	flat_load_b64 v[22:23], v[20:21] offset:56
	s_waitcnt vmcnt(0) lgkmcnt(0)
	s_waitcnt_vscnt null, 0x0
	flat_store_b64 v[22:23], v[8:9]
.LBB2_29:
	s_or_b32 exec_lo, exec_lo, s1
	v_and_b32_e32 v24, 4, v64
	v_mov_b32_e32 v6, 0
	v_mov_b32_e32 v7, 0
                                        ; implicit-def: $vgpr65
                                        ; implicit-def: $vgpr26_vgpr27
	s_delay_alu instid0(VALU_DEP_3)
	v_cmp_ne_u32_e32 vcc_lo, 0, v24
                                        ; implicit-def: $vgpr24_vgpr25
	s_and_saveexec_b32 s1, vcc_lo
	s_cbranch_execz .LBB2_34
; %bb.30:
	v_and_b32_e32 v6, 0x800, v64
	s_mov_b32 s2, exec_lo
	s_delay_alu instid0(VALU_DEP_1)
	v_cmpx_eq_u32_e32 0, v6
	s_cbranch_execz .LBB2_33
; %bb.31:
	s_cbranch_execz .LBB2_32
; %bb.4651:
	s_getpc_b64 s[34:35]
.Lpost_getpc10:
	s_add_u32 s34, s34, (.LBB2_4367-.Lpost_getpc10)&4294967295
	s_addc_u32 s35, s35, (.LBB2_4367-.Lpost_getpc10)>>32
	s_setpc_b64 s[34:35]
.LBB2_32:
	ds_store_b64 v0, v[20:21]
.LBB2_33:
	s_or_b32 exec_lo, exec_lo, s2
	flat_load_b64 v[22:23], v[20:21] offset:48
	v_or_b32_e32 v33, 0x100, v64
	s_waitcnt vmcnt(0) lgkmcnt(0)
	flat_load_b64 v[26:27], v[22:23] glc
	s_clause 0x2
	flat_load_b64 v[6:7], v[20:21] offset:96
	flat_load_b32 v65, v[20:21] offset:72
	flat_load_b64 v[24:25], v[20:21] offset:16
	s_waitcnt vmcnt(2) lgkmcnt(2)
	v_cmp_eq_u64_e32 vcc_lo, 0, v[6:7]
	v_cndmask_b32_e32 v64, v33, v64, vcc_lo
.LBB2_34:
	s_or_b32 exec_lo, exec_lo, s1
.LBB2_35:
	s_delay_alu instid0(SALU_CYCLE_1) | instskip(NEXT) | instid1(VALU_DEP_1)
	s_or_b32 exec_lo, exec_lo, s0
	v_and_b32_e32 v33, 24, v64
	s_mov_b32 s0, exec_lo
                                        ; implicit-def: $vgpr34_vgpr35
	s_delay_alu instid0(VALU_DEP_1)
	v_cmpx_ne_u32_e32 0, v33
	s_cbranch_execz .LBB2_45
; %bb.36:
	s_cbranch_execz .LBB2_37
; %bb.4653:
	s_getpc_b64 s[34:35]
.Lpost_getpc11:
	s_add_u32 s34, s34, (.LBB2_4359-.Lpost_getpc11)&4294967295
	s_addc_u32 s35, s35, (.LBB2_4359-.Lpost_getpc11)>>32
	s_setpc_b64 s[34:35]
.LBB2_37:
	ds_load_b64 v[6:7], v0
	s_waitcnt lgkmcnt(1)
	v_ashrrev_i32_e32 v33, 31, v32
	s_mov_b32 s1, exec_lo
                                        ; implicit-def: $vgpr34_vgpr35
	s_waitcnt vmcnt(0)
	s_delay_alu instid0(VALU_DEP_1) | instskip(SKIP_1) | instid1(VALU_DEP_1)
	v_lshlrev_b64 v[8:9], 3, v[32:33]
	s_waitcnt lgkmcnt(0)
	v_add_co_u32 v6, vcc_lo, v6, v8
	s_delay_alu instid0(VALU_DEP_2)
	v_add_co_ci_u32_e32 v7, vcc_lo, v7, v9, vcc_lo
	v_and_b32_e32 v8, 0xffff, v16
	v_or_b32_e32 v16, 0x100, v64
	flat_load_b64 v[6:7], v[6:7]
	s_waitcnt vmcnt(0) lgkmcnt(0)
	v_mad_u64_u32 v[20:21], null, 0xa8, v8, v[6:7]
	flat_load_b128 v[6:9], v[20:21] offset:96
	s_waitcnt vmcnt(0) lgkmcnt(0)
	v_cmp_eq_u64_e32 vcc_lo, 0, v[6:7]
	v_cndmask_b32_e32 v64, v16, v64, vcc_lo
	s_delay_alu instid0(VALU_DEP_1) | instskip(NEXT) | instid1(VALU_DEP_1)
	v_and_b32_e32 v16, 16, v64
	v_cmpx_ne_u32_e32 0, v16
; %bb.38:
	s_clause 0x2
	flat_load_b64 v[34:35], v[20:21] offset:120
	flat_load_b64 v[22:23], v[20:21] offset:48
	;; [unrolled: 1-line block ×3, first 2 shown]
; %bb.39:
	s_or_b32 exec_lo, exec_lo, s1
	v_and_b32_e32 v16, 8, v64
	s_mov_b32 s1, exec_lo
	s_delay_alu instid0(VALU_DEP_1)
	v_cmpx_ne_u32_e32 0, v16
	s_cbranch_execz .LBB2_44
; %bb.40:
	v_and_b32_e32 v16, 0x800, v64
	s_mov_b32 s2, exec_lo
	s_delay_alu instid0(VALU_DEP_1)
	v_cmpx_eq_u32_e32 0, v16
	s_cbranch_execz .LBB2_43
; %bb.41:
	s_cbranch_execz .LBB2_42
; %bb.4655:
	s_getpc_b64 s[34:35]
.Lpost_getpc12:
	s_add_u32 s34, s34, (.LBB2_4384-.Lpost_getpc12)&4294967295
	s_addc_u32 s35, s35, (.LBB2_4384-.Lpost_getpc12)>>32
	s_setpc_b64 s[34:35]
.LBB2_42:
	ds_store_b64 v0, v[20:21]
.LBB2_43:
	s_or_b32 exec_lo, exec_lo, s2
	s_waitcnt vmcnt(1) lgkmcnt(1)
	flat_load_b64 v[22:23], v[20:21] offset:56
	s_waitcnt vmcnt(0) lgkmcnt(0)
	flat_load_b64 v[26:27], v[22:23] glc
	s_clause 0x1
	flat_load_b32 v65, v[20:21] offset:72
	flat_load_b64 v[24:25], v[20:21] offset:16
.LBB2_44:
	s_or_b32 exec_lo, exec_lo, s1
.LBB2_45:
	s_delay_alu instid0(SALU_CYCLE_1) | instskip(SKIP_1) | instid1(VALU_DEP_1)
	s_or_b32 exec_lo, exec_lo, s0
	v_cmp_eq_u32_e64 s0, 0, v0
	s_and_saveexec_b32 s1, s0
	s_cbranch_execz .LBB2_48
; %bb.46:
	s_waitcnt vmcnt(2)
	ds_store_2addr_b64 v0, v[12:13], v[10:11] offset1:1
	s_cbranch_execz .LBB2_47
; %bb.4657:
	s_getpc_b64 s[34:35]
.Lpost_getpc13:
	s_add_u32 s34, s34, (.LBB2_4361-.Lpost_getpc13)&4294967295
	s_addc_u32 s35, s35, (.LBB2_4361-.Lpost_getpc13)>>32
	s_setpc_b64 s[34:35]
.LBB2_47:
	v_mov_b32_e32 v10, 0
	s_delay_alu instid0(VALU_DEP_1)
	v_mov_b32_e32 v11, v10
	ds_store_b64 v0, v[10:11]
	s_waitcnt vmcnt(1)
	ds_store_b64 v0, v[29:30]
.LBB2_48:
	s_or_b32 exec_lo, exec_lo, s1
	s_waitcnt vmcnt(2)
	v_bfe_u32 v10, v15, 1, 30
	s_waitcnt lgkmcnt(0)
	v_dual_mov_b32 v33, 0 :: v_dual_and_b32 v32, 0x3ffffe00, v28
	s_waitcnt vmcnt(0)
	v_and_b32_e32 v30, 0xffff, v37
                                        ; implicit-def: $vgpr28_vgpr29
	s_mov_b32 s1, exec_lo
	v_cmpx_ne_u32_e64 v36, v10
	s_xor_b32 s15, exec_lo, s1
	s_cbranch_execnz .LBB2_49
; %bb.4659:
	s_getpc_b64 s[34:35]
.Lpost_getpc14:
	s_add_u32 s34, s34, (.LBB2_4138-.Lpost_getpc14)&4294967295
	s_addc_u32 s35, s35, (.LBB2_4138-.Lpost_getpc14)>>32
	s_setpc_b64 s[34:35]
.LBB2_49:
	v_cmp_ne_u64_e64 s1, 0, v[4:5]
                                        ; implicit-def: $vgpr28_vgpr29
	s_mov_b32 s2, exec_lo
	v_cmpx_ne_u32_e64 v14, v10
	s_xor_b32 s16, exec_lo, s2
	s_cbranch_execz .LBB2_2099
; %bb.50:
	v_mov_b32_e32 v28, 0
	v_mov_b32_e32 v29, 0
	s_and_saveexec_b32 s17, s1
	s_cbranch_execz .LBB2_2098
; %bb.51:
	v_cmp_ge_i32_e64 s2, v0, v1
	s_cbranch_execz .LBB2_52
; %bb.4661:
	s_getpc_b64 s[34:35]
.Lpost_getpc15:
	s_add_u32 s34, s34, (.LBB2_4382-.Lpost_getpc15)&4294967295
	s_addc_u32 s35, s35, (.LBB2_4382-.Lpost_getpc15)>>32
	s_setpc_b64 s[34:35]
.LBB2_52:
	v_ashrrev_i32_e32 v10, 31, v0
	v_lshrrev_b32_e32 v67, 5, v1
	v_dual_mov_b32 v38, 0 :: v_dual_and_b32 v11, 31, v31
	v_dual_mov_b32 v39, 0 :: v_dual_lshlrev_b32 v68, 4, v0
	s_delay_alu instid0(VALU_DEP_4) | instskip(NEXT) | instid1(VALU_DEP_3)
	v_lshrrev_b32_e32 v10, 27, v10
	v_dual_mov_b32 v28, v38 :: v_dual_lshlrev_b32 v69, 9, v67
	s_ashr_i32 s5, s14, 31
	s_delay_alu instid0(VALU_DEP_2)
	v_dual_mov_b32 v37, 0 :: v_dual_add_nc_u32 v10, v0, v10
	s_lshr_b32 s5, s5, 24
	v_and_b32_e32 v83, 0xffffffe0, v1
	s_add_i32 s11, s14, s5
	v_cmp_eq_u32_e64 s5, 0, v11
	v_dual_mov_b32 v87, 1 :: v_dual_and_b32 v12, 0xffffffe0, v10
	v_add_nc_u32_e32 v11, 0xfffffe00, v69
	v_ashrrev_i32_e32 v10, 5, v10
	v_cmp_eq_u32_e32 vcc_lo, 32, v1
	s_delay_alu instid0(VALU_DEP_4) | instskip(SKIP_4) | instid1(VALU_DEP_4)
	v_sub_nc_u32_e32 v70, v0, v12
	v_lshl_add_u32 v12, v67, 8, 0xffffff00
	v_ashrrev_i32_e32 v13, 31, v11
	v_sub_nc_u32_e32 v80, 0, v10
	v_add_co_u32 v81, s10, 0x200, v11
	v_ashrrev_i32_e32 v10, 31, v12
	s_delay_alu instid0(VALU_DEP_4) | instskip(SKIP_1) | instid1(VALU_DEP_1)
	v_add_co_ci_u32_e64 v82, s10, 0, v13, s10
	v_add_co_u32 v84, s10, 0x100, v12
	v_add_co_ci_u32_e64 v85, s10, 0, v10, s10
	v_cmp_eq_u64_e64 s10, 0, v[34:35]
	v_ashrrev_i32_e32 v66, 31, v65
	v_cmp_ne_u32_e64 s3, 32, v1
	v_cmp_ne_u32_e64 s4, v30, v1
	v_ashrrev_i32_e32 v71, 31, v68
	v_cmp_le_i32_e64 s6, v70, v17
	v_cmp_lt_i32_e64 s7, v70, v17
	v_ashrrev_i32_e32 v86, 31, v83
	v_mov_b32_e32 v29, v39
	s_ashr_i32 s19, s11, 8
	s_mov_b32 s18, 0
	s_xor_b32 s20, vcc_lo, -1
.LBB2_53:                               ; =>This Loop Header: Depth=1
                                        ;     Child Loop BB2_63 Depth 2
                                        ;     Child Loop BB2_93 Depth 2
	;; [unrolled: 1-line block ×10, first 2 shown]
	v_sub_co_u32 v10, vcc_lo, v4, v38
	v_sub_co_ci_u32_e32 v11, vcc_lo, v5, v39, vcc_lo
	v_mov_b32_e32 v12, 0
	s_delay_alu instid0(VALU_DEP_2) | instskip(SKIP_2) | instid1(VALU_DEP_2)
	v_cmp_lt_u64_e32 vcc_lo, v[32:33], v[10:11]
	v_cndmask_b32_e32 v48, v10, v32, vcc_lo
	v_cndmask_b32_e64 v49, v11, 0, vcc_lo
	v_add_nc_u32_e32 v10, 15, v48
	s_delay_alu instid0(VALU_DEP_2) | instskip(NEXT) | instid1(VALU_DEP_2)
	v_cmp_eq_u64_e32 vcc_lo, 0, v[48:49]
	v_and_b32_e32 v10, 0x7ffffff0, v10
	s_or_b32 s21, s2, vcc_lo
	s_delay_alu instid0(SALU_CYCLE_1) | instskip(NEXT) | instid1(VALU_DEP_1)
	s_xor_b32 s11, s21, -1
	v_max_i32_e32 v49, s19, v10
	s_and_saveexec_b32 s22, s11
	s_cbranch_execz .LBB2_2036
; %bb.54:                               ;   in Loop: Header=BB2_53 Depth=1
	s_and_saveexec_b32 s11, s0
	s_cbranch_execz .LBB2_57
; %bb.55:                               ;   in Loop: Header=BB2_53 Depth=1
	s_cbranch_execz .LBB2_56
; %bb.4663:
	s_getpc_b64 s[34:35]
.Lpost_getpc16:
	s_add_u32 s34, s34, (.LBB2_4410-.Lpost_getpc16)&4294967295
	s_addc_u32 s35, s35, (.LBB2_4410-.Lpost_getpc16)>>32
	s_setpc_b64 s[34:35]
.LBB2_56:                               ;   in Loop: Header=BB2_53 Depth=1
	ds_load_b64 v[10:11], v0
	v_mov_b32_e32 v36, v37
	s_waitcnt lgkmcnt(0)
	v_add_co_u32 v10, vcc_lo, v10, v18
	v_add_co_ci_u32_e32 v11, vcc_lo, v11, v19, vcc_lo
	s_delay_alu instid0(VALU_DEP_2) | instskip(NEXT) | instid1(VALU_DEP_2)
	v_add_co_u32 v10, vcc_lo, v10, v38
	v_add_co_ci_u32_e32 v11, vcc_lo, v11, v39, vcc_lo
	ds_store_b64 v0, v[10:11]
	ds_store_b64 v0, v[36:37]
.LBB2_57:                               ;   in Loop: Header=BB2_53 Depth=1
	s_or_b32 exec_lo, exec_lo, s11
	v_and_b32_e32 v10, 12, v64
	s_mov_b32 s12, -1
	s_mov_b32 s11, exec_lo
	s_delay_alu instid0(VALU_DEP_1)
	v_cmpx_ne_u32_e32 0, v10
	s_cbranch_execz .LBB2_71
; %bb.58:                               ;   in Loop: Header=BB2_53 Depth=1
	v_and_b32_e32 v12, 8, v64
	s_delay_alu instid0(VALU_DEP_1) | instskip(SKIP_3) | instid1(VALU_DEP_1)
	v_add_co_u32 v13, vcc_lo, v26, v12
	v_add_co_ci_u32_e32 v14, vcc_lo, 0, v27, vcc_lo
	v_add_co_u32 v10, vcc_lo, v8, 1
	v_add_co_ci_u32_e32 v11, vcc_lo, 0, v9, vcc_lo
	v_cmp_lt_u64_e32 vcc_lo, v[13:14], v[10:11]
	v_mov_b32_e32 v13, 1
	s_and_saveexec_b32 s12, vcc_lo
	s_cbranch_execz .LBB2_70
; %bb.59:                               ;   in Loop: Header=BB2_53 Depth=1
	v_mov_b32_e32 v13, 0
	s_mov_b32 s23, 0
                                        ; implicit-def: $sgpr24
	s_branch .LBB2_63
.LBB2_60:                               ;   in Loop: Header=BB2_63 Depth=2
	s_or_b32 exec_lo, exec_lo, s28
	v_mov_b32_e32 v14, 0
	s_or_not1_b32 s27, s27, exec_lo
.LBB2_61:                               ;   in Loop: Header=BB2_63 Depth=2
	s_or_b32 exec_lo, exec_lo, s26
	s_delay_alu instid0(VALU_DEP_1) | instskip(SKIP_2) | instid1(SALU_CYCLE_1)
	v_mov_b32_e32 v13, v14
	s_and_not1_b32 s24, s24, exec_lo
	s_and_b32 s26, s27, exec_lo
	s_or_b32 s24, s24, s26
.LBB2_62:                               ;   in Loop: Header=BB2_63 Depth=2
	s_or_b32 exec_lo, exec_lo, s25
	s_waitcnt vmcnt(0) lgkmcnt(0)
	v_add_co_u32 v14, vcc_lo, v26, v12
	v_add_co_ci_u32_e32 v15, vcc_lo, 0, v27, vcc_lo
	s_xor_b32 s25, s24, -1
	s_delay_alu instid0(VALU_DEP_1) | instskip(SKIP_1) | instid1(SALU_CYCLE_1)
	v_cmp_ge_u64_e32 vcc_lo, v[14:15], v[10:11]
	s_or_b32 s25, s25, vcc_lo
	s_and_b32 s25, exec_lo, s25
	s_delay_alu instid0(SALU_CYCLE_1) | instskip(NEXT) | instid1(SALU_CYCLE_1)
	s_or_b32 s23, s25, s23
	s_and_not1_b32 exec_lo, exec_lo, s23
	s_cbranch_execz .LBB2_69
.LBB2_63:                               ;   Parent Loop BB2_53 Depth=1
                                        ; =>  This Inner Loop Header: Depth=2
	s_sleep 1
	flat_load_b64 v[26:27], v[22:23] glc
	v_and_b32_e32 v14, 64, v64
	s_and_not1_b32 s24, s24, exec_lo
	s_mov_b32 s25, exec_lo
	s_delay_alu instid0(VALU_DEP_1)
	v_cmpx_eq_u32_e32 0, v14
	s_cbranch_execz .LBB2_62
; %bb.64:                               ;   in Loop: Header=BB2_63 Depth=2
	v_add_nc_u32_e32 v14, 1, v13
	s_mov_b32 s27, -1
	s_mov_b32 s26, exec_lo
	v_cmpx_lt_i32_e32 0x270e, v13
	s_cbranch_execz .LBB2_61
; %bb.65:                               ;   in Loop: Header=BB2_63 Depth=2
	s_cbranch_execz .LBB2_66
; %bb.4665:
	s_getpc_b64 s[34:35]
.Lpost_getpc17:
	s_add_u32 s34, s34, (.LBB2_4432-.Lpost_getpc17)&4294967295
	s_addc_u32 s35, s35, (.LBB2_4432-.Lpost_getpc17)>>32
	s_setpc_b64 s[34:35]
.LBB2_66:                               ;   in Loop: Header=BB2_63 Depth=2
	ds_load_b64 v[13:14], v0
	s_mov_b32 s28, exec_lo
	s_waitcnt vmcnt(0) lgkmcnt(0)
	s_waitcnt_vscnt null, 0x0
	flat_load_b32 v13, v[13:14] glc
	s_waitcnt vmcnt(0) lgkmcnt(0)
	buffer_gl1_inv
	buffer_gl0_inv
	v_cmpx_ne_u32_e32 0, v13
	s_cbranch_execz .LBB2_60
; %bb.67:                               ;   in Loop: Header=BB2_63 Depth=2
	ds_store_b32 v0, v13
	s_cbranch_execz .LBB2_68
; %bb.4667:
	s_getpc_b64 s[34:35]
.Lpost_getpc18:
	s_add_u32 s34, s34, (.LBB2_4465-.Lpost_getpc18)&4294967295
	s_addc_u32 s35, s35, (.LBB2_4465-.Lpost_getpc18)>>32
	s_setpc_b64 s[34:35]
.LBB2_68:                               ;   in Loop: Header=BB2_63 Depth=2
	v_or_b32_e32 v64, 64, v64
	s_xor_b32 s27, exec_lo, -1
	s_branch .LBB2_60
.LBB2_69:                               ;   in Loop: Header=BB2_53 Depth=1
	s_or_b32 exec_lo, exec_lo, s23
	v_and_b32_e32 v13, 12, v64
.LBB2_70:                               ;   in Loop: Header=BB2_53 Depth=1
	s_or_b32 exec_lo, exec_lo, s12
	s_delay_alu instid0(VALU_DEP_1)
	v_cmp_eq_u32_e32 vcc_lo, 0, v13
	;;#ASMSTART
	s_wakeup
	;;#ASMEND
	s_or_not1_b32 s12, vcc_lo, exec_lo
.LBB2_71:                               ;   in Loop: Header=BB2_53 Depth=1
	s_or_b32 exec_lo, exec_lo, s11
	v_min_u32_e32 v49, v49, v48
	s_xor_b32 s11, s12, -1
	s_delay_alu instid0(SALU_CYCLE_1)
	s_and_saveexec_b32 s12, s11
	s_cbranch_execz .LBB2_84
; %bb.72:                               ;   in Loop: Header=BB2_53 Depth=1
	v_and_b32_e32 v10, 0x108, v64
	v_and_b32_e32 v14, 7, v8
	s_mov_b32 s11, exec_lo
	s_delay_alu instid0(VALU_DEP_2) | instskip(SKIP_1) | instid1(SALU_CYCLE_1)
	v_cmpx_ne_u32_e32 0x108, v10
	s_xor_b32 s11, exec_lo, s11
	s_and_not1_saveexec_b32 s11, s11
	s_cbranch_execz .LBB2_74
; %bb.73:                               ;   in Loop: Header=BB2_53 Depth=1
	v_mad_u64_u32 v[10:11], null, v14, 24, v[6:7]
	v_mov_b32_e32 v50, v37
	flat_store_b64 v[10:11], v[49:50] offset:8
.LBB2_74:                               ;   in Loop: Header=BB2_53 Depth=1
	s_or_b32 exec_lo, exec_lo, s11
	v_and_b32_e32 v10, 0x100, v64
	s_mov_b32 s11, -1
	s_delay_alu instid0(VALU_DEP_1)
	v_cmp_ne_u32_e32 vcc_lo, 0, v10
                                        ; implicit-def: $vgpr10_vgpr11
	s_and_saveexec_b32 s23, vcc_lo
	s_cbranch_execnz .LBB2_77
; %bb.75:                               ;   in Loop: Header=BB2_53 Depth=1
	s_or_b32 exec_lo, exec_lo, s23
	s_and_saveexec_b32 s23, s11
	s_cbranch_execnz .LBB2_80
.LBB2_76:                               ;   in Loop: Header=BB2_53 Depth=1
	s_or_b32 exec_lo, exec_lo, s23
	s_cbranch_execz .LBB2_81
; %bb.4669:
	s_getpc_b64 s[34:35]
.Lpost_getpc19:
	s_add_u32 s34, s34, (.LBB2_4426-.Lpost_getpc19)&4294967295
	s_addc_u32 s35, s35, (.LBB2_4426-.Lpost_getpc19)>>32
	s_setpc_b64 s[34:35]
.LBB2_77:                               ;   in Loop: Header=BB2_53 Depth=1
	v_mad_u64_u32 v[12:13], null, v14, 24, v[6:7]
	s_delay_alu instid0(VALU_DEP_1) | instskip(NEXT) | instid1(VALU_DEP_1)
	v_mov_b32_e32 v10, v13
	v_mad_u64_u32 v[15:16], null, v37, 24, v[10:11]
	s_delay_alu instid0(VALU_DEP_1) | instskip(SKIP_4) | instid1(VALU_DEP_1)
	v_mov_b32_e32 v13, v15
	flat_load_b32 v10, v[12:13]
	s_waitcnt vmcnt(0) lgkmcnt(0)
	v_cmp_ne_u32_e32 vcc_lo, 1, v10
	v_cmp_eq_u32_e64 s11, 1, v10
                                        ; implicit-def: $vgpr10_vgpr11
	s_and_saveexec_b32 s24, s11
	s_cbranch_execz .LBB2_79
; %bb.78:                               ;   in Loop: Header=BB2_53 Depth=1
	flat_load_b32 v10, v[12:13] offset:4 glc
	s_waitcnt vmcnt(0) lgkmcnt(0)
	v_ashrrev_i32_e32 v11, 31, v10
.LBB2_79:                               ;   in Loop: Header=BB2_53 Depth=1
	s_or_b32 exec_lo, exec_lo, s24
	s_delay_alu instid0(SALU_CYCLE_1)
	s_or_not1_b32 s11, vcc_lo, exec_lo
	s_or_b32 exec_lo, exec_lo, s23
	s_and_saveexec_b32 s23, s11
	s_cbranch_execz .LBB2_76
.LBB2_80:                               ;   in Loop: Header=BB2_53 Depth=1
	v_mul_lo_u32 v12, v37, v65
	v_mul_lo_u32 v13, v14, v66
	v_mad_u64_u32 v[10:11], null, v14, v65, 0
	s_delay_alu instid0(VALU_DEP_1)
	v_add3_u32 v11, v11, v13, v12
	s_or_b32 exec_lo, exec_lo, s23
	s_cbranch_execz .LBB2_81
; %bb.4671:
	s_getpc_b64 s[34:35]
.Lpost_getpc20:
	s_add_u32 s34, s34, (.LBB2_4426-.Lpost_getpc20)&4294967295
	s_addc_u32 s35, s35, (.LBB2_4426-.Lpost_getpc20)>>32
	s_setpc_b64 s[34:35]
.LBB2_81:                               ;   in Loop: Header=BB2_53 Depth=1
	s_delay_alu instid0(VALU_DEP_2)
	v_add_co_u32 v10, vcc_lo, v24, v10
	v_and_b32_e32 v12, 0x2000, v64
	v_add_co_ci_u32_e32 v11, vcc_lo, v25, v11, vcc_lo
	s_mov_b32 s11, exec_lo
	ds_store_b64 v0, v[10:11]
	v_cmpx_ne_u32_e32 0, v12
	s_cbranch_execz .LBB2_83
; %bb.82:                               ;   in Loop: Header=BB2_53 Depth=1
	ds_load_b64 v[10:11], v0 offset:584
	s_waitcnt lgkmcnt(0)
	v_add_co_u32 v10, vcc_lo, v10, 1
	v_add_co_ci_u32_e32 v11, vcc_lo, 0, v11, vcc_lo
	ds_store_b64 v0, v[10:11] offset:584
.LBB2_83:                               ;   in Loop: Header=BB2_53 Depth=1
	s_or_b32 exec_lo, exec_lo, s11
	v_add_co_u32 v8, vcc_lo, v8, 1
	v_add_co_ci_u32_e32 v9, vcc_lo, 0, v9, vcc_lo
.LBB2_84:                               ;   in Loop: Header=BB2_53 Depth=1
	s_or_b32 exec_lo, exec_lo, s12
	s_and_saveexec_b32 s11, s3
	s_cbranch_execz .LBB2_106
; %bb.85:                               ;   in Loop: Header=BB2_53 Depth=1
	s_and_saveexec_b32 s12, s4
	s_delay_alu instid0(SALU_CYCLE_1)
	s_xor_b32 s12, exec_lo, s12
	s_cbranch_execz .LBB2_103
; %bb.86:                               ;   in Loop: Header=BB2_53 Depth=1
	s_and_saveexec_b32 s23, s5
	s_cbranch_execz .LBB2_102
; %bb.87:                               ;   in Loop: Header=BB2_53 Depth=1
	s_mov_b32 s25, exec_lo
	s_mov_b32 s24, exec_lo
	v_mbcnt_lo_u32_b32 v10, s25, 0
	s_waitcnt vmcnt(0) lgkmcnt(0)
	s_waitcnt_vscnt null, 0x0
	buffer_gl1_inv
	buffer_gl0_inv
	v_cmpx_eq_u32_e32 0, v10
	s_cbranch_execz .LBB2_89
; %bb.88:                               ;   in Loop: Header=BB2_53 Depth=1
	s_bcnt1_i32_b32 s25, s25
	s_delay_alu instid0(SALU_CYCLE_1)
	v_mov_b32_e32 v36, s25
	ds_add_u64 v0, v[36:37]
	s_cbranch_execz .LBB2_89
; %bb.4673:
	s_getpc_b64 s[34:35]
.Lpost_getpc21:
	s_add_u32 s34, s34, (.LBB2_4495-.Lpost_getpc21)&4294967295
	s_addc_u32 s35, s35, (.LBB2_4495-.Lpost_getpc21)>>32
	s_setpc_b64 s[34:35]
.LBB2_89:                               ;   in Loop: Header=BB2_53 Depth=1
	s_or_b32 exec_lo, exec_lo, s24
	s_cbranch_execz .LBB2_90
; %bb.4675:
	s_getpc_b64 s[34:35]
.Lpost_getpc22:
	s_add_u32 s34, s34, (.LBB2_4483-.Lpost_getpc22)&4294967295
	s_addc_u32 s35, s35, (.LBB2_4483-.Lpost_getpc22)>>32
	s_setpc_b64 s[34:35]
.LBB2_90:                               ;   in Loop: Header=BB2_53 Depth=1
	ds_load_b64 v[10:11], v0
	v_add_co_u32 v28, vcc_lo, v28, v67
	v_add_co_ci_u32_e32 v29, vcc_lo, 0, v29, vcc_lo
	s_mov_b32 s24, exec_lo
	s_waitcnt lgkmcnt(0)
	s_delay_alu instid0(VALU_DEP_1)
	v_cmpx_lt_u64_e64 v[10:11], v[28:29]
	s_cbranch_execz .LBB2_101
; %bb.91:                               ;   in Loop: Header=BB2_53 Depth=1
	s_mov_b32 s25, 0
	s_mov_b32 s28, 0
                                        ; implicit-def: $sgpr26
                                        ; implicit-def: $sgpr27
	s_branch .LBB2_93
.LBB2_92:                               ;   in Loop: Header=BB2_93 Depth=2
	s_or_b32 exec_lo, exec_lo, vcc_hi
	s_delay_alu instid0(SALU_CYCLE_1) | instskip(NEXT) | instid1(SALU_CYCLE_1)
	s_and_b32 s29, exec_lo, vcc_lo
	s_or_b32 s25, s29, s25
	s_and_not1_b32 s26, s26, exec_lo
	s_and_b32 s29, s27, exec_lo
	s_delay_alu instid0(SALU_CYCLE_1)
	s_or_b32 s26, s26, s29
	s_and_not1_b32 exec_lo, exec_lo, s25
	s_cbranch_execz .LBB2_99
.LBB2_93:                               ;   Parent Loop BB2_53 Depth=1
                                        ; =>  This Inner Loop Header: Depth=2
	s_add_i32 s28, s28, 1
                                        ; implicit-def: $vcc_hi
	s_delay_alu instid0(SALU_CYCLE_1) | instskip(SKIP_1) | instid1(SALU_CYCLE_1)
	s_cmpk_lg_i32 s28, 0x2710
	s_cselect_b32 s29, -1, 0
	s_and_b32 vcc_lo, exec_lo, s29
	s_cbranch_vccz .LBB2_97
.LBB2_94:                               ;   in Loop: Header=BB2_93 Depth=2
	s_and_not1_b32 s27, s27, exec_lo
	s_and_b32 vcc_hi, vcc_hi, exec_lo
	s_mov_b32 vcc_lo, -1
	s_or_b32 s27, s27, vcc_hi
	s_and_saveexec_b32 vcc_hi, s29
	s_cbranch_execz .LBB2_92
; %bb.95:                               ;   in Loop: Header=BB2_93 Depth=2
	s_sleep 1
	s_cbranch_execz .LBB2_96
; %bb.4677:
	s_getpc_b64 s[34:35]
.Lpost_getpc23:
	s_add_u32 s34, s34, (.LBB2_4527-.Lpost_getpc23)&4294967295
	s_addc_u32 s35, s35, (.LBB2_4527-.Lpost_getpc23)>>32
	s_setpc_b64 s[34:35]
.LBB2_96:                               ;   in Loop: Header=BB2_93 Depth=2
	ds_load_b64 v[10:11], v0
	s_and_not1_b32 s27, s27, exec_lo
	s_waitcnt lgkmcnt(0)
	v_cmp_ge_u64_e32 vcc_lo, v[10:11], v[28:29]
	s_or_not1_b32 vcc_lo, vcc_lo, exec_lo
	s_branch .LBB2_92
.LBB2_97:                               ;   in Loop: Header=BB2_93 Depth=2
	s_cbranch_execz .LBB2_98
; %bb.4679:
	s_getpc_b64 s[34:35]
.Lpost_getpc24:
	s_add_u32 s34, s34, (.LBB2_4535-.Lpost_getpc24)&4294967295
	s_addc_u32 s35, s35, (.LBB2_4535-.Lpost_getpc24)>>32
	s_setpc_b64 s[34:35]
.LBB2_98:                               ;   in Loop: Header=BB2_93 Depth=2
	ds_load_b64 v[10:11], v0
	s_and_not1_b32 s29, s29, exec_lo
	s_mov_b32 s28, 0
	s_waitcnt lgkmcnt(0)
	flat_load_b32 v10, v[10:11] glc
	s_waitcnt vmcnt(0) lgkmcnt(0)
	buffer_gl1_inv
	buffer_gl0_inv
	v_cmp_eq_u32_e32 vcc_lo, 0, v10
	s_mov_b32 vcc_hi, -1
	s_and_b32 vcc_lo, vcc_lo, exec_lo
	s_delay_alu instid0(SALU_CYCLE_1)
	s_or_b32 s29, s29, vcc_lo
	s_branch .LBB2_94
.LBB2_99:                               ;   in Loop: Header=BB2_53 Depth=1
	s_or_b32 exec_lo, exec_lo, s25
	s_and_saveexec_b32 s25, s26
	s_delay_alu instid0(SALU_CYCLE_1)
	s_xor_b32 s25, exec_lo, s25
	s_cbranch_execz .LBB2_101
; %bb.100:                              ;   in Loop: Header=BB2_53 Depth=1
	ds_store_b32 v0, v87
	s_cbranch_execz .LBB2_101
; %bb.4681:
	s_getpc_b64 s[34:35]
.Lpost_getpc25:
	s_add_u32 s34, s34, (.LBB2_4613-.Lpost_getpc25)&4294967295
	s_addc_u32 s35, s35, (.LBB2_4613-.Lpost_getpc25)>>32
	s_setpc_b64 s[34:35]
.LBB2_101:                              ;   in Loop: Header=BB2_53 Depth=1
	s_or_b32 exec_lo, exec_lo, s24
	;;#ASMSTART
	s_wakeup
	;;#ASMEND
.LBB2_102:                              ;   in Loop: Header=BB2_53 Depth=1
	s_or_b32 exec_lo, exec_lo, s23
.LBB2_103:                              ;   in Loop: Header=BB2_53 Depth=1
	s_and_not1_saveexec_b32 s12, s12
	s_cbranch_execz .LBB2_105
; %bb.104:                              ;   in Loop: Header=BB2_53 Depth=1
	s_waitcnt vmcnt(0) lgkmcnt(0)
	s_waitcnt_vscnt null, 0x0
	buffer_gl1_inv
	buffer_gl0_inv
	s_barrier
.LBB2_105:                              ;   in Loop: Header=BB2_53 Depth=1
	s_or_b32 exec_lo, exec_lo, s12
.LBB2_106:                              ;   in Loop: Header=BB2_53 Depth=1
	s_delay_alu instid0(SALU_CYCLE_1)
	s_or_b32 exec_lo, exec_lo, s11
	s_cbranch_execz .LBB2_107
; %bb.4683:
	s_getpc_b64 s[34:35]
.Lpost_getpc26:
	s_add_u32 s34, s34, (.LBB2_4416-.Lpost_getpc26)&4294967295
	s_addc_u32 s35, s35, (.LBB2_4416-.Lpost_getpc26)>>32
	s_setpc_b64 s[34:35]
.LBB2_107:                              ;   in Loop: Header=BB2_53 Depth=1
	ds_load_b32 v10, v0
	v_and_b32_e32 v11, 0x4000, v64
	s_delay_alu instid0(VALU_DEP_1) | instskip(SKIP_1) | instid1(SALU_CYCLE_1)
	v_cmp_ne_u32_e32 vcc_lo, 0, v11
	s_and_b32 s12, s20, vcc_lo
	s_and_saveexec_b32 s11, s12
	s_cbranch_execz .LBB2_129
; %bb.108:                              ;   in Loop: Header=BB2_53 Depth=1
	s_and_saveexec_b32 s12, s4
	s_delay_alu instid0(SALU_CYCLE_1)
	s_xor_b32 s12, exec_lo, s12
	s_cbranch_execz .LBB2_126
; %bb.109:                              ;   in Loop: Header=BB2_53 Depth=1
	s_and_saveexec_b32 s23, s5
	s_cbranch_execz .LBB2_125
; %bb.110:                              ;   in Loop: Header=BB2_53 Depth=1
	s_mov_b32 s25, exec_lo
	s_mov_b32 s24, exec_lo
	v_mbcnt_lo_u32_b32 v11, s25, 0
	s_waitcnt vmcnt(0) lgkmcnt(0)
	s_waitcnt_vscnt null, 0x0
	buffer_gl1_inv
	buffer_gl0_inv
	v_cmpx_eq_u32_e32 0, v11
	s_cbranch_execz .LBB2_112
; %bb.111:                              ;   in Loop: Header=BB2_53 Depth=1
	s_bcnt1_i32_b32 s25, s25
	s_delay_alu instid0(SALU_CYCLE_1)
	v_mov_b32_e32 v36, s25
	ds_add_u64 v0, v[36:37]
	s_cbranch_execz .LBB2_112
; %bb.4685:
	s_getpc_b64 s[34:35]
.Lpost_getpc27:
	s_add_u32 s34, s34, (.LBB2_4523-.Lpost_getpc27)&4294967295
	s_addc_u32 s35, s35, (.LBB2_4523-.Lpost_getpc27)>>32
	s_setpc_b64 s[34:35]
.LBB2_112:                              ;   in Loop: Header=BB2_53 Depth=1
	s_or_b32 exec_lo, exec_lo, s24
	s_cbranch_execz .LBB2_113
; %bb.4687:
	s_getpc_b64 s[34:35]
.Lpost_getpc28:
	s_add_u32 s34, s34, (.LBB2_4511-.Lpost_getpc28)&4294967295
	s_addc_u32 s35, s35, (.LBB2_4511-.Lpost_getpc28)>>32
	s_setpc_b64 s[34:35]
.LBB2_113:                              ;   in Loop: Header=BB2_53 Depth=1
	ds_load_b64 v[11:12], v0
	v_add_co_u32 v28, vcc_lo, v28, v67
	v_add_co_ci_u32_e32 v29, vcc_lo, 0, v29, vcc_lo
	s_mov_b32 s24, exec_lo
	s_waitcnt lgkmcnt(0)
	s_delay_alu instid0(VALU_DEP_1)
	v_cmpx_lt_u64_e64 v[11:12], v[28:29]
	s_cbranch_execz .LBB2_124
; %bb.114:                              ;   in Loop: Header=BB2_53 Depth=1
	s_mov_b32 s25, 0
	s_mov_b32 s28, 0
                                        ; implicit-def: $sgpr26
                                        ; implicit-def: $sgpr27
	s_branch .LBB2_116
.LBB2_115:                              ;   in Loop: Header=BB2_116 Depth=2
	s_or_b32 exec_lo, exec_lo, vcc_hi
	s_delay_alu instid0(SALU_CYCLE_1) | instskip(NEXT) | instid1(SALU_CYCLE_1)
	s_and_b32 s29, exec_lo, vcc_lo
	s_or_b32 s25, s29, s25
	s_and_not1_b32 s26, s26, exec_lo
	s_and_b32 s29, s27, exec_lo
	s_delay_alu instid0(SALU_CYCLE_1)
	s_or_b32 s26, s26, s29
	s_and_not1_b32 exec_lo, exec_lo, s25
	s_cbranch_execz .LBB2_122
.LBB2_116:                              ;   Parent Loop BB2_53 Depth=1
                                        ; =>  This Inner Loop Header: Depth=2
	s_add_i32 s28, s28, 1
                                        ; implicit-def: $vcc_hi
	s_delay_alu instid0(SALU_CYCLE_1) | instskip(SKIP_1) | instid1(SALU_CYCLE_1)
	s_cmpk_lg_i32 s28, 0x2710
	s_cselect_b32 s29, -1, 0
	s_and_b32 vcc_lo, exec_lo, s29
	s_cbranch_vccz .LBB2_120
.LBB2_117:                              ;   in Loop: Header=BB2_116 Depth=2
	s_and_not1_b32 s27, s27, exec_lo
	s_and_b32 vcc_hi, vcc_hi, exec_lo
	s_mov_b32 vcc_lo, -1
	s_or_b32 s27, s27, vcc_hi
	s_and_saveexec_b32 vcc_hi, s29
	s_cbranch_execz .LBB2_115
; %bb.118:                              ;   in Loop: Header=BB2_116 Depth=2
	s_sleep 1
	s_cbranch_execz .LBB2_119
; %bb.4689:
	s_getpc_b64 s[34:35]
.Lpost_getpc29:
	s_add_u32 s34, s34, (.LBB2_4569-.Lpost_getpc29)&4294967295
	s_addc_u32 s35, s35, (.LBB2_4569-.Lpost_getpc29)>>32
	s_setpc_b64 s[34:35]
.LBB2_119:                              ;   in Loop: Header=BB2_116 Depth=2
	ds_load_b64 v[11:12], v0
	s_and_not1_b32 s27, s27, exec_lo
	s_waitcnt lgkmcnt(0)
	v_cmp_ge_u64_e32 vcc_lo, v[11:12], v[28:29]
	s_or_not1_b32 vcc_lo, vcc_lo, exec_lo
	s_branch .LBB2_115
.LBB2_120:                              ;   in Loop: Header=BB2_116 Depth=2
	s_cbranch_execz .LBB2_121
; %bb.4691:
	s_getpc_b64 s[34:35]
.Lpost_getpc30:
	s_add_u32 s34, s34, (.LBB2_4583-.Lpost_getpc30)&4294967295
	s_addc_u32 s35, s35, (.LBB2_4583-.Lpost_getpc30)>>32
	s_setpc_b64 s[34:35]
.LBB2_121:                              ;   in Loop: Header=BB2_116 Depth=2
	ds_load_b64 v[11:12], v0
	s_and_not1_b32 s29, s29, exec_lo
	s_mov_b32 s28, 0
	s_waitcnt lgkmcnt(0)
	flat_load_b32 v11, v[11:12] glc
	s_waitcnt vmcnt(0) lgkmcnt(0)
	buffer_gl1_inv
	buffer_gl0_inv
	v_cmp_eq_u32_e32 vcc_lo, 0, v11
	s_mov_b32 vcc_hi, -1
	s_and_b32 vcc_lo, vcc_lo, exec_lo
	s_delay_alu instid0(SALU_CYCLE_1)
	s_or_b32 s29, s29, vcc_lo
	s_branch .LBB2_117
.LBB2_122:                              ;   in Loop: Header=BB2_53 Depth=1
	s_or_b32 exec_lo, exec_lo, s25
	s_and_saveexec_b32 s25, s26
	s_delay_alu instid0(SALU_CYCLE_1)
	s_xor_b32 s25, exec_lo, s25
	s_cbranch_execz .LBB2_124
; %bb.123:                              ;   in Loop: Header=BB2_53 Depth=1
	ds_store_b32 v0, v87
	s_cbranch_execz .LBB2_124
; %bb.4693:
	s_getpc_b64 s[34:35]
.Lpost_getpc31:
	s_add_u32 s34, s34, (.LBB2_4623-.Lpost_getpc31)&4294967295
	s_addc_u32 s35, s35, (.LBB2_4623-.Lpost_getpc31)>>32
	s_setpc_b64 s[34:35]
.LBB2_124:                              ;   in Loop: Header=BB2_53 Depth=1
	s_or_b32 exec_lo, exec_lo, s24
	;;#ASMSTART
	s_wakeup
	;;#ASMEND
.LBB2_125:                              ;   in Loop: Header=BB2_53 Depth=1
	s_or_b32 exec_lo, exec_lo, s23
.LBB2_126:                              ;   in Loop: Header=BB2_53 Depth=1
	s_and_not1_saveexec_b32 s12, s12
	s_cbranch_execz .LBB2_128
; %bb.127:                              ;   in Loop: Header=BB2_53 Depth=1
	s_waitcnt vmcnt(0) lgkmcnt(0)
	s_waitcnt_vscnt null, 0x0
	buffer_gl1_inv
	buffer_gl0_inv
	s_barrier
.LBB2_128:                              ;   in Loop: Header=BB2_53 Depth=1
	s_or_b32 exec_lo, exec_lo, s12
.LBB2_129:                              ;   in Loop: Header=BB2_53 Depth=1
	s_delay_alu instid0(SALU_CYCLE_1)
	s_or_b32 exec_lo, exec_lo, s11
	s_cbranch_execz .LBB2_130
; %bb.4695:
	s_getpc_b64 s[34:35]
.Lpost_getpc32:
	s_add_u32 s34, s34, (.LBB2_4451-.Lpost_getpc32)&4294967295
	s_addc_u32 s35, s35, (.LBB2_4451-.Lpost_getpc32)>>32
	s_setpc_b64 s[34:35]
.LBB2_130:                              ;   in Loop: Header=BB2_53 Depth=1
	ds_load_b64 v[11:12], v0
	s_waitcnt lgkmcnt(0)
	v_cmp_eq_u64_e32 vcc_lo, 0, v[11:12]
	s_or_b32 s11, vcc_lo, vcc_lo
	s_delay_alu instid0(SALU_CYCLE_1)
	s_and_b32 vcc_lo, exec_lo, s11
	s_mov_b32 s11, 0
	s_cbranch_vccnz .LBB2_2007
; %bb.131:                              ;   in Loop: Header=BB2_53 Depth=1
	s_cbranch_execz .LBB2_132
; %bb.4697:
	s_getpc_b64 s[34:35]
.Lpost_getpc33:
	s_add_u32 s34, s34, (.LBB2_4477-.Lpost_getpc33)&4294967295
	s_addc_u32 s35, s35, (.LBB2_4477-.Lpost_getpc33)>>32
	s_setpc_b64 s[34:35]
.LBB2_132:                              ;   in Loop: Header=BB2_53 Depth=1
	ds_load_b64 v[11:12], v0
	s_mov_b32 s11, -1
	s_waitcnt lgkmcnt(0)
	v_readfirstlane_b32 s23, v11
	s_and_saveexec_b32 s12, s6
	s_cbranch_execz .LBB2_134
; %bb.133:                              ;   in Loop: Header=BB2_53 Depth=1
	ds_load_b32 v11, v0 offset:720
	s_waitcnt lgkmcnt(0)
	v_and_b32_e32 v11, 15, v11
	s_delay_alu instid0(VALU_DEP_1)
	v_cmp_eq_u32_e32 vcc_lo, 0, v11
	s_or_not1_b32 s11, vcc_lo, exec_lo
.LBB2_134:                              ;   in Loop: Header=BB2_53 Depth=1
	s_or_b32 exec_lo, exec_lo, s12
	s_and_saveexec_b32 s12, s7
	s_cbranch_execz .LBB2_136
; %bb.135:                              ;   in Loop: Header=BB2_53 Depth=1
	ds_load_b32 v11, v0 offset:784
	s_waitcnt lgkmcnt(0)
	v_and_b32_e32 v11, 15, v11
	s_delay_alu instid0(VALU_DEP_1) | instskip(SKIP_3) | instid1(SALU_CYCLE_1)
	v_cmp_eq_u32_e32 vcc_lo, 0, v11
	s_and_b32 s24, s11, vcc_lo
	s_and_not1_b32 s11, s11, exec_lo
	s_and_b32 s24, s24, exec_lo
	s_or_b32 s11, s11, s24
.LBB2_136:                              ;   in Loop: Header=BB2_53 Depth=1
	s_or_b32 exec_lo, exec_lo, s12
	v_cmp_eq_u32_e32 vcc_lo, 0, v10
	s_xor_b32 s11, s11, -1
	v_mov_b32_e32 v16, v0
	v_cndmask_b32_e64 v11, 0, 1, s11
	;;#ASMSTART
	;;#ASMEND
	v_cndmask_b32_e32 v36, 0, v49, vcc_lo
	s_delay_alu instid0(VALU_DEP_2) | instskip(SKIP_2) | instid1(VALU_DEP_3)
	v_cmp_ne_u32_e32 vcc_lo, 0, v11
	v_mov_b32_e32 v96, 0
	s_mov_b32 s24, -1
	v_mov_b32_e32 v97, v36
	s_cbranch_vccnz .LBB2_1590
; %bb.137:                              ;   in Loop: Header=BB2_53 Depth=1
	v_and_b32_e32 v98, 0x1ff, v36
	v_lshrrev_b32_e32 v10, 9, v36
	v_sub_nc_u32_e32 v96, v36, v68
	s_mov_b32 s24, exec_lo
	s_delay_alu instid0(VALU_DEP_3) | instskip(NEXT) | instid1(VALU_DEP_1)
	v_cmp_lt_u32_e64 s11, 15, v98
	v_add_co_ci_u32_e64 v99, vcc_lo, v10, v80, s11
	s_delay_alu instid0(VALU_DEP_3)
	v_cmpx_lt_i32_e32 15, v96
	s_cbranch_execz .LBB2_862
; %bb.138:                              ;   in Loop: Header=BB2_53 Depth=1
	s_cbranch_execz .LBB2_139
; %bb.4699:
	s_getpc_b64 s[34:35]
.Lpost_getpc34:
	s_add_u32 s34, s34, (.LBB2_4577-.Lpost_getpc34)&4294967295
	s_addc_u32 s35, s35, (.LBB2_4577-.Lpost_getpc34)>>32
	s_setpc_b64 s[34:35]
.LBB2_139:                              ;   in Loop: Header=BB2_53 Depth=1
	ds_load_b128 v[10:13], v0
	ds_load_b64 v[14:15], v0
	s_bitcmp1_b32 s23, 0
	s_mov_b32 s25, 0
	s_cselect_b32 s26, -1, 0
	s_waitcnt lgkmcnt(1)
	v_add_co_u32 v50, vcc_lo, v10, v68
	s_waitcnt vmcnt(0)
	v_add_co_ci_u32_e32 v51, vcc_lo, v11, v71, vcc_lo
	v_add_co_u32 v52, vcc_lo, v12, v68
	v_add_co_ci_u32_e32 v53, vcc_lo, v13, v71, vcc_lo
	s_waitcnt lgkmcnt(0)
	v_add_co_u32 v54, vcc_lo, v14, v68
	v_add_co_ci_u32_e32 v55, vcc_lo, v15, v71, vcc_lo
	s_branch .LBB2_143
.LBB2_140:                              ;   in Loop: Header=BB2_143 Depth=2
	s_or_b32 exec_lo, exec_lo, s12
	s_delay_alu instid0(VALU_DEP_1) | instskip(NEXT) | instid1(VALU_DEP_2)
	v_lshrrev_b32_e32 v17, 20, v17
	v_cmp_gt_i32_e32 vcc_lo, 16, v13
	v_min_i32_e32 v116, 15, v13
	v_lshrrev_b32_e32 v117, 24, v118
	s_delay_alu instid0(VALU_DEP_2) | instskip(NEXT) | instid1(VALU_DEP_2)
	v_dual_cndmask_b32 v17, 7, v17 :: v_dual_lshlrev_b32 v116, 3, v116
	v_and_b32_e32 v117, 0x80, v117
	s_delay_alu instid0(VALU_DEP_2) | instskip(SKIP_1) | instid1(VALU_DEP_2)
	v_or_b32_e32 v13, v13, v17
	v_and_b32_e32 v118, 7, v17
	v_cmp_ne_u32_e32 vcc_lo, 0, v13
	v_and_b32_e32 v116, 0xf8, v116
	s_delay_alu instid0(VALU_DEP_1) | instskip(NEXT) | instid1(VALU_DEP_1)
	v_or3_b32 v116, v117, v116, v118
	v_lshlrev_b32_e32 v17, 8, v116
	s_delay_alu instid0(VALU_DEP_1)
	v_cndmask_b32_e32 v13, 0, v17, vcc_lo
.LBB2_141:                              ;   in Loop: Header=BB2_143 Depth=2
	s_or_b32 exec_lo, exec_lo, s28
.LBB2_142:                              ;   in Loop: Header=BB2_143 Depth=2
	s_delay_alu instid0(SALU_CYCLE_1)
	s_or_b32 exec_lo, exec_lo, s27
	v_lshlrev_b32_e32 v17, 8, v102
	v_and_b32_e32 v101, 0xff, v101
	v_or_b32_e32 v11, v11, v103
	v_lshlrev_b32_e32 v100, 8, v100
	v_lshlrev_b32_e32 v102, 8, v112
	v_perm_b32 v14, v17, v14, 0xc0c0500
	v_lshlrev_b32_e32 v17, 16, v101
	v_and_b32_e32 v101, 0xff, v113
	v_lshlrev_b32_e32 v103, 8, v114
	v_lshlrev_b32_e32 v10, 24, v10
	v_perm_b32 v97, v100, v97, 0xc0c0500
	v_lshlrev_b32_e32 v12, 24, v12
	v_lshlrev_b32_e32 v100, 16, v101
	v_perm_b32 v15, v102, v15, 0xc0c0500
	v_perm_b32 v16, v103, v16, 0xc0c0500
	v_or_b32_e32 v13, v13, v115
	v_add_co_u32 v50, vcc_lo, v50, v81
	v_lshl_or_b32 v11, v11, 16, v14
	v_or3_b32 v10, v10, v17, v97
	v_or3_b32 v12, v12, v100, v15
	v_lshl_or_b32 v13, v13, 16, v16
	v_sub_nc_u32_e32 v96, v96, v69
	v_add_co_ci_u32_e32 v51, vcc_lo, v51, v82, vcc_lo
	v_add_co_u32 v52, vcc_lo, v52, v81
	v_add_co_ci_u32_e32 v53, vcc_lo, v53, v82, vcc_lo
	global_store_b128 v[54:55], v[10:13], off glc slc dlc
	v_cmp_gt_i32_e32 vcc_lo, 16, v96
	v_add_co_u32 v54, s12, v54, v81
	s_delay_alu instid0(VALU_DEP_1) | instskip(SKIP_2) | instid1(SALU_CYCLE_1)
	v_add_co_ci_u32_e64 v55, s12, v55, v82, s12
	v_sub_nc_u32_e32 v99, v99, v67
	s_or_b32 s25, vcc_lo, s25
	s_and_not1_b32 exec_lo, exec_lo, s25
	s_cbranch_execz .LBB2_861
.LBB2_143:                              ;   Parent Loop BB2_53 Depth=1
                                        ; =>  This Inner Loop Header: Depth=2
	global_load_b128 v[14:17], v[50:51], off slc dlc
	global_load_b128 v[10:13], v[52:53], off slc dlc
	s_and_b32 vcc_lo, exec_lo, s26
	s_cbranch_vccz .LBB2_153
; %bb.144:                              ;   in Loop: Header=BB2_143 Depth=2
	s_waitcnt vmcnt(1)
	v_and_b32_e32 v100, 0xff, v14
	s_mov_b32 s12, 0
	s_mov_b32 s28, exec_lo
                                        ; implicit-def: $sgpr27
	s_delay_alu instid0(VALU_DEP_1)
	v_cmpx_lt_i16_e32 0x7f, v100
	s_xor_b32 s28, exec_lo, s28
	s_cbranch_execnz .LBB2_605
; %bb.145:                              ;   in Loop: Header=BB2_143 Depth=2
	s_or_saveexec_b32 s28, s28
	v_mov_b32_e32 v97, s27
	s_xor_b32 exec_lo, exec_lo, s28
	s_cbranch_execnz .LBB2_608
.LBB2_146:                              ;   in Loop: Header=BB2_143 Depth=2
	s_or_b32 exec_lo, exec_lo, s28
	s_and_saveexec_b32 s27, s12
	s_cbranch_execz .LBB2_148
.LBB2_147:                              ;   in Loop: Header=BB2_143 Depth=2
	v_bfe_u32 v102, v14, 3, 4
	v_lshlrev_b32_e32 v103, 24, v14
	s_delay_alu instid0(VALU_DEP_2) | instskip(SKIP_1) | instid1(VALU_DEP_1)
	v_cmp_eq_u32_e32 vcc_lo, 0, v102
	v_and_b32_e32 v97, 7, v14
	v_clz_i32_u32_e32 v100, v97
	s_delay_alu instid0(VALU_DEP_1) | instskip(NEXT) | instid1(VALU_DEP_1)
	v_min_u32_e32 v100, 32, v100
	v_subrev_nc_u32_e32 v101, 28, v100
	v_sub_nc_u32_e32 v100, 29, v100
	s_delay_alu instid0(VALU_DEP_1) | instskip(NEXT) | instid1(VALU_DEP_1)
	v_dual_cndmask_b32 v100, v102, v100 :: v_dual_lshlrev_b32 v101, v101, v14
	v_and_b32_e32 v101, 7, v101
	s_delay_alu instid0(VALU_DEP_2) | instskip(NEXT) | instid1(VALU_DEP_2)
	v_lshl_add_u32 v100, v100, 23, 0x3b800000
	v_cndmask_b32_e32 v97, v97, v101, vcc_lo
	v_and_b32_e32 v101, 0x80000000, v103
	s_delay_alu instid0(VALU_DEP_2) | instskip(NEXT) | instid1(VALU_DEP_1)
	v_lshlrev_b32_e32 v97, 20, v97
	v_or3_b32 v97, v101, v100, v97
.LBB2_148:                              ;   in Loop: Header=BB2_143 Depth=2
	s_or_b32 exec_lo, exec_lo, s27
	s_waitcnt vmcnt(0)
	v_and_b32_e32 v101, 0xff, v10
	s_mov_b32 s12, 0
	s_mov_b32 s28, exec_lo
                                        ; implicit-def: $sgpr27
	s_delay_alu instid0(VALU_DEP_1)
	v_cmpx_lt_i16_e32 0x7f, v101
	s_xor_b32 s28, exec_lo, s28
	s_cbranch_execnz .LBB2_609
; %bb.149:                              ;   in Loop: Header=BB2_143 Depth=2
	s_or_saveexec_b32 s28, s28
	v_mov_b32_e32 v100, s27
	s_xor_b32 exec_lo, exec_lo, s28
	s_cbranch_execnz .LBB2_612
.LBB2_150:                              ;   in Loop: Header=BB2_143 Depth=2
	s_or_b32 exec_lo, exec_lo, s28
	s_and_saveexec_b32 s27, s12
	s_cbranch_execz .LBB2_152
.LBB2_151:                              ;   in Loop: Header=BB2_143 Depth=2
	v_bfe_u32 v103, v10, 3, 4
	v_lshlrev_b32_e32 v112, 24, v10
	s_delay_alu instid0(VALU_DEP_2) | instskip(SKIP_1) | instid1(VALU_DEP_1)
	v_cmp_eq_u32_e32 vcc_lo, 0, v103
	v_and_b32_e32 v100, 7, v10
	v_clz_i32_u32_e32 v101, v100
	s_delay_alu instid0(VALU_DEP_1) | instskip(NEXT) | instid1(VALU_DEP_1)
	v_min_u32_e32 v101, 32, v101
	v_subrev_nc_u32_e32 v102, 28, v101
	v_sub_nc_u32_e32 v101, 29, v101
	s_delay_alu instid0(VALU_DEP_1) | instskip(NEXT) | instid1(VALU_DEP_1)
	v_dual_cndmask_b32 v101, v103, v101 :: v_dual_lshlrev_b32 v102, v102, v10
	v_and_b32_e32 v102, 7, v102
	s_delay_alu instid0(VALU_DEP_2) | instskip(NEXT) | instid1(VALU_DEP_2)
	v_lshl_add_u32 v101, v101, 23, 0x3b800000
	v_cndmask_b32_e32 v100, v100, v102, vcc_lo
	v_and_b32_e32 v102, 0x80000000, v112
	s_delay_alu instid0(VALU_DEP_2) | instskip(NEXT) | instid1(VALU_DEP_1)
	v_lshlrev_b32_e32 v100, 20, v100
	v_or3_b32 v100, v102, v101, v100
.LBB2_152:                              ;   in Loop: Header=BB2_143 Depth=2
	s_or_b32 exec_lo, exec_lo, s27
	s_delay_alu instid0(VALU_DEP_1) | instskip(SKIP_1) | instid1(VALU_DEP_1)
	v_dual_max_f32 v100, v100, v100 :: v_dual_max_f32 v97, v97, v97
	s_mov_b32 s12, 0
	v_max_f32_e32 v100, v97, v100
	s_branch .LBB2_154
.LBB2_153:                              ;   in Loop: Header=BB2_143 Depth=2
	s_mov_b32 s12, -1
                                        ; implicit-def: $vgpr100
.LBB2_154:                              ;   in Loop: Header=BB2_143 Depth=2
	s_delay_alu instid0(SALU_CYCLE_1)
	s_and_b32 vcc_lo, exec_lo, s12
	s_cbranch_vccz .LBB2_164
; %bb.155:                              ;   in Loop: Header=BB2_143 Depth=2
	s_waitcnt vmcnt(1)
	v_and_b32_e32 v100, 0xff, v14
	s_mov_b32 s12, 0
	s_mov_b32 s28, exec_lo
                                        ; implicit-def: $sgpr27
	s_delay_alu instid0(VALU_DEP_1)
	v_cmpx_lt_i16_e32 0x7f, v100
	s_xor_b32 s28, exec_lo, s28
	s_cbranch_execnz .LBB2_613
; %bb.156:                              ;   in Loop: Header=BB2_143 Depth=2
	s_or_saveexec_b32 s28, s28
	v_mov_b32_e32 v97, s27
	s_xor_b32 exec_lo, exec_lo, s28
	s_cbranch_execnz .LBB2_616
.LBB2_157:                              ;   in Loop: Header=BB2_143 Depth=2
	s_or_b32 exec_lo, exec_lo, s28
	s_and_saveexec_b32 s27, s12
	s_cbranch_execz .LBB2_159
.LBB2_158:                              ;   in Loop: Header=BB2_143 Depth=2
	v_bfe_u32 v102, v14, 3, 4
	v_lshlrev_b32_e32 v103, 24, v14
	s_delay_alu instid0(VALU_DEP_2) | instskip(SKIP_1) | instid1(VALU_DEP_1)
	v_cmp_eq_u32_e32 vcc_lo, 0, v102
	v_and_b32_e32 v97, 7, v14
	v_clz_i32_u32_e32 v100, v97
	s_delay_alu instid0(VALU_DEP_1) | instskip(NEXT) | instid1(VALU_DEP_1)
	v_min_u32_e32 v100, 32, v100
	v_subrev_nc_u32_e32 v101, 28, v100
	v_sub_nc_u32_e32 v100, 29, v100
	s_delay_alu instid0(VALU_DEP_1) | instskip(NEXT) | instid1(VALU_DEP_1)
	v_dual_cndmask_b32 v100, v102, v100 :: v_dual_lshlrev_b32 v101, v101, v14
	v_and_b32_e32 v101, 7, v101
	s_delay_alu instid0(VALU_DEP_2) | instskip(NEXT) | instid1(VALU_DEP_2)
	v_lshl_add_u32 v100, v100, 23, 0x3b800000
	v_cndmask_b32_e32 v97, v97, v101, vcc_lo
	v_and_b32_e32 v101, 0x80000000, v103
	s_delay_alu instid0(VALU_DEP_2) | instskip(NEXT) | instid1(VALU_DEP_1)
	v_lshlrev_b32_e32 v97, 20, v97
	v_or3_b32 v97, v101, v100, v97
.LBB2_159:                              ;   in Loop: Header=BB2_143 Depth=2
	s_or_b32 exec_lo, exec_lo, s27
	s_waitcnt vmcnt(0)
	v_and_b32_e32 v101, 0xff, v10
	s_mov_b32 s12, 0
	s_mov_b32 s28, exec_lo
                                        ; implicit-def: $sgpr27
	s_delay_alu instid0(VALU_DEP_1)
	v_cmpx_lt_i16_e32 0x7f, v101
	s_xor_b32 s28, exec_lo, s28
	s_cbranch_execnz .LBB2_617
; %bb.160:                              ;   in Loop: Header=BB2_143 Depth=2
	s_or_saveexec_b32 s28, s28
	v_mov_b32_e32 v100, s27
	s_xor_b32 exec_lo, exec_lo, s28
	s_cbranch_execnz .LBB2_620
.LBB2_161:                              ;   in Loop: Header=BB2_143 Depth=2
	s_or_b32 exec_lo, exec_lo, s28
	s_and_saveexec_b32 s27, s12
	s_cbranch_execz .LBB2_163
.LBB2_162:                              ;   in Loop: Header=BB2_143 Depth=2
	v_bfe_u32 v103, v10, 3, 4
	v_lshlrev_b32_e32 v112, 24, v10
	s_delay_alu instid0(VALU_DEP_2) | instskip(SKIP_1) | instid1(VALU_DEP_1)
	v_cmp_eq_u32_e32 vcc_lo, 0, v103
	v_and_b32_e32 v100, 7, v10
	v_clz_i32_u32_e32 v101, v100
	s_delay_alu instid0(VALU_DEP_1) | instskip(NEXT) | instid1(VALU_DEP_1)
	v_min_u32_e32 v101, 32, v101
	v_subrev_nc_u32_e32 v102, 28, v101
	v_sub_nc_u32_e32 v101, 29, v101
	s_delay_alu instid0(VALU_DEP_1) | instskip(NEXT) | instid1(VALU_DEP_1)
	v_dual_cndmask_b32 v101, v103, v101 :: v_dual_lshlrev_b32 v102, v102, v10
	v_and_b32_e32 v102, 7, v102
	s_delay_alu instid0(VALU_DEP_2) | instskip(NEXT) | instid1(VALU_DEP_2)
	v_lshl_add_u32 v101, v101, 23, 0x3b800000
	v_cndmask_b32_e32 v100, v100, v102, vcc_lo
	v_and_b32_e32 v102, 0x80000000, v112
	s_delay_alu instid0(VALU_DEP_2) | instskip(NEXT) | instid1(VALU_DEP_1)
	v_lshlrev_b32_e32 v100, 20, v100
	v_or3_b32 v100, v102, v101, v100
.LBB2_163:                              ;   in Loop: Header=BB2_143 Depth=2
	s_or_b32 exec_lo, exec_lo, s27
	s_delay_alu instid0(VALU_DEP_1) | instskip(NEXT) | instid1(VALU_DEP_1)
	v_dual_max_f32 v100, v100, v100 :: v_dual_max_f32 v97, v97, v97
	v_min_f32_e32 v100, v97, v100
.LBB2_164:                              ;   in Loop: Header=BB2_143 Depth=2
	s_delay_alu instid0(VALU_DEP_1) | instskip(NEXT) | instid1(VALU_DEP_1)
	v_and_b32_e32 v97, 0x7f800000, v100
	v_cmp_ne_u32_e32 vcc_lo, 0x7f800000, v97
	v_mov_b32_e32 v97, 0x80
	s_and_saveexec_b32 s27, vcc_lo
	s_cbranch_execz .LBB2_172
; %bb.165:                              ;   in Loop: Header=BB2_143 Depth=2
	v_mov_b32_e32 v97, 0
	s_mov_b32 s28, exec_lo
	v_cmpx_ne_u32_e32 0, v100
	s_cbranch_execz .LBB2_171
; %bb.166:                              ;   in Loop: Header=BB2_143 Depth=2
	v_bfe_u32 v97, v100, 23, 8
	s_delay_alu instid0(VALU_DEP_1) | instskip(SKIP_1) | instid1(VALU_DEP_2)
	v_sub_nc_u32_e32 v102, 0x78, v97
	v_cmp_gt_u32_e32 vcc_lo, 0x79, v97
	v_dual_cndmask_b32 v102, 0, v102 :: v_dual_and_b32 v101, 0x7fffff, v100
	s_delay_alu instid0(VALU_DEP_1) | instskip(SKIP_2) | instid1(VALU_DEP_4)
	v_or_b32_e32 v103, 0x800000, v101
	v_cmp_eq_u32_e32 vcc_lo, 0, v97
	v_add_nc_u32_e32 v97, 0xffffff89, v97
	v_cndmask_b32_e64 v102, v102, 0x77, vcc_lo
	s_delay_alu instid0(VALU_DEP_4) | instskip(NEXT) | instid1(VALU_DEP_3)
	v_cndmask_b32_e32 v101, v103, v101, vcc_lo
	v_cndmask_b32_e64 v97, v97, 0xffffff8a, vcc_lo
	s_delay_alu instid0(VALU_DEP_3) | instskip(NEXT) | instid1(VALU_DEP_3)
	v_lshl_add_u32 v103, 0x100000, v102, -1
	v_lshrrev_b32_e32 v112, v102, v101
	v_lshlrev_b32_e64 v114, v102, 0x80000
	s_delay_alu instid0(VALU_DEP_4) | instskip(NEXT) | instid1(VALU_DEP_4)
	v_add_nc_u32_e32 v102, v102, v97
	v_and_b32_e32 v101, v103, v101
	s_delay_alu instid0(VALU_DEP_4) | instskip(NEXT) | instid1(VALU_DEP_2)
	v_bfe_u32 v113, v112, 20, 1
	v_cmp_eq_u32_e64 s12, v101, v114
	s_delay_alu instid0(VALU_DEP_2) | instskip(NEXT) | instid1(VALU_DEP_1)
	v_add_nc_u32_e32 v103, -1, v113
	v_cndmask_b32_e64 v101, 0, v103, s12
	v_lshrrev_b32_e32 v103, 23, v112
	s_mov_b32 s12, exec_lo
	s_delay_alu instid0(VALU_DEP_2) | instskip(NEXT) | instid1(VALU_DEP_2)
	v_add_nc_u32_e32 v101, v101, v112
	v_xor_b32_e32 v103, 1, v103
	s_delay_alu instid0(VALU_DEP_2) | instskip(NEXT) | instid1(VALU_DEP_1)
	v_and_b32_e32 v97, 0xfffff, v101
	v_add_nc_u32_e32 v101, v97, v112
                                        ; implicit-def: $vgpr97
	s_delay_alu instid0(VALU_DEP_3)
	v_cmpx_ne_u32_e64 v102, v103
	s_xor_b32 s12, exec_lo, s12
; %bb.167:                              ;   in Loop: Header=BB2_143 Depth=2
	s_delay_alu instid0(VALU_DEP_2) | instskip(SKIP_2) | instid1(VALU_DEP_2)
	v_cmp_lt_u32_e32 vcc_lo, 0xffffff, v101
	v_sub_nc_u32_e32 v97, v102, v103
	v_cndmask_b32_e64 v102, 0, 1, vcc_lo
	v_add_co_ci_u32_e32 v97, vcc_lo, 0, v97, vcc_lo
	s_delay_alu instid0(VALU_DEP_2)
	v_lshrrev_b32_e32 v101, v102, v101
; %bb.168:                              ;   in Loop: Header=BB2_143 Depth=2
	s_and_not1_saveexec_b32 s12, s12
; %bb.169:                              ;   in Loop: Header=BB2_143 Depth=2
	s_delay_alu instid0(VALU_DEP_1)
	v_bfe_u32 v97, v101, 23, 1
; %bb.170:                              ;   in Loop: Header=BB2_143 Depth=2
	s_or_b32 exec_lo, exec_lo, s12
	v_lshrrev_b32_e32 v101, 20, v101
	s_delay_alu instid0(VALU_DEP_2) | instskip(SKIP_2) | instid1(VALU_DEP_2)
	v_cmp_gt_i32_e32 vcc_lo, 16, v97
	v_lshrrev_b32_e32 v100, 24, v100
	v_min_i32_e32 v102, 15, v97
	v_dual_cndmask_b32 v101, 7, v101 :: v_dual_and_b32 v100, 0x80, v100
	s_delay_alu instid0(VALU_DEP_1) | instskip(SKIP_1) | instid1(VALU_DEP_2)
	v_or_b32_e32 v97, v97, v101
	v_and_b32_e32 v103, 7, v101
	v_cmp_ne_u32_e32 vcc_lo, 0, v97
	v_lshlrev_b32_e32 v102, 3, v102
	s_delay_alu instid0(VALU_DEP_1) | instskip(NEXT) | instid1(VALU_DEP_1)
	v_or3_b32 v100, v102, v100, v103
	v_cndmask_b32_e32 v97, 0, v100, vcc_lo
.LBB2_171:                              ;   in Loop: Header=BB2_143 Depth=2
	s_or_b32 exec_lo, exec_lo, s28
.LBB2_172:                              ;   in Loop: Header=BB2_143 Depth=2
	s_delay_alu instid0(SALU_CYCLE_1)
	s_or_b32 exec_lo, exec_lo, s27
	s_waitcnt vmcnt(1)
	v_lshrrev_b16 v101, 8, v14
	s_waitcnt vmcnt(0)
	v_lshrrev_b16 v100, 8, v10
	s_and_b32 vcc_lo, exec_lo, s26
	s_cbranch_vccz .LBB2_182
; %bb.173:                              ;   in Loop: Header=BB2_143 Depth=2
	s_mov_b32 s12, 0
	s_mov_b32 s28, exec_lo
                                        ; implicit-def: $sgpr27
	v_cmpx_lt_i16_e32 0x7f, v101
	s_xor_b32 s28, exec_lo, s28
	s_cbranch_execnz .LBB2_621
; %bb.174:                              ;   in Loop: Header=BB2_143 Depth=2
	s_or_saveexec_b32 s28, s28
	v_mov_b32_e32 v102, s27
	s_xor_b32 exec_lo, exec_lo, s28
	s_cbranch_execnz .LBB2_624
.LBB2_175:                              ;   in Loop: Header=BB2_143 Depth=2
	s_or_b32 exec_lo, exec_lo, s28
	s_and_saveexec_b32 s27, s12
	s_cbranch_execz .LBB2_177
.LBB2_176:                              ;   in Loop: Header=BB2_143 Depth=2
	v_and_b32_e32 v102, 0xffff, v101
	s_delay_alu instid0(VALU_DEP_1) | instskip(NEXT) | instid1(VALU_DEP_1)
	v_and_b32_e32 v103, 7, v102
	v_clz_i32_u32_e32 v112, v103
	s_delay_alu instid0(VALU_DEP_1) | instskip(NEXT) | instid1(VALU_DEP_1)
	v_min_u32_e32 v112, 32, v112
	v_subrev_nc_u32_e32 v113, 28, v112
	v_sub_nc_u32_e32 v112, 29, v112
	s_delay_alu instid0(VALU_DEP_2) | instskip(SKIP_1) | instid1(VALU_DEP_2)
	v_lshlrev_b32_e32 v113, v113, v102
	v_bfe_u32 v102, v102, 3, 4
	v_and_b32_e32 v113, 7, v113
	s_delay_alu instid0(VALU_DEP_2) | instskip(SKIP_1) | instid1(VALU_DEP_3)
	v_cmp_eq_u32_e32 vcc_lo, 0, v102
	v_cndmask_b32_e32 v102, v102, v112, vcc_lo
	v_dual_cndmask_b32 v103, v103, v113 :: v_dual_lshlrev_b32 v114, 16, v14
	s_delay_alu instid0(VALU_DEP_2) | instskip(NEXT) | instid1(VALU_DEP_2)
	v_lshl_add_u32 v102, v102, 23, 0x3b800000
	v_and_b32_e32 v112, 0x80000000, v114
	s_delay_alu instid0(VALU_DEP_3) | instskip(NEXT) | instid1(VALU_DEP_1)
	v_lshlrev_b32_e32 v103, 20, v103
	v_or3_b32 v102, v112, v102, v103
.LBB2_177:                              ;   in Loop: Header=BB2_143 Depth=2
	s_or_b32 exec_lo, exec_lo, s27
	s_mov_b32 s12, 0
	s_mov_b32 s28, exec_lo
                                        ; implicit-def: $sgpr27
	v_cmpx_lt_i16_e32 0x7f, v100
	s_xor_b32 s28, exec_lo, s28
	s_cbranch_execnz .LBB2_625
; %bb.178:                              ;   in Loop: Header=BB2_143 Depth=2
	s_or_saveexec_b32 s28, s28
	v_mov_b32_e32 v103, s27
	s_xor_b32 exec_lo, exec_lo, s28
	s_cbranch_execnz .LBB2_628
.LBB2_179:                              ;   in Loop: Header=BB2_143 Depth=2
	s_or_b32 exec_lo, exec_lo, s28
	s_and_saveexec_b32 s27, s12
	s_cbranch_execz .LBB2_181
.LBB2_180:                              ;   in Loop: Header=BB2_143 Depth=2
	v_and_b32_e32 v103, 0xffff, v100
	v_lshlrev_b32_e32 v115, 16, v10
	s_delay_alu instid0(VALU_DEP_2) | instskip(NEXT) | instid1(VALU_DEP_1)
	v_and_b32_e32 v112, 7, v103
	v_clz_i32_u32_e32 v113, v112
	s_delay_alu instid0(VALU_DEP_1) | instskip(NEXT) | instid1(VALU_DEP_1)
	v_min_u32_e32 v113, 32, v113
	v_subrev_nc_u32_e32 v114, 28, v113
	v_sub_nc_u32_e32 v113, 29, v113
	s_delay_alu instid0(VALU_DEP_2) | instskip(SKIP_1) | instid1(VALU_DEP_2)
	v_lshlrev_b32_e32 v114, v114, v103
	v_bfe_u32 v103, v103, 3, 4
	v_and_b32_e32 v114, 7, v114
	s_delay_alu instid0(VALU_DEP_2) | instskip(NEXT) | instid1(VALU_DEP_2)
	v_cmp_eq_u32_e32 vcc_lo, 0, v103
	v_dual_cndmask_b32 v103, v103, v113 :: v_dual_cndmask_b32 v112, v112, v114
	v_and_b32_e32 v113, 0x80000000, v115
	s_delay_alu instid0(VALU_DEP_2) | instskip(NEXT) | instid1(VALU_DEP_3)
	v_lshl_add_u32 v103, v103, 23, 0x3b800000
	v_lshlrev_b32_e32 v112, 20, v112
	s_delay_alu instid0(VALU_DEP_1)
	v_or3_b32 v103, v113, v103, v112
.LBB2_181:                              ;   in Loop: Header=BB2_143 Depth=2
	s_or_b32 exec_lo, exec_lo, s27
	s_delay_alu instid0(VALU_DEP_1) | instskip(SKIP_1) | instid1(VALU_DEP_1)
	v_dual_max_f32 v103, v103, v103 :: v_dual_max_f32 v102, v102, v102
	s_mov_b32 s12, 0
	v_max_f32_e32 v102, v102, v103
	s_branch .LBB2_183
.LBB2_182:                              ;   in Loop: Header=BB2_143 Depth=2
	s_mov_b32 s12, -1
                                        ; implicit-def: $vgpr102
.LBB2_183:                              ;   in Loop: Header=BB2_143 Depth=2
	s_delay_alu instid0(SALU_CYCLE_1)
	s_and_b32 vcc_lo, exec_lo, s12
	s_cbranch_vccz .LBB2_193
; %bb.184:                              ;   in Loop: Header=BB2_143 Depth=2
	s_mov_b32 s12, 0
	s_mov_b32 s28, exec_lo
                                        ; implicit-def: $sgpr27
	v_cmpx_lt_i16_e32 0x7f, v101
	s_xor_b32 s28, exec_lo, s28
	s_cbranch_execnz .LBB2_629
; %bb.185:                              ;   in Loop: Header=BB2_143 Depth=2
	s_or_saveexec_b32 s28, s28
	v_mov_b32_e32 v102, s27
	s_xor_b32 exec_lo, exec_lo, s28
	s_cbranch_execnz .LBB2_632
.LBB2_186:                              ;   in Loop: Header=BB2_143 Depth=2
	s_or_b32 exec_lo, exec_lo, s28
	s_and_saveexec_b32 s27, s12
	s_cbranch_execz .LBB2_188
.LBB2_187:                              ;   in Loop: Header=BB2_143 Depth=2
	v_and_b32_e32 v101, 0xffff, v101
	v_lshlrev_b32_e32 v113, 16, v14
	s_delay_alu instid0(VALU_DEP_2) | instskip(NEXT) | instid1(VALU_DEP_1)
	v_and_b32_e32 v102, 7, v101
	v_clz_i32_u32_e32 v103, v102
	s_delay_alu instid0(VALU_DEP_1) | instskip(NEXT) | instid1(VALU_DEP_1)
	v_min_u32_e32 v103, 32, v103
	v_subrev_nc_u32_e32 v112, 28, v103
	v_sub_nc_u32_e32 v103, 29, v103
	s_delay_alu instid0(VALU_DEP_2) | instskip(SKIP_1) | instid1(VALU_DEP_2)
	v_lshlrev_b32_e32 v112, v112, v101
	v_bfe_u32 v101, v101, 3, 4
	v_and_b32_e32 v112, 7, v112
	s_delay_alu instid0(VALU_DEP_2) | instskip(NEXT) | instid1(VALU_DEP_2)
	v_cmp_eq_u32_e32 vcc_lo, 0, v101
	v_dual_cndmask_b32 v101, v101, v103 :: v_dual_cndmask_b32 v102, v102, v112
	v_and_b32_e32 v103, 0x80000000, v113
	s_delay_alu instid0(VALU_DEP_2) | instskip(NEXT) | instid1(VALU_DEP_3)
	v_lshl_add_u32 v101, v101, 23, 0x3b800000
	v_lshlrev_b32_e32 v102, 20, v102
	s_delay_alu instid0(VALU_DEP_1)
	v_or3_b32 v102, v103, v101, v102
.LBB2_188:                              ;   in Loop: Header=BB2_143 Depth=2
	s_or_b32 exec_lo, exec_lo, s27
	s_mov_b32 s12, 0
	s_mov_b32 s28, exec_lo
                                        ; implicit-def: $sgpr27
	v_cmpx_lt_i16_e32 0x7f, v100
	s_xor_b32 s28, exec_lo, s28
	s_cbranch_execnz .LBB2_633
; %bb.189:                              ;   in Loop: Header=BB2_143 Depth=2
	s_or_saveexec_b32 s28, s28
	v_mov_b32_e32 v101, s27
	s_xor_b32 exec_lo, exec_lo, s28
	s_cbranch_execnz .LBB2_636
.LBB2_190:                              ;   in Loop: Header=BB2_143 Depth=2
	s_or_b32 exec_lo, exec_lo, s28
	s_and_saveexec_b32 s27, s12
	s_cbranch_execz .LBB2_192
.LBB2_191:                              ;   in Loop: Header=BB2_143 Depth=2
	v_and_b32_e32 v100, 0xffff, v100
	v_lshlrev_b32_e32 v113, 16, v10
	s_delay_alu instid0(VALU_DEP_2) | instskip(NEXT) | instid1(VALU_DEP_1)
	v_and_b32_e32 v101, 7, v100
	v_clz_i32_u32_e32 v103, v101
	s_delay_alu instid0(VALU_DEP_1) | instskip(NEXT) | instid1(VALU_DEP_1)
	v_min_u32_e32 v103, 32, v103
	v_subrev_nc_u32_e32 v112, 28, v103
	v_sub_nc_u32_e32 v103, 29, v103
	s_delay_alu instid0(VALU_DEP_2) | instskip(SKIP_1) | instid1(VALU_DEP_2)
	v_lshlrev_b32_e32 v112, v112, v100
	v_bfe_u32 v100, v100, 3, 4
	v_and_b32_e32 v112, 7, v112
	s_delay_alu instid0(VALU_DEP_2) | instskip(NEXT) | instid1(VALU_DEP_2)
	v_cmp_eq_u32_e32 vcc_lo, 0, v100
	v_dual_cndmask_b32 v100, v100, v103 :: v_dual_cndmask_b32 v101, v101, v112
	v_and_b32_e32 v103, 0x80000000, v113
	s_delay_alu instid0(VALU_DEP_2) | instskip(NEXT) | instid1(VALU_DEP_3)
	v_lshl_add_u32 v100, v100, 23, 0x3b800000
	v_lshlrev_b32_e32 v101, 20, v101
	s_delay_alu instid0(VALU_DEP_1)
	v_or3_b32 v101, v103, v100, v101
.LBB2_192:                              ;   in Loop: Header=BB2_143 Depth=2
	s_or_b32 exec_lo, exec_lo, s27
	s_delay_alu instid0(VALU_DEP_1) | instskip(NEXT) | instid1(VALU_DEP_1)
	v_dual_max_f32 v100, v101, v101 :: v_dual_max_f32 v101, v102, v102
	v_min_f32_e32 v102, v101, v100
.LBB2_193:                              ;   in Loop: Header=BB2_143 Depth=2
	s_delay_alu instid0(VALU_DEP_1) | instskip(NEXT) | instid1(VALU_DEP_1)
	v_and_b32_e32 v100, 0x7f800000, v102
	v_cmp_ne_u32_e32 vcc_lo, 0x7f800000, v100
	v_mov_b32_e32 v100, 0x80
	s_and_saveexec_b32 s27, vcc_lo
	s_cbranch_execz .LBB2_201
; %bb.194:                              ;   in Loop: Header=BB2_143 Depth=2
	v_mov_b32_e32 v100, 0
	s_mov_b32 s28, exec_lo
	v_cmpx_ne_u32_e32 0, v102
	s_cbranch_execz .LBB2_200
; %bb.195:                              ;   in Loop: Header=BB2_143 Depth=2
	v_bfe_u32 v100, v102, 23, 8
	v_and_b32_e32 v101, 0x7fffff, v102
	s_delay_alu instid0(VALU_DEP_2) | instskip(SKIP_1) | instid1(VALU_DEP_3)
	v_sub_nc_u32_e32 v103, 0x78, v100
	v_cmp_gt_u32_e32 vcc_lo, 0x79, v100
	v_or_b32_e32 v112, 0x800000, v101
	s_delay_alu instid0(VALU_DEP_3) | instskip(SKIP_2) | instid1(VALU_DEP_3)
	v_cndmask_b32_e32 v103, 0, v103, vcc_lo
	v_cmp_eq_u32_e32 vcc_lo, 0, v100
	v_add_nc_u32_e32 v100, 0xffffff89, v100
	v_cndmask_b32_e64 v103, v103, 0x77, vcc_lo
	v_cndmask_b32_e32 v101, v112, v101, vcc_lo
	s_delay_alu instid0(VALU_DEP_3) | instskip(NEXT) | instid1(VALU_DEP_3)
	v_cndmask_b32_e64 v100, v100, 0xffffff8a, vcc_lo
	v_lshl_add_u32 v112, 0x100000, v103, -1
	s_delay_alu instid0(VALU_DEP_3) | instskip(SKIP_1) | instid1(VALU_DEP_4)
	v_lshrrev_b32_e32 v113, v103, v101
	v_lshlrev_b32_e64 v115, v103, 0x80000
	v_add_nc_u32_e32 v103, v103, v100
	s_delay_alu instid0(VALU_DEP_4) | instskip(NEXT) | instid1(VALU_DEP_4)
	v_and_b32_e32 v101, v112, v101
	v_bfe_u32 v114, v113, 20, 1
	s_delay_alu instid0(VALU_DEP_2) | instskip(NEXT) | instid1(VALU_DEP_2)
	v_cmp_eq_u32_e64 s12, v101, v115
	v_add_nc_u32_e32 v112, -1, v114
	s_delay_alu instid0(VALU_DEP_1) | instskip(SKIP_2) | instid1(VALU_DEP_2)
	v_cndmask_b32_e64 v101, 0, v112, s12
	v_lshrrev_b32_e32 v112, 23, v113
	s_mov_b32 s12, exec_lo
	v_add_nc_u32_e32 v101, v101, v113
	s_delay_alu instid0(VALU_DEP_2) | instskip(NEXT) | instid1(VALU_DEP_2)
	v_xor_b32_e32 v112, 1, v112
	v_and_b32_e32 v100, 0xfffff, v101
	s_delay_alu instid0(VALU_DEP_1) | instskip(NEXT) | instid1(VALU_DEP_3)
	v_add_nc_u32_e32 v101, v100, v113
                                        ; implicit-def: $vgpr100
	v_cmpx_ne_u32_e64 v103, v112
	s_xor_b32 s12, exec_lo, s12
; %bb.196:                              ;   in Loop: Header=BB2_143 Depth=2
	s_delay_alu instid0(VALU_DEP_2) | instskip(SKIP_2) | instid1(VALU_DEP_2)
	v_cmp_lt_u32_e32 vcc_lo, 0xffffff, v101
	v_sub_nc_u32_e32 v100, v103, v112
	v_cndmask_b32_e64 v103, 0, 1, vcc_lo
	v_add_co_ci_u32_e32 v100, vcc_lo, 0, v100, vcc_lo
	s_delay_alu instid0(VALU_DEP_2)
	v_lshrrev_b32_e32 v101, v103, v101
; %bb.197:                              ;   in Loop: Header=BB2_143 Depth=2
	s_and_not1_saveexec_b32 s12, s12
; %bb.198:                              ;   in Loop: Header=BB2_143 Depth=2
	s_delay_alu instid0(VALU_DEP_1)
	v_bfe_u32 v100, v101, 23, 1
; %bb.199:                              ;   in Loop: Header=BB2_143 Depth=2
	s_or_b32 exec_lo, exec_lo, s12
	v_lshrrev_b32_e32 v101, 20, v101
	s_delay_alu instid0(VALU_DEP_2) | instskip(SKIP_2) | instid1(VALU_DEP_2)
	v_cmp_gt_i32_e32 vcc_lo, 16, v100
	v_lshrrev_b32_e32 v102, 24, v102
	v_min_i32_e32 v103, 15, v100
	v_dual_cndmask_b32 v101, 7, v101 :: v_dual_and_b32 v102, 0x80, v102
	s_delay_alu instid0(VALU_DEP_1) | instskip(SKIP_1) | instid1(VALU_DEP_2)
	v_or_b32_e32 v100, v100, v101
	v_and_b32_e32 v112, 7, v101
	v_cmp_ne_u32_e32 vcc_lo, 0, v100
	v_lshlrev_b32_e32 v103, 3, v103
	s_delay_alu instid0(VALU_DEP_1) | instskip(NEXT) | instid1(VALU_DEP_1)
	v_or3_b32 v101, v103, v102, v112
	v_cndmask_b32_e32 v100, 0, v101, vcc_lo
.LBB2_200:                              ;   in Loop: Header=BB2_143 Depth=2
	s_or_b32 exec_lo, exec_lo, s28
.LBB2_201:                              ;   in Loop: Header=BB2_143 Depth=2
	s_delay_alu instid0(SALU_CYCLE_1)
	s_or_b32 exec_lo, exec_lo, s27
	v_lshrrev_b32_e32 v102, 16, v14
	v_lshrrev_b32_e32 v101, 16, v10
	s_and_b32 vcc_lo, exec_lo, s26
	s_cbranch_vccz .LBB2_211
; %bb.202:                              ;   in Loop: Header=BB2_143 Depth=2
	s_delay_alu instid0(VALU_DEP_2) | instskip(SKIP_2) | instid1(VALU_DEP_1)
	v_and_b32_e32 v112, 0xff, v102
	s_mov_b32 s12, 0
	s_mov_b32 s28, exec_lo
                                        ; implicit-def: $sgpr27
	v_cmpx_lt_i16_e32 0x7f, v112
	s_xor_b32 s28, exec_lo, s28
	s_cbranch_execnz .LBB2_637
; %bb.203:                              ;   in Loop: Header=BB2_143 Depth=2
	s_or_saveexec_b32 s28, s28
	v_mov_b32_e32 v103, s27
	s_xor_b32 exec_lo, exec_lo, s28
	s_cbranch_execnz .LBB2_640
.LBB2_204:                              ;   in Loop: Header=BB2_143 Depth=2
	s_or_b32 exec_lo, exec_lo, s28
	s_and_saveexec_b32 s27, s12
	s_cbranch_execz .LBB2_206
.LBB2_205:                              ;   in Loop: Header=BB2_143 Depth=2
	v_bfe_u32 v103, v14, 16, 3
	v_bfe_u32 v114, v14, 19, 4
	v_lshlrev_b32_e32 v115, 24, v102
	s_delay_alu instid0(VALU_DEP_3) | instskip(NEXT) | instid1(VALU_DEP_3)
	v_clz_i32_u32_e32 v112, v103
	v_cmp_eq_u32_e32 vcc_lo, 0, v114
	s_delay_alu instid0(VALU_DEP_2) | instskip(NEXT) | instid1(VALU_DEP_1)
	v_min_u32_e32 v112, 32, v112
	v_subrev_nc_u32_e32 v113, 28, v112
	v_sub_nc_u32_e32 v112, 29, v112
	s_delay_alu instid0(VALU_DEP_1) | instskip(NEXT) | instid1(VALU_DEP_1)
	v_dual_cndmask_b32 v112, v114, v112 :: v_dual_lshlrev_b32 v113, v113, v102
	v_and_b32_e32 v113, 7, v113
	s_delay_alu instid0(VALU_DEP_2) | instskip(NEXT) | instid1(VALU_DEP_2)
	v_lshl_add_u32 v112, v112, 23, 0x3b800000
	v_cndmask_b32_e32 v103, v103, v113, vcc_lo
	v_and_b32_e32 v113, 0x80000000, v115
	s_delay_alu instid0(VALU_DEP_2) | instskip(NEXT) | instid1(VALU_DEP_1)
	v_lshlrev_b32_e32 v103, 20, v103
	v_or3_b32 v103, v113, v112, v103
.LBB2_206:                              ;   in Loop: Header=BB2_143 Depth=2
	s_or_b32 exec_lo, exec_lo, s27
	v_and_b32_e32 v113, 0xff, v101
	s_mov_b32 s12, 0
	s_mov_b32 s28, exec_lo
                                        ; implicit-def: $sgpr27
	s_delay_alu instid0(VALU_DEP_1)
	v_cmpx_lt_i16_e32 0x7f, v113
	s_xor_b32 s28, exec_lo, s28
	s_cbranch_execnz .LBB2_641
; %bb.207:                              ;   in Loop: Header=BB2_143 Depth=2
	s_or_saveexec_b32 s28, s28
	v_mov_b32_e32 v112, s27
	s_xor_b32 exec_lo, exec_lo, s28
	s_cbranch_execnz .LBB2_644
.LBB2_208:                              ;   in Loop: Header=BB2_143 Depth=2
	s_or_b32 exec_lo, exec_lo, s28
	s_and_saveexec_b32 s27, s12
	s_cbranch_execz .LBB2_210
.LBB2_209:                              ;   in Loop: Header=BB2_143 Depth=2
	v_bfe_u32 v112, v10, 16, 3
	v_bfe_u32 v115, v10, 19, 4
	v_lshlrev_b32_e32 v116, 24, v101
	s_delay_alu instid0(VALU_DEP_3) | instskip(NEXT) | instid1(VALU_DEP_3)
	v_clz_i32_u32_e32 v113, v112
	v_cmp_eq_u32_e32 vcc_lo, 0, v115
	s_delay_alu instid0(VALU_DEP_2) | instskip(NEXT) | instid1(VALU_DEP_1)
	v_min_u32_e32 v113, 32, v113
	v_subrev_nc_u32_e32 v114, 28, v113
	v_sub_nc_u32_e32 v113, 29, v113
	s_delay_alu instid0(VALU_DEP_2) | instskip(NEXT) | instid1(VALU_DEP_1)
	v_lshlrev_b32_e32 v114, v114, v101
	v_dual_cndmask_b32 v113, v115, v113 :: v_dual_and_b32 v114, 7, v114
	s_delay_alu instid0(VALU_DEP_1) | instskip(NEXT) | instid1(VALU_DEP_2)
	v_lshl_add_u32 v113, v113, 23, 0x3b800000
	v_cndmask_b32_e32 v112, v112, v114, vcc_lo
	v_and_b32_e32 v114, 0x80000000, v116
	s_delay_alu instid0(VALU_DEP_2) | instskip(NEXT) | instid1(VALU_DEP_1)
	v_lshlrev_b32_e32 v112, 20, v112
	v_or3_b32 v112, v114, v113, v112
.LBB2_210:                              ;   in Loop: Header=BB2_143 Depth=2
	s_or_b32 exec_lo, exec_lo, s27
	s_delay_alu instid0(VALU_DEP_1) | instskip(SKIP_1) | instid1(VALU_DEP_1)
	v_dual_max_f32 v112, v112, v112 :: v_dual_max_f32 v103, v103, v103
	s_mov_b32 s12, 0
	v_max_f32_e32 v103, v103, v112
	s_branch .LBB2_212
.LBB2_211:                              ;   in Loop: Header=BB2_143 Depth=2
	s_mov_b32 s12, -1
                                        ; implicit-def: $vgpr103
.LBB2_212:                              ;   in Loop: Header=BB2_143 Depth=2
	s_delay_alu instid0(SALU_CYCLE_1)
	s_and_b32 vcc_lo, exec_lo, s12
	s_cbranch_vccz .LBB2_222
; %bb.213:                              ;   in Loop: Header=BB2_143 Depth=2
	v_and_b32_e32 v112, 0xff, v102
	s_mov_b32 s12, 0
	s_mov_b32 s28, exec_lo
                                        ; implicit-def: $sgpr27
	s_delay_alu instid0(VALU_DEP_1)
	v_cmpx_lt_i16_e32 0x7f, v112
	s_xor_b32 s28, exec_lo, s28
	s_cbranch_execnz .LBB2_645
; %bb.214:                              ;   in Loop: Header=BB2_143 Depth=2
	s_or_saveexec_b32 s28, s28
	v_mov_b32_e32 v103, s27
	s_xor_b32 exec_lo, exec_lo, s28
	s_cbranch_execnz .LBB2_648
.LBB2_215:                              ;   in Loop: Header=BB2_143 Depth=2
	s_or_b32 exec_lo, exec_lo, s28
	s_and_saveexec_b32 s27, s12
	s_cbranch_execz .LBB2_217
.LBB2_216:                              ;   in Loop: Header=BB2_143 Depth=2
	v_bfe_u32 v103, v14, 16, 3
	v_bfe_u32 v114, v14, 19, 4
	s_delay_alu instid0(VALU_DEP_2) | instskip(NEXT) | instid1(VALU_DEP_2)
	v_clz_i32_u32_e32 v112, v103
	v_cmp_eq_u32_e32 vcc_lo, 0, v114
	s_delay_alu instid0(VALU_DEP_2) | instskip(NEXT) | instid1(VALU_DEP_1)
	v_min_u32_e32 v112, 32, v112
	v_subrev_nc_u32_e32 v113, 28, v112
	v_sub_nc_u32_e32 v112, 29, v112
	s_delay_alu instid0(VALU_DEP_1) | instskip(NEXT) | instid1(VALU_DEP_1)
	v_dual_cndmask_b32 v112, v114, v112 :: v_dual_lshlrev_b32 v113, v113, v102
	v_and_b32_e32 v113, 7, v113
	v_lshlrev_b32_e32 v102, 24, v102
	s_delay_alu instid0(VALU_DEP_3) | instskip(NEXT) | instid1(VALU_DEP_2)
	v_lshl_add_u32 v112, v112, 23, 0x3b800000
	v_dual_cndmask_b32 v103, v103, v113 :: v_dual_and_b32 v102, 0x80000000, v102
	s_delay_alu instid0(VALU_DEP_1) | instskip(NEXT) | instid1(VALU_DEP_1)
	v_lshlrev_b32_e32 v103, 20, v103
	v_or3_b32 v103, v102, v112, v103
.LBB2_217:                              ;   in Loop: Header=BB2_143 Depth=2
	s_or_b32 exec_lo, exec_lo, s27
	v_and_b32_e32 v112, 0xff, v101
	s_mov_b32 s12, 0
	s_mov_b32 s28, exec_lo
                                        ; implicit-def: $sgpr27
	s_delay_alu instid0(VALU_DEP_1)
	v_cmpx_lt_i16_e32 0x7f, v112
	s_xor_b32 s28, exec_lo, s28
	s_cbranch_execnz .LBB2_649
; %bb.218:                              ;   in Loop: Header=BB2_143 Depth=2
	s_or_saveexec_b32 s28, s28
	v_mov_b32_e32 v102, s27
	s_xor_b32 exec_lo, exec_lo, s28
	s_cbranch_execnz .LBB2_652
.LBB2_219:                              ;   in Loop: Header=BB2_143 Depth=2
	s_or_b32 exec_lo, exec_lo, s28
	s_and_saveexec_b32 s27, s12
	s_cbranch_execz .LBB2_221
.LBB2_220:                              ;   in Loop: Header=BB2_143 Depth=2
	v_bfe_u32 v102, v10, 16, 3
	v_bfe_u32 v114, v10, 19, 4
	s_delay_alu instid0(VALU_DEP_2) | instskip(NEXT) | instid1(VALU_DEP_2)
	v_clz_i32_u32_e32 v112, v102
	v_cmp_eq_u32_e32 vcc_lo, 0, v114
	s_delay_alu instid0(VALU_DEP_2) | instskip(NEXT) | instid1(VALU_DEP_1)
	v_min_u32_e32 v112, 32, v112
	v_subrev_nc_u32_e32 v113, 28, v112
	v_sub_nc_u32_e32 v112, 29, v112
	s_delay_alu instid0(VALU_DEP_1) | instskip(SKIP_1) | instid1(VALU_DEP_2)
	v_dual_cndmask_b32 v112, v114, v112 :: v_dual_lshlrev_b32 v113, v113, v101
	v_lshlrev_b32_e32 v101, 24, v101
	v_and_b32_e32 v113, 7, v113
	s_delay_alu instid0(VALU_DEP_3) | instskip(NEXT) | instid1(VALU_DEP_3)
	v_lshl_add_u32 v112, v112, 23, 0x3b800000
	v_and_b32_e32 v101, 0x80000000, v101
	s_delay_alu instid0(VALU_DEP_3) | instskip(NEXT) | instid1(VALU_DEP_1)
	v_cndmask_b32_e32 v102, v102, v113, vcc_lo
	v_lshlrev_b32_e32 v102, 20, v102
	s_delay_alu instid0(VALU_DEP_1)
	v_or3_b32 v102, v101, v112, v102
.LBB2_221:                              ;   in Loop: Header=BB2_143 Depth=2
	s_or_b32 exec_lo, exec_lo, s27
	s_delay_alu instid0(VALU_DEP_1) | instskip(NEXT) | instid1(VALU_DEP_1)
	v_dual_max_f32 v101, v102, v102 :: v_dual_max_f32 v102, v103, v103
	v_min_f32_e32 v103, v102, v101
.LBB2_222:                              ;   in Loop: Header=BB2_143 Depth=2
	s_delay_alu instid0(VALU_DEP_1) | instskip(NEXT) | instid1(VALU_DEP_1)
	v_and_b32_e32 v101, 0x7f800000, v103
	v_cmp_ne_u32_e32 vcc_lo, 0x7f800000, v101
	v_mov_b32_e32 v101, 0x80
	s_and_saveexec_b32 s27, vcc_lo
	s_cbranch_execz .LBB2_230
; %bb.223:                              ;   in Loop: Header=BB2_143 Depth=2
	v_mov_b32_e32 v101, 0
	s_mov_b32 s28, exec_lo
	v_cmpx_ne_u32_e32 0, v103
	s_cbranch_execz .LBB2_229
; %bb.224:                              ;   in Loop: Header=BB2_143 Depth=2
	v_bfe_u32 v101, v103, 23, 8
	v_and_b32_e32 v102, 0x7fffff, v103
	s_delay_alu instid0(VALU_DEP_2) | instskip(SKIP_1) | instid1(VALU_DEP_3)
	v_sub_nc_u32_e32 v112, 0x78, v101
	v_cmp_gt_u32_e32 vcc_lo, 0x79, v101
	v_or_b32_e32 v113, 0x800000, v102
	s_delay_alu instid0(VALU_DEP_3) | instskip(SKIP_2) | instid1(VALU_DEP_3)
	v_cndmask_b32_e32 v112, 0, v112, vcc_lo
	v_cmp_eq_u32_e32 vcc_lo, 0, v101
	v_add_nc_u32_e32 v101, 0xffffff89, v101
	v_cndmask_b32_e64 v112, v112, 0x77, vcc_lo
	v_cndmask_b32_e32 v102, v113, v102, vcc_lo
	s_delay_alu instid0(VALU_DEP_3) | instskip(NEXT) | instid1(VALU_DEP_3)
	v_cndmask_b32_e64 v101, v101, 0xffffff8a, vcc_lo
	v_lshl_add_u32 v113, 0x100000, v112, -1
	s_delay_alu instid0(VALU_DEP_3) | instskip(SKIP_1) | instid1(VALU_DEP_4)
	v_lshrrev_b32_e32 v114, v112, v102
	v_lshlrev_b32_e64 v116, v112, 0x80000
	v_add_nc_u32_e32 v112, v112, v101
	s_delay_alu instid0(VALU_DEP_4) | instskip(NEXT) | instid1(VALU_DEP_4)
	v_and_b32_e32 v102, v113, v102
	v_bfe_u32 v115, v114, 20, 1
	s_delay_alu instid0(VALU_DEP_2) | instskip(NEXT) | instid1(VALU_DEP_2)
	v_cmp_eq_u32_e64 s12, v102, v116
	v_add_nc_u32_e32 v113, -1, v115
	s_delay_alu instid0(VALU_DEP_1) | instskip(SKIP_2) | instid1(VALU_DEP_2)
	v_cndmask_b32_e64 v102, 0, v113, s12
	v_lshrrev_b32_e32 v113, 23, v114
	s_mov_b32 s12, exec_lo
	v_add_nc_u32_e32 v102, v102, v114
	s_delay_alu instid0(VALU_DEP_2) | instskip(NEXT) | instid1(VALU_DEP_2)
	v_xor_b32_e32 v113, 1, v113
	v_and_b32_e32 v101, 0xfffff, v102
	s_delay_alu instid0(VALU_DEP_1) | instskip(NEXT) | instid1(VALU_DEP_3)
	v_add_nc_u32_e32 v102, v101, v114
                                        ; implicit-def: $vgpr101
	v_cmpx_ne_u32_e64 v112, v113
	s_xor_b32 s12, exec_lo, s12
; %bb.225:                              ;   in Loop: Header=BB2_143 Depth=2
	s_delay_alu instid0(VALU_DEP_2) | instskip(SKIP_2) | instid1(VALU_DEP_2)
	v_cmp_lt_u32_e32 vcc_lo, 0xffffff, v102
	v_sub_nc_u32_e32 v101, v112, v113
	v_cndmask_b32_e64 v112, 0, 1, vcc_lo
	v_add_co_ci_u32_e32 v101, vcc_lo, 0, v101, vcc_lo
	s_delay_alu instid0(VALU_DEP_2)
	v_lshrrev_b32_e32 v102, v112, v102
; %bb.226:                              ;   in Loop: Header=BB2_143 Depth=2
	s_and_not1_saveexec_b32 s12, s12
; %bb.227:                              ;   in Loop: Header=BB2_143 Depth=2
	s_delay_alu instid0(VALU_DEP_1)
	v_bfe_u32 v101, v102, 23, 1
; %bb.228:                              ;   in Loop: Header=BB2_143 Depth=2
	s_or_b32 exec_lo, exec_lo, s12
	v_lshrrev_b32_e32 v102, 20, v102
	s_delay_alu instid0(VALU_DEP_2) | instskip(SKIP_2) | instid1(VALU_DEP_2)
	v_cmp_gt_i32_e32 vcc_lo, 16, v101
	v_lshrrev_b32_e32 v103, 24, v103
	v_min_i32_e32 v112, 15, v101
	v_dual_cndmask_b32 v102, 7, v102 :: v_dual_and_b32 v103, 0x80, v103
	s_delay_alu instid0(VALU_DEP_1) | instskip(SKIP_1) | instid1(VALU_DEP_2)
	v_or_b32_e32 v101, v101, v102
	v_and_b32_e32 v113, 7, v102
	v_cmp_ne_u32_e32 vcc_lo, 0, v101
	v_lshlrev_b32_e32 v112, 3, v112
	s_delay_alu instid0(VALU_DEP_1) | instskip(NEXT) | instid1(VALU_DEP_1)
	v_or3_b32 v102, v112, v103, v113
	v_cndmask_b32_e32 v101, 0, v102, vcc_lo
.LBB2_229:                              ;   in Loop: Header=BB2_143 Depth=2
	s_or_b32 exec_lo, exec_lo, s28
.LBB2_230:                              ;   in Loop: Header=BB2_143 Depth=2
	s_delay_alu instid0(SALU_CYCLE_1)
	s_or_b32 exec_lo, exec_lo, s27
	v_lshrrev_b32_e32 v103, 24, v14
	v_lshrrev_b32_e32 v102, 24, v10
	s_and_b32 vcc_lo, exec_lo, s26
	s_cbranch_vccz .LBB2_240
; %bb.231:                              ;   in Loop: Header=BB2_143 Depth=2
	s_mov_b32 s12, 0
	s_mov_b32 s28, exec_lo
                                        ; implicit-def: $sgpr27
	v_cmpx_lt_i16_e32 0x7f, v103
	s_xor_b32 s28, exec_lo, s28
	s_cbranch_execnz .LBB2_653
; %bb.232:                              ;   in Loop: Header=BB2_143 Depth=2
	s_or_saveexec_b32 s28, s28
	v_mov_b32_e32 v112, s27
	s_xor_b32 exec_lo, exec_lo, s28
	s_cbranch_execnz .LBB2_656
.LBB2_233:                              ;   in Loop: Header=BB2_143 Depth=2
	s_or_b32 exec_lo, exec_lo, s28
	s_and_saveexec_b32 s27, s12
	s_cbranch_execz .LBB2_235
.LBB2_234:                              ;   in Loop: Header=BB2_143 Depth=2
	v_bfe_u32 v112, v14, 24, 3
	v_bfe_u32 v115, v14, 27, 4
	s_delay_alu instid0(VALU_DEP_2) | instskip(NEXT) | instid1(VALU_DEP_2)
	v_clz_i32_u32_e32 v113, v112
	v_cmp_eq_u32_e32 vcc_lo, 0, v115
	s_delay_alu instid0(VALU_DEP_2) | instskip(NEXT) | instid1(VALU_DEP_1)
	v_min_u32_e32 v113, 32, v113
	v_subrev_nc_u32_e32 v114, 28, v113
	v_sub_nc_u32_e32 v113, 29, v113
	s_delay_alu instid0(VALU_DEP_1) | instskip(NEXT) | instid1(VALU_DEP_1)
	v_dual_cndmask_b32 v113, v115, v113 :: v_dual_lshlrev_b32 v114, v114, v103
	v_and_b32_e32 v114, 7, v114
	s_delay_alu instid0(VALU_DEP_2) | instskip(NEXT) | instid1(VALU_DEP_2)
	v_lshl_add_u32 v113, v113, 23, 0x3b800000
	v_cndmask_b32_e32 v112, v112, v114, vcc_lo
	v_and_b32_e32 v114, 0x80000000, v14
	s_delay_alu instid0(VALU_DEP_2) | instskip(NEXT) | instid1(VALU_DEP_1)
	v_lshlrev_b32_e32 v112, 20, v112
	v_or3_b32 v112, v114, v113, v112
.LBB2_235:                              ;   in Loop: Header=BB2_143 Depth=2
	s_or_b32 exec_lo, exec_lo, s27
	s_mov_b32 s12, 0
	s_mov_b32 s28, exec_lo
                                        ; implicit-def: $sgpr27
	v_cmpx_lt_i16_e32 0x7f, v102
	s_xor_b32 s28, exec_lo, s28
	s_cbranch_execnz .LBB2_657
; %bb.236:                              ;   in Loop: Header=BB2_143 Depth=2
	s_or_saveexec_b32 s28, s28
	v_mov_b32_e32 v113, s27
	s_xor_b32 exec_lo, exec_lo, s28
	s_cbranch_execnz .LBB2_660
.LBB2_237:                              ;   in Loop: Header=BB2_143 Depth=2
	s_or_b32 exec_lo, exec_lo, s28
	s_and_saveexec_b32 s27, s12
	s_cbranch_execz .LBB2_239
.LBB2_238:                              ;   in Loop: Header=BB2_143 Depth=2
	v_bfe_u32 v113, v10, 24, 3
	v_bfe_u32 v116, v10, 27, 4
	s_delay_alu instid0(VALU_DEP_2) | instskip(NEXT) | instid1(VALU_DEP_2)
	v_clz_i32_u32_e32 v114, v113
	v_cmp_eq_u32_e32 vcc_lo, 0, v116
	s_delay_alu instid0(VALU_DEP_2) | instskip(NEXT) | instid1(VALU_DEP_1)
	v_min_u32_e32 v114, 32, v114
	v_subrev_nc_u32_e32 v115, 28, v114
	v_sub_nc_u32_e32 v114, 29, v114
	s_delay_alu instid0(VALU_DEP_2) | instskip(NEXT) | instid1(VALU_DEP_1)
	v_lshlrev_b32_e32 v115, v115, v102
	v_dual_cndmask_b32 v114, v116, v114 :: v_dual_and_b32 v115, 7, v115
	s_delay_alu instid0(VALU_DEP_1) | instskip(NEXT) | instid1(VALU_DEP_2)
	v_lshl_add_u32 v114, v114, 23, 0x3b800000
	v_cndmask_b32_e32 v113, v113, v115, vcc_lo
	v_and_b32_e32 v115, 0x80000000, v10
	s_delay_alu instid0(VALU_DEP_2) | instskip(NEXT) | instid1(VALU_DEP_1)
	v_lshlrev_b32_e32 v113, 20, v113
	v_or3_b32 v113, v115, v114, v113
.LBB2_239:                              ;   in Loop: Header=BB2_143 Depth=2
	s_or_b32 exec_lo, exec_lo, s27
	s_delay_alu instid0(VALU_DEP_1) | instskip(SKIP_1) | instid1(VALU_DEP_1)
	v_dual_max_f32 v113, v113, v113 :: v_dual_max_f32 v112, v112, v112
	s_mov_b32 s12, 0
	v_max_f32_e32 v112, v112, v113
	s_branch .LBB2_241
.LBB2_240:                              ;   in Loop: Header=BB2_143 Depth=2
	s_mov_b32 s12, -1
                                        ; implicit-def: $vgpr112
.LBB2_241:                              ;   in Loop: Header=BB2_143 Depth=2
	s_delay_alu instid0(SALU_CYCLE_1)
	s_and_b32 vcc_lo, exec_lo, s12
	s_cbranch_vccz .LBB2_251
; %bb.242:                              ;   in Loop: Header=BB2_143 Depth=2
	s_mov_b32 s12, 0
	s_mov_b32 s28, exec_lo
                                        ; implicit-def: $sgpr27
	v_cmpx_lt_i16_e32 0x7f, v103
	s_xor_b32 s28, exec_lo, s28
	s_cbranch_execnz .LBB2_661
; %bb.243:                              ;   in Loop: Header=BB2_143 Depth=2
	s_or_saveexec_b32 s28, s28
	v_mov_b32_e32 v112, s27
	s_xor_b32 exec_lo, exec_lo, s28
	s_cbranch_execnz .LBB2_664
.LBB2_244:                              ;   in Loop: Header=BB2_143 Depth=2
	s_or_b32 exec_lo, exec_lo, s28
	s_and_saveexec_b32 s27, s12
	s_cbranch_execz .LBB2_246
.LBB2_245:                              ;   in Loop: Header=BB2_143 Depth=2
	v_bfe_u32 v112, v14, 24, 3
	s_delay_alu instid0(VALU_DEP_1) | instskip(NEXT) | instid1(VALU_DEP_1)
	v_clz_i32_u32_e32 v113, v112
	v_min_u32_e32 v113, 32, v113
	s_delay_alu instid0(VALU_DEP_1) | instskip(SKIP_1) | instid1(VALU_DEP_2)
	v_subrev_nc_u32_e32 v114, 28, v113
	v_sub_nc_u32_e32 v113, 29, v113
	v_lshlrev_b32_e32 v103, v114, v103
	v_bfe_u32 v114, v14, 27, 4
	v_and_b32_e32 v14, 0x80000000, v14
	s_delay_alu instid0(VALU_DEP_3) | instskip(NEXT) | instid1(VALU_DEP_3)
	v_and_b32_e32 v103, 7, v103
	v_cmp_eq_u32_e32 vcc_lo, 0, v114
	v_cndmask_b32_e32 v113, v114, v113, vcc_lo
	s_delay_alu instid0(VALU_DEP_3) | instskip(NEXT) | instid1(VALU_DEP_2)
	v_cndmask_b32_e32 v103, v112, v103, vcc_lo
	v_lshl_add_u32 v112, v113, 23, 0x3b800000
	s_delay_alu instid0(VALU_DEP_2) | instskip(NEXT) | instid1(VALU_DEP_1)
	v_lshlrev_b32_e32 v103, 20, v103
	v_or3_b32 v112, v14, v112, v103
.LBB2_246:                              ;   in Loop: Header=BB2_143 Depth=2
	s_or_b32 exec_lo, exec_lo, s27
	s_mov_b32 s12, 0
	s_mov_b32 s28, exec_lo
                                        ; implicit-def: $sgpr27
	v_cmpx_lt_i16_e32 0x7f, v102
	s_xor_b32 s28, exec_lo, s28
	s_cbranch_execnz .LBB2_665
; %bb.247:                              ;   in Loop: Header=BB2_143 Depth=2
	s_or_saveexec_b32 s28, s28
	v_mov_b32_e32 v14, s27
	s_xor_b32 exec_lo, exec_lo, s28
	s_cbranch_execnz .LBB2_668
.LBB2_248:                              ;   in Loop: Header=BB2_143 Depth=2
	s_or_b32 exec_lo, exec_lo, s28
	s_and_saveexec_b32 s27, s12
	s_cbranch_execz .LBB2_250
.LBB2_249:                              ;   in Loop: Header=BB2_143 Depth=2
	v_bfe_u32 v14, v10, 24, 3
	s_delay_alu instid0(VALU_DEP_1) | instskip(NEXT) | instid1(VALU_DEP_1)
	v_clz_i32_u32_e32 v103, v14
	v_min_u32_e32 v103, 32, v103
	s_delay_alu instid0(VALU_DEP_1) | instskip(SKIP_1) | instid1(VALU_DEP_2)
	v_subrev_nc_u32_e32 v113, 28, v103
	v_sub_nc_u32_e32 v103, 29, v103
	v_lshlrev_b32_e32 v102, v113, v102
	v_bfe_u32 v113, v10, 27, 4
	v_and_b32_e32 v10, 0x80000000, v10
	s_delay_alu instid0(VALU_DEP_2) | instskip(NEXT) | instid1(VALU_DEP_4)
	v_cmp_eq_u32_e32 vcc_lo, 0, v113
	v_dual_cndmask_b32 v103, v113, v103 :: v_dual_and_b32 v102, 7, v102
	s_delay_alu instid0(VALU_DEP_1) | instskip(NEXT) | instid1(VALU_DEP_2)
	v_cndmask_b32_e32 v14, v14, v102, vcc_lo
	v_lshl_add_u32 v102, v103, 23, 0x3b800000
	s_delay_alu instid0(VALU_DEP_2) | instskip(NEXT) | instid1(VALU_DEP_1)
	v_lshlrev_b32_e32 v14, 20, v14
	v_or3_b32 v14, v10, v102, v14
.LBB2_250:                              ;   in Loop: Header=BB2_143 Depth=2
	s_or_b32 exec_lo, exec_lo, s27
	s_delay_alu instid0(VALU_DEP_1) | instskip(SKIP_1) | instid1(VALU_DEP_1)
	v_max_f32_e32 v10, v14, v14
	v_max_f32_e32 v14, v112, v112
	v_min_f32_e32 v112, v14, v10
.LBB2_251:                              ;   in Loop: Header=BB2_143 Depth=2
	s_delay_alu instid0(VALU_DEP_1) | instskip(NEXT) | instid1(VALU_DEP_1)
	v_and_b32_e32 v10, 0x7f800000, v112
	v_cmp_ne_u32_e32 vcc_lo, 0x7f800000, v10
	v_mov_b32_e32 v10, 0x80
	s_and_saveexec_b32 s27, vcc_lo
	s_cbranch_execz .LBB2_259
; %bb.252:                              ;   in Loop: Header=BB2_143 Depth=2
	v_mov_b32_e32 v10, 0
	s_mov_b32 s28, exec_lo
	v_cmpx_ne_u32_e32 0, v112
	s_cbranch_execz .LBB2_258
; %bb.253:                              ;   in Loop: Header=BB2_143 Depth=2
	v_bfe_u32 v10, v112, 23, 8
	v_and_b32_e32 v14, 0x7fffff, v112
	s_delay_alu instid0(VALU_DEP_2) | instskip(SKIP_1) | instid1(VALU_DEP_3)
	v_sub_nc_u32_e32 v102, 0x78, v10
	v_cmp_gt_u32_e32 vcc_lo, 0x79, v10
	v_or_b32_e32 v103, 0x800000, v14
	s_delay_alu instid0(VALU_DEP_3) | instskip(SKIP_2) | instid1(VALU_DEP_3)
	v_cndmask_b32_e32 v102, 0, v102, vcc_lo
	v_cmp_eq_u32_e32 vcc_lo, 0, v10
	v_add_nc_u32_e32 v10, 0xffffff89, v10
	v_cndmask_b32_e64 v102, v102, 0x77, vcc_lo
	v_cndmask_b32_e32 v14, v103, v14, vcc_lo
	s_delay_alu instid0(VALU_DEP_3) | instskip(NEXT) | instid1(VALU_DEP_3)
	v_cndmask_b32_e64 v10, v10, 0xffffff8a, vcc_lo
	v_lshl_add_u32 v103, 0x100000, v102, -1
	s_delay_alu instid0(VALU_DEP_3) | instskip(SKIP_1) | instid1(VALU_DEP_4)
	v_lshrrev_b32_e32 v113, v102, v14
	v_lshlrev_b32_e64 v115, v102, 0x80000
	v_add_nc_u32_e32 v102, v102, v10
	s_delay_alu instid0(VALU_DEP_4) | instskip(NEXT) | instid1(VALU_DEP_4)
	v_and_b32_e32 v14, v103, v14
	v_bfe_u32 v114, v113, 20, 1
	s_delay_alu instid0(VALU_DEP_2) | instskip(NEXT) | instid1(VALU_DEP_2)
	v_cmp_eq_u32_e64 s12, v14, v115
	v_add_nc_u32_e32 v103, -1, v114
	s_delay_alu instid0(VALU_DEP_1) | instskip(SKIP_2) | instid1(VALU_DEP_2)
	v_cndmask_b32_e64 v14, 0, v103, s12
	v_lshrrev_b32_e32 v103, 23, v113
	s_mov_b32 s12, exec_lo
	v_add_nc_u32_e32 v14, v14, v113
	s_delay_alu instid0(VALU_DEP_2) | instskip(NEXT) | instid1(VALU_DEP_2)
	v_xor_b32_e32 v103, 1, v103
	v_and_b32_e32 v10, 0xfffff, v14
	s_delay_alu instid0(VALU_DEP_1) | instskip(NEXT) | instid1(VALU_DEP_3)
	v_add_nc_u32_e32 v14, v10, v113
                                        ; implicit-def: $vgpr10
	v_cmpx_ne_u32_e64 v102, v103
	s_xor_b32 s12, exec_lo, s12
; %bb.254:                              ;   in Loop: Header=BB2_143 Depth=2
	s_delay_alu instid0(VALU_DEP_2) | instskip(SKIP_2) | instid1(VALU_DEP_2)
	v_cmp_lt_u32_e32 vcc_lo, 0xffffff, v14
	v_sub_nc_u32_e32 v10, v102, v103
	v_cndmask_b32_e64 v102, 0, 1, vcc_lo
	v_add_co_ci_u32_e32 v10, vcc_lo, 0, v10, vcc_lo
	s_delay_alu instid0(VALU_DEP_2)
	v_lshrrev_b32_e32 v14, v102, v14
; %bb.255:                              ;   in Loop: Header=BB2_143 Depth=2
	s_and_not1_saveexec_b32 s12, s12
; %bb.256:                              ;   in Loop: Header=BB2_143 Depth=2
	s_delay_alu instid0(VALU_DEP_1)
	v_bfe_u32 v10, v14, 23, 1
; %bb.257:                              ;   in Loop: Header=BB2_143 Depth=2
	s_or_b32 exec_lo, exec_lo, s12
	v_lshrrev_b32_e32 v14, 20, v14
	s_delay_alu instid0(VALU_DEP_2) | instskip(SKIP_2) | instid1(VALU_DEP_4)
	v_cmp_gt_i32_e32 vcc_lo, 16, v10
	v_lshrrev_b32_e32 v102, 24, v112
	v_min_i32_e32 v103, 15, v10
	v_cndmask_b32_e32 v14, 7, v14, vcc_lo
	s_delay_alu instid0(VALU_DEP_3) | instskip(NEXT) | instid1(VALU_DEP_3)
	v_and_b32_e32 v102, 0x80, v102
	v_lshlrev_b32_e32 v103, 3, v103
	s_delay_alu instid0(VALU_DEP_3) | instskip(SKIP_1) | instid1(VALU_DEP_2)
	v_and_b32_e32 v112, 7, v14
	v_or_b32_e32 v10, v10, v14
	v_or3_b32 v14, v103, v102, v112
	s_delay_alu instid0(VALU_DEP_2) | instskip(NEXT) | instid1(VALU_DEP_2)
	v_cmp_ne_u32_e32 vcc_lo, 0, v10
	v_cndmask_b32_e32 v10, 0, v14, vcc_lo
.LBB2_258:                              ;   in Loop: Header=BB2_143 Depth=2
	s_or_b32 exec_lo, exec_lo, s28
.LBB2_259:                              ;   in Loop: Header=BB2_143 Depth=2
	s_delay_alu instid0(SALU_CYCLE_1) | instskip(NEXT) | instid1(SALU_CYCLE_1)
	s_or_b32 exec_lo, exec_lo, s27
	s_and_b32 vcc_lo, exec_lo, s26
	s_cbranch_vccz .LBB2_269
; %bb.260:                              ;   in Loop: Header=BB2_143 Depth=2
	v_and_b32_e32 v102, 0xff, v15
	s_mov_b32 s12, 0
	s_mov_b32 s28, exec_lo
                                        ; implicit-def: $sgpr27
	s_delay_alu instid0(VALU_DEP_1)
	v_cmpx_lt_i16_e32 0x7f, v102
	s_xor_b32 s28, exec_lo, s28
	s_cbranch_execnz .LBB2_669
; %bb.261:                              ;   in Loop: Header=BB2_143 Depth=2
	s_or_saveexec_b32 s28, s28
	v_mov_b32_e32 v14, s27
	s_xor_b32 exec_lo, exec_lo, s28
	s_cbranch_execnz .LBB2_672
.LBB2_262:                              ;   in Loop: Header=BB2_143 Depth=2
	s_or_b32 exec_lo, exec_lo, s28
	s_and_saveexec_b32 s27, s12
	s_cbranch_execz .LBB2_264
.LBB2_263:                              ;   in Loop: Header=BB2_143 Depth=2
	v_and_b32_e32 v14, 7, v15
	v_bfe_u32 v112, v15, 3, 4
	v_lshlrev_b32_e32 v113, 24, v15
	s_delay_alu instid0(VALU_DEP_3) | instskip(NEXT) | instid1(VALU_DEP_3)
	v_clz_i32_u32_e32 v102, v14
	v_cmp_eq_u32_e32 vcc_lo, 0, v112
	s_delay_alu instid0(VALU_DEP_2) | instskip(NEXT) | instid1(VALU_DEP_1)
	v_min_u32_e32 v102, 32, v102
	v_subrev_nc_u32_e32 v103, 28, v102
	v_sub_nc_u32_e32 v102, 29, v102
	s_delay_alu instid0(VALU_DEP_1) | instskip(NEXT) | instid1(VALU_DEP_1)
	v_dual_cndmask_b32 v102, v112, v102 :: v_dual_lshlrev_b32 v103, v103, v15
	v_and_b32_e32 v103, 7, v103
	s_delay_alu instid0(VALU_DEP_2) | instskip(NEXT) | instid1(VALU_DEP_2)
	v_lshl_add_u32 v102, v102, 23, 0x3b800000
	v_dual_cndmask_b32 v14, v14, v103 :: v_dual_and_b32 v103, 0x80000000, v113
	s_delay_alu instid0(VALU_DEP_1) | instskip(NEXT) | instid1(VALU_DEP_1)
	v_lshlrev_b32_e32 v14, 20, v14
	v_or3_b32 v14, v103, v102, v14
.LBB2_264:                              ;   in Loop: Header=BB2_143 Depth=2
	s_or_b32 exec_lo, exec_lo, s27
	v_and_b32_e32 v103, 0xff, v11
	s_mov_b32 s12, 0
	s_mov_b32 s28, exec_lo
                                        ; implicit-def: $sgpr27
	s_delay_alu instid0(VALU_DEP_1)
	v_cmpx_lt_i16_e32 0x7f, v103
	s_xor_b32 s28, exec_lo, s28
	s_cbranch_execnz .LBB2_673
; %bb.265:                              ;   in Loop: Header=BB2_143 Depth=2
	s_or_saveexec_b32 s28, s28
	v_mov_b32_e32 v102, s27
	s_xor_b32 exec_lo, exec_lo, s28
	s_cbranch_execnz .LBB2_676
.LBB2_266:                              ;   in Loop: Header=BB2_143 Depth=2
	s_or_b32 exec_lo, exec_lo, s28
	s_and_saveexec_b32 s27, s12
	s_cbranch_execz .LBB2_268
.LBB2_267:                              ;   in Loop: Header=BB2_143 Depth=2
	v_and_b32_e32 v102, 7, v11
	v_bfe_u32 v113, v11, 3, 4
	v_lshlrev_b32_e32 v114, 24, v11
	s_delay_alu instid0(VALU_DEP_3) | instskip(NEXT) | instid1(VALU_DEP_3)
	v_clz_i32_u32_e32 v103, v102
	v_cmp_eq_u32_e32 vcc_lo, 0, v113
	s_delay_alu instid0(VALU_DEP_2) | instskip(NEXT) | instid1(VALU_DEP_1)
	v_min_u32_e32 v103, 32, v103
	v_subrev_nc_u32_e32 v112, 28, v103
	v_sub_nc_u32_e32 v103, 29, v103
	s_delay_alu instid0(VALU_DEP_2) | instskip(NEXT) | instid1(VALU_DEP_1)
	v_lshlrev_b32_e32 v112, v112, v11
	v_dual_cndmask_b32 v103, v113, v103 :: v_dual_and_b32 v112, 7, v112
	s_delay_alu instid0(VALU_DEP_1) | instskip(NEXT) | instid1(VALU_DEP_2)
	v_lshl_add_u32 v103, v103, 23, 0x3b800000
	v_cndmask_b32_e32 v102, v102, v112, vcc_lo
	v_and_b32_e32 v112, 0x80000000, v114
	s_delay_alu instid0(VALU_DEP_2) | instskip(NEXT) | instid1(VALU_DEP_1)
	v_lshlrev_b32_e32 v102, 20, v102
	v_or3_b32 v102, v112, v103, v102
.LBB2_268:                              ;   in Loop: Header=BB2_143 Depth=2
	s_or_b32 exec_lo, exec_lo, s27
	s_delay_alu instid0(VALU_DEP_1) | instskip(SKIP_2) | instid1(VALU_DEP_1)
	v_max_f32_e32 v102, v102, v102
	v_max_f32_e32 v14, v14, v14
	s_mov_b32 s12, 0
	v_max_f32_e32 v102, v14, v102
	s_branch .LBB2_270
.LBB2_269:                              ;   in Loop: Header=BB2_143 Depth=2
	s_mov_b32 s12, -1
                                        ; implicit-def: $vgpr102
.LBB2_270:                              ;   in Loop: Header=BB2_143 Depth=2
	s_delay_alu instid0(SALU_CYCLE_1)
	s_and_b32 vcc_lo, exec_lo, s12
	s_cbranch_vccz .LBB2_280
; %bb.271:                              ;   in Loop: Header=BB2_143 Depth=2
	v_and_b32_e32 v102, 0xff, v15
	s_mov_b32 s12, 0
	s_mov_b32 s28, exec_lo
                                        ; implicit-def: $sgpr27
	s_delay_alu instid0(VALU_DEP_1)
	v_cmpx_lt_i16_e32 0x7f, v102
	s_xor_b32 s28, exec_lo, s28
	s_cbranch_execnz .LBB2_677
; %bb.272:                              ;   in Loop: Header=BB2_143 Depth=2
	s_or_saveexec_b32 s28, s28
	v_mov_b32_e32 v14, s27
	s_xor_b32 exec_lo, exec_lo, s28
	s_cbranch_execnz .LBB2_680
.LBB2_273:                              ;   in Loop: Header=BB2_143 Depth=2
	s_or_b32 exec_lo, exec_lo, s28
	s_and_saveexec_b32 s27, s12
	s_cbranch_execz .LBB2_275
.LBB2_274:                              ;   in Loop: Header=BB2_143 Depth=2
	v_and_b32_e32 v14, 7, v15
	v_bfe_u32 v112, v15, 3, 4
	v_lshlrev_b32_e32 v113, 24, v15
	s_delay_alu instid0(VALU_DEP_3) | instskip(NEXT) | instid1(VALU_DEP_3)
	v_clz_i32_u32_e32 v102, v14
	v_cmp_eq_u32_e32 vcc_lo, 0, v112
	s_delay_alu instid0(VALU_DEP_2) | instskip(NEXT) | instid1(VALU_DEP_1)
	v_min_u32_e32 v102, 32, v102
	v_subrev_nc_u32_e32 v103, 28, v102
	v_sub_nc_u32_e32 v102, 29, v102
	s_delay_alu instid0(VALU_DEP_1) | instskip(NEXT) | instid1(VALU_DEP_1)
	v_dual_cndmask_b32 v102, v112, v102 :: v_dual_lshlrev_b32 v103, v103, v15
	v_and_b32_e32 v103, 7, v103
	s_delay_alu instid0(VALU_DEP_2) | instskip(NEXT) | instid1(VALU_DEP_2)
	v_lshl_add_u32 v102, v102, 23, 0x3b800000
	v_dual_cndmask_b32 v14, v14, v103 :: v_dual_and_b32 v103, 0x80000000, v113
	s_delay_alu instid0(VALU_DEP_1) | instskip(NEXT) | instid1(VALU_DEP_1)
	v_lshlrev_b32_e32 v14, 20, v14
	v_or3_b32 v14, v103, v102, v14
.LBB2_275:                              ;   in Loop: Header=BB2_143 Depth=2
	s_or_b32 exec_lo, exec_lo, s27
	v_and_b32_e32 v103, 0xff, v11
	s_mov_b32 s12, 0
	s_mov_b32 s28, exec_lo
                                        ; implicit-def: $sgpr27
	s_delay_alu instid0(VALU_DEP_1)
	v_cmpx_lt_i16_e32 0x7f, v103
	s_xor_b32 s28, exec_lo, s28
	s_cbranch_execnz .LBB2_681
; %bb.276:                              ;   in Loop: Header=BB2_143 Depth=2
	s_or_saveexec_b32 s28, s28
	v_mov_b32_e32 v102, s27
	s_xor_b32 exec_lo, exec_lo, s28
	s_cbranch_execnz .LBB2_684
.LBB2_277:                              ;   in Loop: Header=BB2_143 Depth=2
	s_or_b32 exec_lo, exec_lo, s28
	s_and_saveexec_b32 s27, s12
	s_cbranch_execz .LBB2_279
.LBB2_278:                              ;   in Loop: Header=BB2_143 Depth=2
	v_and_b32_e32 v102, 7, v11
	v_bfe_u32 v113, v11, 3, 4
	v_lshlrev_b32_e32 v114, 24, v11
	s_delay_alu instid0(VALU_DEP_3) | instskip(NEXT) | instid1(VALU_DEP_3)
	v_clz_i32_u32_e32 v103, v102
	v_cmp_eq_u32_e32 vcc_lo, 0, v113
	s_delay_alu instid0(VALU_DEP_2) | instskip(NEXT) | instid1(VALU_DEP_1)
	v_min_u32_e32 v103, 32, v103
	v_subrev_nc_u32_e32 v112, 28, v103
	v_sub_nc_u32_e32 v103, 29, v103
	s_delay_alu instid0(VALU_DEP_2) | instskip(NEXT) | instid1(VALU_DEP_1)
	v_lshlrev_b32_e32 v112, v112, v11
	v_dual_cndmask_b32 v103, v113, v103 :: v_dual_and_b32 v112, 7, v112
	s_delay_alu instid0(VALU_DEP_1) | instskip(NEXT) | instid1(VALU_DEP_2)
	v_lshl_add_u32 v103, v103, 23, 0x3b800000
	v_cndmask_b32_e32 v102, v102, v112, vcc_lo
	v_and_b32_e32 v112, 0x80000000, v114
	s_delay_alu instid0(VALU_DEP_2) | instskip(NEXT) | instid1(VALU_DEP_1)
	v_lshlrev_b32_e32 v102, 20, v102
	v_or3_b32 v102, v112, v103, v102
.LBB2_279:                              ;   in Loop: Header=BB2_143 Depth=2
	s_or_b32 exec_lo, exec_lo, s27
	s_delay_alu instid0(VALU_DEP_1) | instskip(SKIP_1) | instid1(VALU_DEP_1)
	v_max_f32_e32 v102, v102, v102
	v_max_f32_e32 v14, v14, v14
	v_min_f32_e32 v102, v14, v102
.LBB2_280:                              ;   in Loop: Header=BB2_143 Depth=2
	s_delay_alu instid0(VALU_DEP_1) | instskip(NEXT) | instid1(VALU_DEP_1)
	v_and_b32_e32 v14, 0x7f800000, v102
	v_cmp_ne_u32_e32 vcc_lo, 0x7f800000, v14
	v_mov_b32_e32 v14, 0x80
	s_and_saveexec_b32 s27, vcc_lo
	s_cbranch_execz .LBB2_288
; %bb.281:                              ;   in Loop: Header=BB2_143 Depth=2
	v_mov_b32_e32 v14, 0
	s_mov_b32 s28, exec_lo
	v_cmpx_ne_u32_e32 0, v102
	s_cbranch_execz .LBB2_287
; %bb.282:                              ;   in Loop: Header=BB2_143 Depth=2
	v_bfe_u32 v14, v102, 23, 8
	s_delay_alu instid0(VALU_DEP_1) | instskip(SKIP_1) | instid1(VALU_DEP_2)
	v_sub_nc_u32_e32 v112, 0x78, v14
	v_cmp_gt_u32_e32 vcc_lo, 0x79, v14
	v_dual_cndmask_b32 v112, 0, v112 :: v_dual_and_b32 v103, 0x7fffff, v102
	s_delay_alu instid0(VALU_DEP_1) | instskip(SKIP_2) | instid1(VALU_DEP_4)
	v_or_b32_e32 v113, 0x800000, v103
	v_cmp_eq_u32_e32 vcc_lo, 0, v14
	v_add_nc_u32_e32 v14, 0xffffff89, v14
	v_cndmask_b32_e64 v112, v112, 0x77, vcc_lo
	s_delay_alu instid0(VALU_DEP_4) | instskip(NEXT) | instid1(VALU_DEP_3)
	v_cndmask_b32_e32 v103, v113, v103, vcc_lo
	v_cndmask_b32_e64 v14, v14, 0xffffff8a, vcc_lo
	s_delay_alu instid0(VALU_DEP_3) | instskip(NEXT) | instid1(VALU_DEP_3)
	v_lshl_add_u32 v113, 0x100000, v112, -1
	v_lshrrev_b32_e32 v114, v112, v103
	v_lshlrev_b32_e64 v116, v112, 0x80000
	s_delay_alu instid0(VALU_DEP_4) | instskip(NEXT) | instid1(VALU_DEP_4)
	v_add_nc_u32_e32 v112, v112, v14
	v_and_b32_e32 v103, v113, v103
	s_delay_alu instid0(VALU_DEP_4) | instskip(NEXT) | instid1(VALU_DEP_2)
	v_bfe_u32 v115, v114, 20, 1
	v_cmp_eq_u32_e64 s12, v103, v116
	s_delay_alu instid0(VALU_DEP_2) | instskip(NEXT) | instid1(VALU_DEP_1)
	v_add_nc_u32_e32 v113, -1, v115
	v_cndmask_b32_e64 v103, 0, v113, s12
	v_lshrrev_b32_e32 v113, 23, v114
	s_mov_b32 s12, exec_lo
	s_delay_alu instid0(VALU_DEP_2) | instskip(NEXT) | instid1(VALU_DEP_2)
	v_add_nc_u32_e32 v103, v103, v114
	v_xor_b32_e32 v113, 1, v113
	s_delay_alu instid0(VALU_DEP_2) | instskip(NEXT) | instid1(VALU_DEP_1)
	v_and_b32_e32 v14, 0xfffff, v103
	v_add_nc_u32_e32 v103, v14, v114
                                        ; implicit-def: $vgpr14
	s_delay_alu instid0(VALU_DEP_3)
	v_cmpx_ne_u32_e64 v112, v113
	s_xor_b32 s12, exec_lo, s12
; %bb.283:                              ;   in Loop: Header=BB2_143 Depth=2
	s_delay_alu instid0(VALU_DEP_2) | instskip(SKIP_2) | instid1(VALU_DEP_2)
	v_cmp_lt_u32_e32 vcc_lo, 0xffffff, v103
	v_sub_nc_u32_e32 v14, v112, v113
	v_cndmask_b32_e64 v112, 0, 1, vcc_lo
	v_add_co_ci_u32_e32 v14, vcc_lo, 0, v14, vcc_lo
	s_delay_alu instid0(VALU_DEP_2)
	v_lshrrev_b32_e32 v103, v112, v103
; %bb.284:                              ;   in Loop: Header=BB2_143 Depth=2
	s_and_not1_saveexec_b32 s12, s12
; %bb.285:                              ;   in Loop: Header=BB2_143 Depth=2
	s_delay_alu instid0(VALU_DEP_1)
	v_bfe_u32 v14, v103, 23, 1
; %bb.286:                              ;   in Loop: Header=BB2_143 Depth=2
	s_or_b32 exec_lo, exec_lo, s12
	v_lshrrev_b32_e32 v103, 20, v103
	s_delay_alu instid0(VALU_DEP_2) | instskip(SKIP_2) | instid1(VALU_DEP_2)
	v_cmp_gt_i32_e32 vcc_lo, 16, v14
	v_lshrrev_b32_e32 v102, 24, v102
	v_min_i32_e32 v112, 15, v14
	v_dual_cndmask_b32 v103, 7, v103 :: v_dual_and_b32 v102, 0x80, v102
	s_delay_alu instid0(VALU_DEP_2) | instskip(NEXT) | instid1(VALU_DEP_2)
	v_lshlrev_b32_e32 v112, 3, v112
	v_or_b32_e32 v14, v14, v103
	s_delay_alu instid0(VALU_DEP_1) | instskip(SKIP_1) | instid1(VALU_DEP_1)
	v_cmp_ne_u32_e32 vcc_lo, 0, v14
	v_and_b32_e32 v113, 7, v103
	v_or3_b32 v102, v112, v102, v113
	s_delay_alu instid0(VALU_DEP_1)
	v_cndmask_b32_e32 v14, 0, v102, vcc_lo
.LBB2_287:                              ;   in Loop: Header=BB2_143 Depth=2
	s_or_b32 exec_lo, exec_lo, s28
.LBB2_288:                              ;   in Loop: Header=BB2_143 Depth=2
	s_delay_alu instid0(SALU_CYCLE_1)
	s_or_b32 exec_lo, exec_lo, s27
	v_lshrrev_b16 v103, 8, v15
	v_lshrrev_b16 v102, 8, v11
	s_and_b32 vcc_lo, exec_lo, s26
	s_cbranch_vccz .LBB2_298
; %bb.289:                              ;   in Loop: Header=BB2_143 Depth=2
	s_mov_b32 s12, 0
	s_mov_b32 s28, exec_lo
                                        ; implicit-def: $sgpr27
	v_cmpx_lt_i16_e32 0x7f, v103
	s_xor_b32 s28, exec_lo, s28
	s_cbranch_execnz .LBB2_685
; %bb.290:                              ;   in Loop: Header=BB2_143 Depth=2
	s_or_saveexec_b32 s28, s28
	v_mov_b32_e32 v112, s27
	s_xor_b32 exec_lo, exec_lo, s28
	s_cbranch_execnz .LBB2_688
.LBB2_291:                              ;   in Loop: Header=BB2_143 Depth=2
	s_or_b32 exec_lo, exec_lo, s28
	s_and_saveexec_b32 s27, s12
	s_cbranch_execz .LBB2_293
.LBB2_292:                              ;   in Loop: Header=BB2_143 Depth=2
	v_and_b32_e32 v112, 0xffff, v103
	v_lshlrev_b32_e32 v116, 16, v15
	s_delay_alu instid0(VALU_DEP_2) | instskip(NEXT) | instid1(VALU_DEP_1)
	v_and_b32_e32 v113, 7, v112
	v_clz_i32_u32_e32 v114, v113
	s_delay_alu instid0(VALU_DEP_1) | instskip(NEXT) | instid1(VALU_DEP_1)
	v_min_u32_e32 v114, 32, v114
	v_subrev_nc_u32_e32 v115, 28, v114
	v_sub_nc_u32_e32 v114, 29, v114
	s_delay_alu instid0(VALU_DEP_2) | instskip(SKIP_1) | instid1(VALU_DEP_2)
	v_lshlrev_b32_e32 v115, v115, v112
	v_bfe_u32 v112, v112, 3, 4
	v_and_b32_e32 v115, 7, v115
	s_delay_alu instid0(VALU_DEP_2) | instskip(NEXT) | instid1(VALU_DEP_2)
	v_cmp_eq_u32_e32 vcc_lo, 0, v112
	v_dual_cndmask_b32 v112, v112, v114 :: v_dual_cndmask_b32 v113, v113, v115
	v_and_b32_e32 v114, 0x80000000, v116
	s_delay_alu instid0(VALU_DEP_2) | instskip(NEXT) | instid1(VALU_DEP_3)
	v_lshl_add_u32 v112, v112, 23, 0x3b800000
	v_lshlrev_b32_e32 v113, 20, v113
	s_delay_alu instid0(VALU_DEP_1)
	v_or3_b32 v112, v114, v112, v113
.LBB2_293:                              ;   in Loop: Header=BB2_143 Depth=2
	s_or_b32 exec_lo, exec_lo, s27
	s_mov_b32 s12, 0
	s_mov_b32 s28, exec_lo
                                        ; implicit-def: $sgpr27
	v_cmpx_lt_i16_e32 0x7f, v102
	s_xor_b32 s28, exec_lo, s28
	s_cbranch_execnz .LBB2_689
; %bb.294:                              ;   in Loop: Header=BB2_143 Depth=2
	s_or_saveexec_b32 s28, s28
	v_mov_b32_e32 v113, s27
	s_xor_b32 exec_lo, exec_lo, s28
	s_cbranch_execnz .LBB2_692
.LBB2_295:                              ;   in Loop: Header=BB2_143 Depth=2
	s_or_b32 exec_lo, exec_lo, s28
	s_and_saveexec_b32 s27, s12
	s_cbranch_execz .LBB2_297
.LBB2_296:                              ;   in Loop: Header=BB2_143 Depth=2
	v_and_b32_e32 v113, 0xffff, v102
	v_lshlrev_b32_e32 v117, 16, v11
	s_delay_alu instid0(VALU_DEP_2) | instskip(NEXT) | instid1(VALU_DEP_1)
	v_and_b32_e32 v114, 7, v113
	v_clz_i32_u32_e32 v115, v114
	s_delay_alu instid0(VALU_DEP_1) | instskip(NEXT) | instid1(VALU_DEP_1)
	v_min_u32_e32 v115, 32, v115
	v_subrev_nc_u32_e32 v116, 28, v115
	v_sub_nc_u32_e32 v115, 29, v115
	s_delay_alu instid0(VALU_DEP_2) | instskip(SKIP_1) | instid1(VALU_DEP_2)
	v_lshlrev_b32_e32 v116, v116, v113
	v_bfe_u32 v113, v113, 3, 4
	v_and_b32_e32 v116, 7, v116
	s_delay_alu instid0(VALU_DEP_2) | instskip(NEXT) | instid1(VALU_DEP_2)
	v_cmp_eq_u32_e32 vcc_lo, 0, v113
	v_dual_cndmask_b32 v113, v113, v115 :: v_dual_cndmask_b32 v114, v114, v116
	v_and_b32_e32 v115, 0x80000000, v117
	s_delay_alu instid0(VALU_DEP_2) | instskip(NEXT) | instid1(VALU_DEP_3)
	v_lshl_add_u32 v113, v113, 23, 0x3b800000
	v_lshlrev_b32_e32 v114, 20, v114
	s_delay_alu instid0(VALU_DEP_1)
	v_or3_b32 v113, v115, v113, v114
.LBB2_297:                              ;   in Loop: Header=BB2_143 Depth=2
	s_or_b32 exec_lo, exec_lo, s27
	s_delay_alu instid0(VALU_DEP_1) | instskip(SKIP_1) | instid1(VALU_DEP_1)
	v_dual_max_f32 v113, v113, v113 :: v_dual_max_f32 v112, v112, v112
	s_mov_b32 s12, 0
	v_max_f32_e32 v112, v112, v113
	s_branch .LBB2_299
.LBB2_298:                              ;   in Loop: Header=BB2_143 Depth=2
	s_mov_b32 s12, -1
                                        ; implicit-def: $vgpr112
.LBB2_299:                              ;   in Loop: Header=BB2_143 Depth=2
	s_delay_alu instid0(SALU_CYCLE_1)
	s_and_b32 vcc_lo, exec_lo, s12
	s_cbranch_vccz .LBB2_309
; %bb.300:                              ;   in Loop: Header=BB2_143 Depth=2
	s_mov_b32 s12, 0
	s_mov_b32 s28, exec_lo
                                        ; implicit-def: $sgpr27
	v_cmpx_lt_i16_e32 0x7f, v103
	s_xor_b32 s28, exec_lo, s28
	s_cbranch_execnz .LBB2_693
; %bb.301:                              ;   in Loop: Header=BB2_143 Depth=2
	s_or_saveexec_b32 s28, s28
	v_mov_b32_e32 v112, s27
	s_xor_b32 exec_lo, exec_lo, s28
	s_cbranch_execnz .LBB2_696
.LBB2_302:                              ;   in Loop: Header=BB2_143 Depth=2
	s_or_b32 exec_lo, exec_lo, s28
	s_and_saveexec_b32 s27, s12
	s_cbranch_execz .LBB2_304
.LBB2_303:                              ;   in Loop: Header=BB2_143 Depth=2
	v_and_b32_e32 v103, 0xffff, v103
	v_lshlrev_b32_e32 v115, 16, v15
	s_delay_alu instid0(VALU_DEP_2) | instskip(NEXT) | instid1(VALU_DEP_1)
	v_and_b32_e32 v112, 7, v103
	v_clz_i32_u32_e32 v113, v112
	s_delay_alu instid0(VALU_DEP_1) | instskip(NEXT) | instid1(VALU_DEP_1)
	v_min_u32_e32 v113, 32, v113
	v_subrev_nc_u32_e32 v114, 28, v113
	v_sub_nc_u32_e32 v113, 29, v113
	s_delay_alu instid0(VALU_DEP_2) | instskip(SKIP_1) | instid1(VALU_DEP_2)
	v_lshlrev_b32_e32 v114, v114, v103
	v_bfe_u32 v103, v103, 3, 4
	v_and_b32_e32 v114, 7, v114
	s_delay_alu instid0(VALU_DEP_2) | instskip(NEXT) | instid1(VALU_DEP_2)
	v_cmp_eq_u32_e32 vcc_lo, 0, v103
	v_dual_cndmask_b32 v103, v103, v113 :: v_dual_cndmask_b32 v112, v112, v114
	v_and_b32_e32 v113, 0x80000000, v115
	s_delay_alu instid0(VALU_DEP_2) | instskip(NEXT) | instid1(VALU_DEP_3)
	v_lshl_add_u32 v103, v103, 23, 0x3b800000
	v_lshlrev_b32_e32 v112, 20, v112
	s_delay_alu instid0(VALU_DEP_1)
	v_or3_b32 v112, v113, v103, v112
.LBB2_304:                              ;   in Loop: Header=BB2_143 Depth=2
	s_or_b32 exec_lo, exec_lo, s27
	s_mov_b32 s12, 0
	s_mov_b32 s28, exec_lo
                                        ; implicit-def: $sgpr27
	v_cmpx_lt_i16_e32 0x7f, v102
	s_xor_b32 s28, exec_lo, s28
	s_cbranch_execnz .LBB2_697
; %bb.305:                              ;   in Loop: Header=BB2_143 Depth=2
	s_or_saveexec_b32 s28, s28
	v_mov_b32_e32 v103, s27
	s_xor_b32 exec_lo, exec_lo, s28
	s_cbranch_execnz .LBB2_700
.LBB2_306:                              ;   in Loop: Header=BB2_143 Depth=2
	s_or_b32 exec_lo, exec_lo, s28
	s_and_saveexec_b32 s27, s12
	s_cbranch_execz .LBB2_308
.LBB2_307:                              ;   in Loop: Header=BB2_143 Depth=2
	v_and_b32_e32 v102, 0xffff, v102
	v_lshlrev_b32_e32 v115, 16, v11
	s_delay_alu instid0(VALU_DEP_2) | instskip(NEXT) | instid1(VALU_DEP_1)
	v_and_b32_e32 v103, 7, v102
	v_clz_i32_u32_e32 v113, v103
	s_delay_alu instid0(VALU_DEP_1) | instskip(NEXT) | instid1(VALU_DEP_1)
	v_min_u32_e32 v113, 32, v113
	v_subrev_nc_u32_e32 v114, 28, v113
	v_sub_nc_u32_e32 v113, 29, v113
	s_delay_alu instid0(VALU_DEP_2) | instskip(SKIP_1) | instid1(VALU_DEP_2)
	v_lshlrev_b32_e32 v114, v114, v102
	v_bfe_u32 v102, v102, 3, 4
	v_and_b32_e32 v114, 7, v114
	s_delay_alu instid0(VALU_DEP_2) | instskip(NEXT) | instid1(VALU_DEP_2)
	v_cmp_eq_u32_e32 vcc_lo, 0, v102
	v_dual_cndmask_b32 v102, v102, v113 :: v_dual_cndmask_b32 v103, v103, v114
	v_and_b32_e32 v113, 0x80000000, v115
	s_delay_alu instid0(VALU_DEP_2) | instskip(NEXT) | instid1(VALU_DEP_3)
	v_lshl_add_u32 v102, v102, 23, 0x3b800000
	v_lshlrev_b32_e32 v103, 20, v103
	s_delay_alu instid0(VALU_DEP_1)
	v_or3_b32 v103, v113, v102, v103
.LBB2_308:                              ;   in Loop: Header=BB2_143 Depth=2
	s_or_b32 exec_lo, exec_lo, s27
	s_delay_alu instid0(VALU_DEP_1) | instskip(NEXT) | instid1(VALU_DEP_1)
	v_dual_max_f32 v102, v103, v103 :: v_dual_max_f32 v103, v112, v112
	v_min_f32_e32 v112, v103, v102
.LBB2_309:                              ;   in Loop: Header=BB2_143 Depth=2
	s_delay_alu instid0(VALU_DEP_1) | instskip(NEXT) | instid1(VALU_DEP_1)
	v_and_b32_e32 v102, 0x7f800000, v112
	v_cmp_ne_u32_e32 vcc_lo, 0x7f800000, v102
	v_mov_b32_e32 v102, 0x80
	s_and_saveexec_b32 s27, vcc_lo
	s_cbranch_execz .LBB2_317
; %bb.310:                              ;   in Loop: Header=BB2_143 Depth=2
	v_mov_b32_e32 v102, 0
	s_mov_b32 s28, exec_lo
	v_cmpx_ne_u32_e32 0, v112
	s_cbranch_execz .LBB2_316
; %bb.311:                              ;   in Loop: Header=BB2_143 Depth=2
	v_bfe_u32 v102, v112, 23, 8
	v_and_b32_e32 v103, 0x7fffff, v112
	s_delay_alu instid0(VALU_DEP_2) | instskip(SKIP_1) | instid1(VALU_DEP_3)
	v_sub_nc_u32_e32 v113, 0x78, v102
	v_cmp_gt_u32_e32 vcc_lo, 0x79, v102
	v_or_b32_e32 v114, 0x800000, v103
	s_delay_alu instid0(VALU_DEP_3) | instskip(SKIP_2) | instid1(VALU_DEP_3)
	v_cndmask_b32_e32 v113, 0, v113, vcc_lo
	v_cmp_eq_u32_e32 vcc_lo, 0, v102
	v_add_nc_u32_e32 v102, 0xffffff89, v102
	v_cndmask_b32_e64 v113, v113, 0x77, vcc_lo
	v_cndmask_b32_e32 v103, v114, v103, vcc_lo
	s_delay_alu instid0(VALU_DEP_3) | instskip(NEXT) | instid1(VALU_DEP_3)
	v_cndmask_b32_e64 v102, v102, 0xffffff8a, vcc_lo
	v_lshl_add_u32 v114, 0x100000, v113, -1
	s_delay_alu instid0(VALU_DEP_3) | instskip(SKIP_1) | instid1(VALU_DEP_4)
	v_lshrrev_b32_e32 v115, v113, v103
	v_lshlrev_b32_e64 v117, v113, 0x80000
	v_add_nc_u32_e32 v113, v113, v102
	s_delay_alu instid0(VALU_DEP_4) | instskip(NEXT) | instid1(VALU_DEP_4)
	v_and_b32_e32 v103, v114, v103
	v_bfe_u32 v116, v115, 20, 1
	s_delay_alu instid0(VALU_DEP_2) | instskip(NEXT) | instid1(VALU_DEP_2)
	v_cmp_eq_u32_e64 s12, v103, v117
	v_add_nc_u32_e32 v114, -1, v116
	s_delay_alu instid0(VALU_DEP_1) | instskip(SKIP_2) | instid1(VALU_DEP_2)
	v_cndmask_b32_e64 v103, 0, v114, s12
	v_lshrrev_b32_e32 v114, 23, v115
	s_mov_b32 s12, exec_lo
	v_add_nc_u32_e32 v103, v103, v115
	s_delay_alu instid0(VALU_DEP_2) | instskip(NEXT) | instid1(VALU_DEP_2)
	v_xor_b32_e32 v114, 1, v114
	v_and_b32_e32 v102, 0xfffff, v103
	s_delay_alu instid0(VALU_DEP_1) | instskip(NEXT) | instid1(VALU_DEP_3)
	v_add_nc_u32_e32 v103, v102, v115
                                        ; implicit-def: $vgpr102
	v_cmpx_ne_u32_e64 v113, v114
	s_xor_b32 s12, exec_lo, s12
; %bb.312:                              ;   in Loop: Header=BB2_143 Depth=2
	s_delay_alu instid0(VALU_DEP_2) | instskip(SKIP_2) | instid1(VALU_DEP_2)
	v_cmp_lt_u32_e32 vcc_lo, 0xffffff, v103
	v_sub_nc_u32_e32 v102, v113, v114
	v_cndmask_b32_e64 v113, 0, 1, vcc_lo
	v_add_co_ci_u32_e32 v102, vcc_lo, 0, v102, vcc_lo
	s_delay_alu instid0(VALU_DEP_2)
	v_lshrrev_b32_e32 v103, v113, v103
; %bb.313:                              ;   in Loop: Header=BB2_143 Depth=2
	s_and_not1_saveexec_b32 s12, s12
; %bb.314:                              ;   in Loop: Header=BB2_143 Depth=2
	s_delay_alu instid0(VALU_DEP_1)
	v_bfe_u32 v102, v103, 23, 1
; %bb.315:                              ;   in Loop: Header=BB2_143 Depth=2
	s_or_b32 exec_lo, exec_lo, s12
	v_lshrrev_b32_e32 v103, 20, v103
	s_delay_alu instid0(VALU_DEP_2) | instskip(SKIP_2) | instid1(VALU_DEP_2)
	v_cmp_gt_i32_e32 vcc_lo, 16, v102
	v_lshrrev_b32_e32 v112, 24, v112
	v_min_i32_e32 v113, 15, v102
	v_dual_cndmask_b32 v103, 7, v103 :: v_dual_and_b32 v112, 0x80, v112
	s_delay_alu instid0(VALU_DEP_1) | instskip(SKIP_1) | instid1(VALU_DEP_2)
	v_or_b32_e32 v102, v102, v103
	v_and_b32_e32 v114, 7, v103
	v_cmp_ne_u32_e32 vcc_lo, 0, v102
	v_lshlrev_b32_e32 v113, 3, v113
	s_delay_alu instid0(VALU_DEP_1) | instskip(NEXT) | instid1(VALU_DEP_1)
	v_or3_b32 v103, v113, v112, v114
	v_cndmask_b32_e32 v102, 0, v103, vcc_lo
.LBB2_316:                              ;   in Loop: Header=BB2_143 Depth=2
	s_or_b32 exec_lo, exec_lo, s28
.LBB2_317:                              ;   in Loop: Header=BB2_143 Depth=2
	s_delay_alu instid0(SALU_CYCLE_1)
	s_or_b32 exec_lo, exec_lo, s27
	v_lshrrev_b32_e32 v112, 16, v15
	v_lshrrev_b32_e32 v103, 16, v11
	s_and_b32 vcc_lo, exec_lo, s26
	s_cbranch_vccz .LBB2_327
; %bb.318:                              ;   in Loop: Header=BB2_143 Depth=2
	s_delay_alu instid0(VALU_DEP_2) | instskip(SKIP_2) | instid1(VALU_DEP_1)
	v_and_b32_e32 v114, 0xff, v112
	s_mov_b32 s12, 0
	s_mov_b32 s28, exec_lo
                                        ; implicit-def: $sgpr27
	v_cmpx_lt_i16_e32 0x7f, v114
	s_xor_b32 s28, exec_lo, s28
	s_cbranch_execnz .LBB2_701
; %bb.319:                              ;   in Loop: Header=BB2_143 Depth=2
	s_or_saveexec_b32 s28, s28
	v_mov_b32_e32 v113, s27
	s_xor_b32 exec_lo, exec_lo, s28
	s_cbranch_execnz .LBB2_704
.LBB2_320:                              ;   in Loop: Header=BB2_143 Depth=2
	s_or_b32 exec_lo, exec_lo, s28
	s_and_saveexec_b32 s27, s12
	s_cbranch_execz .LBB2_322
.LBB2_321:                              ;   in Loop: Header=BB2_143 Depth=2
	v_bfe_u32 v113, v15, 16, 3
	v_bfe_u32 v116, v15, 19, 4
	v_lshlrev_b32_e32 v117, 24, v112
	s_delay_alu instid0(VALU_DEP_3) | instskip(NEXT) | instid1(VALU_DEP_3)
	v_clz_i32_u32_e32 v114, v113
	v_cmp_eq_u32_e32 vcc_lo, 0, v116
	s_delay_alu instid0(VALU_DEP_2) | instskip(NEXT) | instid1(VALU_DEP_1)
	v_min_u32_e32 v114, 32, v114
	v_subrev_nc_u32_e32 v115, 28, v114
	v_sub_nc_u32_e32 v114, 29, v114
	s_delay_alu instid0(VALU_DEP_1) | instskip(NEXT) | instid1(VALU_DEP_1)
	v_dual_cndmask_b32 v114, v116, v114 :: v_dual_lshlrev_b32 v115, v115, v112
	v_and_b32_e32 v115, 7, v115
	s_delay_alu instid0(VALU_DEP_2) | instskip(NEXT) | instid1(VALU_DEP_2)
	v_lshl_add_u32 v114, v114, 23, 0x3b800000
	v_cndmask_b32_e32 v113, v113, v115, vcc_lo
	v_and_b32_e32 v115, 0x80000000, v117
	s_delay_alu instid0(VALU_DEP_2) | instskip(NEXT) | instid1(VALU_DEP_1)
	v_lshlrev_b32_e32 v113, 20, v113
	v_or3_b32 v113, v115, v114, v113
.LBB2_322:                              ;   in Loop: Header=BB2_143 Depth=2
	s_or_b32 exec_lo, exec_lo, s27
	v_and_b32_e32 v115, 0xff, v103
	s_mov_b32 s12, 0
	s_mov_b32 s28, exec_lo
                                        ; implicit-def: $sgpr27
	s_delay_alu instid0(VALU_DEP_1)
	v_cmpx_lt_i16_e32 0x7f, v115
	s_xor_b32 s28, exec_lo, s28
	s_cbranch_execnz .LBB2_705
; %bb.323:                              ;   in Loop: Header=BB2_143 Depth=2
	s_or_saveexec_b32 s28, s28
	v_mov_b32_e32 v114, s27
	s_xor_b32 exec_lo, exec_lo, s28
	s_cbranch_execnz .LBB2_708
.LBB2_324:                              ;   in Loop: Header=BB2_143 Depth=2
	s_or_b32 exec_lo, exec_lo, s28
	s_and_saveexec_b32 s27, s12
	s_cbranch_execz .LBB2_326
.LBB2_325:                              ;   in Loop: Header=BB2_143 Depth=2
	v_bfe_u32 v114, v11, 16, 3
	v_bfe_u32 v117, v11, 19, 4
	v_lshlrev_b32_e32 v118, 24, v103
	s_delay_alu instid0(VALU_DEP_3) | instskip(NEXT) | instid1(VALU_DEP_3)
	v_clz_i32_u32_e32 v115, v114
	v_cmp_eq_u32_e32 vcc_lo, 0, v117
	s_delay_alu instid0(VALU_DEP_2) | instskip(NEXT) | instid1(VALU_DEP_1)
	v_min_u32_e32 v115, 32, v115
	v_subrev_nc_u32_e32 v116, 28, v115
	v_sub_nc_u32_e32 v115, 29, v115
	s_delay_alu instid0(VALU_DEP_2) | instskip(NEXT) | instid1(VALU_DEP_1)
	v_lshlrev_b32_e32 v116, v116, v103
	v_dual_cndmask_b32 v115, v117, v115 :: v_dual_and_b32 v116, 7, v116
	s_delay_alu instid0(VALU_DEP_1) | instskip(NEXT) | instid1(VALU_DEP_2)
	v_lshl_add_u32 v115, v115, 23, 0x3b800000
	v_cndmask_b32_e32 v114, v114, v116, vcc_lo
	v_and_b32_e32 v116, 0x80000000, v118
	s_delay_alu instid0(VALU_DEP_2) | instskip(NEXT) | instid1(VALU_DEP_1)
	v_lshlrev_b32_e32 v114, 20, v114
	v_or3_b32 v114, v116, v115, v114
.LBB2_326:                              ;   in Loop: Header=BB2_143 Depth=2
	s_or_b32 exec_lo, exec_lo, s27
	s_delay_alu instid0(VALU_DEP_1) | instskip(SKIP_1) | instid1(VALU_DEP_1)
	v_dual_max_f32 v114, v114, v114 :: v_dual_max_f32 v113, v113, v113
	s_mov_b32 s12, 0
	v_max_f32_e32 v113, v113, v114
	s_branch .LBB2_328
.LBB2_327:                              ;   in Loop: Header=BB2_143 Depth=2
	s_mov_b32 s12, -1
                                        ; implicit-def: $vgpr113
.LBB2_328:                              ;   in Loop: Header=BB2_143 Depth=2
	s_delay_alu instid0(SALU_CYCLE_1)
	s_and_b32 vcc_lo, exec_lo, s12
	s_cbranch_vccz .LBB2_338
; %bb.329:                              ;   in Loop: Header=BB2_143 Depth=2
	v_and_b32_e32 v114, 0xff, v112
	s_mov_b32 s12, 0
	s_mov_b32 s28, exec_lo
                                        ; implicit-def: $sgpr27
	s_delay_alu instid0(VALU_DEP_1)
	v_cmpx_lt_i16_e32 0x7f, v114
	s_xor_b32 s28, exec_lo, s28
	s_cbranch_execnz .LBB2_709
; %bb.330:                              ;   in Loop: Header=BB2_143 Depth=2
	s_or_saveexec_b32 s28, s28
	v_mov_b32_e32 v113, s27
	s_xor_b32 exec_lo, exec_lo, s28
	s_cbranch_execnz .LBB2_712
.LBB2_331:                              ;   in Loop: Header=BB2_143 Depth=2
	s_or_b32 exec_lo, exec_lo, s28
	s_and_saveexec_b32 s27, s12
	s_cbranch_execz .LBB2_333
.LBB2_332:                              ;   in Loop: Header=BB2_143 Depth=2
	v_bfe_u32 v113, v15, 16, 3
	v_bfe_u32 v116, v15, 19, 4
	s_delay_alu instid0(VALU_DEP_2) | instskip(NEXT) | instid1(VALU_DEP_2)
	v_clz_i32_u32_e32 v114, v113
	v_cmp_eq_u32_e32 vcc_lo, 0, v116
	s_delay_alu instid0(VALU_DEP_2) | instskip(NEXT) | instid1(VALU_DEP_1)
	v_min_u32_e32 v114, 32, v114
	v_subrev_nc_u32_e32 v115, 28, v114
	v_sub_nc_u32_e32 v114, 29, v114
	s_delay_alu instid0(VALU_DEP_1) | instskip(NEXT) | instid1(VALU_DEP_1)
	v_dual_cndmask_b32 v114, v116, v114 :: v_dual_lshlrev_b32 v115, v115, v112
	v_and_b32_e32 v115, 7, v115
	v_lshlrev_b32_e32 v112, 24, v112
	s_delay_alu instid0(VALU_DEP_3) | instskip(NEXT) | instid1(VALU_DEP_2)
	v_lshl_add_u32 v114, v114, 23, 0x3b800000
	v_dual_cndmask_b32 v113, v113, v115 :: v_dual_and_b32 v112, 0x80000000, v112
	s_delay_alu instid0(VALU_DEP_1) | instskip(NEXT) | instid1(VALU_DEP_1)
	v_lshlrev_b32_e32 v113, 20, v113
	v_or3_b32 v113, v112, v114, v113
.LBB2_333:                              ;   in Loop: Header=BB2_143 Depth=2
	s_or_b32 exec_lo, exec_lo, s27
	v_and_b32_e32 v114, 0xff, v103
	s_mov_b32 s12, 0
	s_mov_b32 s28, exec_lo
                                        ; implicit-def: $sgpr27
	s_delay_alu instid0(VALU_DEP_1)
	v_cmpx_lt_i16_e32 0x7f, v114
	s_xor_b32 s28, exec_lo, s28
	s_cbranch_execnz .LBB2_713
; %bb.334:                              ;   in Loop: Header=BB2_143 Depth=2
	s_or_saveexec_b32 s28, s28
	v_mov_b32_e32 v112, s27
	s_xor_b32 exec_lo, exec_lo, s28
	s_cbranch_execnz .LBB2_716
.LBB2_335:                              ;   in Loop: Header=BB2_143 Depth=2
	s_or_b32 exec_lo, exec_lo, s28
	s_and_saveexec_b32 s27, s12
	s_cbranch_execz .LBB2_337
.LBB2_336:                              ;   in Loop: Header=BB2_143 Depth=2
	v_bfe_u32 v112, v11, 16, 3
	v_bfe_u32 v116, v11, 19, 4
	s_delay_alu instid0(VALU_DEP_2) | instskip(NEXT) | instid1(VALU_DEP_2)
	v_clz_i32_u32_e32 v114, v112
	v_cmp_eq_u32_e32 vcc_lo, 0, v116
	s_delay_alu instid0(VALU_DEP_2) | instskip(NEXT) | instid1(VALU_DEP_1)
	v_min_u32_e32 v114, 32, v114
	v_subrev_nc_u32_e32 v115, 28, v114
	v_sub_nc_u32_e32 v114, 29, v114
	s_delay_alu instid0(VALU_DEP_1) | instskip(SKIP_1) | instid1(VALU_DEP_2)
	v_dual_cndmask_b32 v114, v116, v114 :: v_dual_lshlrev_b32 v115, v115, v103
	v_lshlrev_b32_e32 v103, 24, v103
	v_and_b32_e32 v115, 7, v115
	s_delay_alu instid0(VALU_DEP_3) | instskip(NEXT) | instid1(VALU_DEP_3)
	v_lshl_add_u32 v114, v114, 23, 0x3b800000
	v_and_b32_e32 v103, 0x80000000, v103
	s_delay_alu instid0(VALU_DEP_3) | instskip(NEXT) | instid1(VALU_DEP_1)
	v_cndmask_b32_e32 v112, v112, v115, vcc_lo
	v_lshlrev_b32_e32 v112, 20, v112
	s_delay_alu instid0(VALU_DEP_1)
	v_or3_b32 v112, v103, v114, v112
.LBB2_337:                              ;   in Loop: Header=BB2_143 Depth=2
	s_or_b32 exec_lo, exec_lo, s27
	s_delay_alu instid0(VALU_DEP_1) | instskip(NEXT) | instid1(VALU_DEP_1)
	v_dual_max_f32 v103, v112, v112 :: v_dual_max_f32 v112, v113, v113
	v_min_f32_e32 v113, v112, v103
.LBB2_338:                              ;   in Loop: Header=BB2_143 Depth=2
	s_delay_alu instid0(VALU_DEP_1) | instskip(NEXT) | instid1(VALU_DEP_1)
	v_and_b32_e32 v103, 0x7f800000, v113
	v_cmp_ne_u32_e32 vcc_lo, 0x7f800000, v103
	v_mov_b32_e32 v103, 0x80
	s_and_saveexec_b32 s27, vcc_lo
	s_cbranch_execz .LBB2_346
; %bb.339:                              ;   in Loop: Header=BB2_143 Depth=2
	v_mov_b32_e32 v103, 0
	s_mov_b32 s28, exec_lo
	v_cmpx_ne_u32_e32 0, v113
	s_cbranch_execz .LBB2_345
; %bb.340:                              ;   in Loop: Header=BB2_143 Depth=2
	v_bfe_u32 v103, v113, 23, 8
	v_and_b32_e32 v112, 0x7fffff, v113
	s_delay_alu instid0(VALU_DEP_2) | instskip(SKIP_1) | instid1(VALU_DEP_3)
	v_sub_nc_u32_e32 v114, 0x78, v103
	v_cmp_gt_u32_e32 vcc_lo, 0x79, v103
	v_or_b32_e32 v115, 0x800000, v112
	s_delay_alu instid0(VALU_DEP_3) | instskip(SKIP_2) | instid1(VALU_DEP_3)
	v_cndmask_b32_e32 v114, 0, v114, vcc_lo
	v_cmp_eq_u32_e32 vcc_lo, 0, v103
	v_add_nc_u32_e32 v103, 0xffffff89, v103
	v_cndmask_b32_e64 v114, v114, 0x77, vcc_lo
	v_cndmask_b32_e32 v112, v115, v112, vcc_lo
	s_delay_alu instid0(VALU_DEP_3) | instskip(NEXT) | instid1(VALU_DEP_3)
	v_cndmask_b32_e64 v103, v103, 0xffffff8a, vcc_lo
	v_lshl_add_u32 v115, 0x100000, v114, -1
	s_delay_alu instid0(VALU_DEP_3) | instskip(SKIP_1) | instid1(VALU_DEP_4)
	v_lshrrev_b32_e32 v116, v114, v112
	v_lshlrev_b32_e64 v118, v114, 0x80000
	v_add_nc_u32_e32 v114, v114, v103
	s_delay_alu instid0(VALU_DEP_4) | instskip(NEXT) | instid1(VALU_DEP_4)
	v_and_b32_e32 v112, v115, v112
	v_bfe_u32 v117, v116, 20, 1
	s_delay_alu instid0(VALU_DEP_2) | instskip(NEXT) | instid1(VALU_DEP_2)
	v_cmp_eq_u32_e64 s12, v112, v118
	v_add_nc_u32_e32 v115, -1, v117
	s_delay_alu instid0(VALU_DEP_1) | instskip(SKIP_2) | instid1(VALU_DEP_2)
	v_cndmask_b32_e64 v112, 0, v115, s12
	v_lshrrev_b32_e32 v115, 23, v116
	s_mov_b32 s12, exec_lo
	v_add_nc_u32_e32 v112, v112, v116
	s_delay_alu instid0(VALU_DEP_2) | instskip(NEXT) | instid1(VALU_DEP_2)
	v_xor_b32_e32 v115, 1, v115
	v_and_b32_e32 v103, 0xfffff, v112
	s_delay_alu instid0(VALU_DEP_1) | instskip(NEXT) | instid1(VALU_DEP_3)
	v_add_nc_u32_e32 v112, v103, v116
                                        ; implicit-def: $vgpr103
	v_cmpx_ne_u32_e64 v114, v115
	s_xor_b32 s12, exec_lo, s12
; %bb.341:                              ;   in Loop: Header=BB2_143 Depth=2
	s_delay_alu instid0(VALU_DEP_2) | instskip(SKIP_2) | instid1(VALU_DEP_2)
	v_cmp_lt_u32_e32 vcc_lo, 0xffffff, v112
	v_sub_nc_u32_e32 v103, v114, v115
	v_cndmask_b32_e64 v114, 0, 1, vcc_lo
	v_add_co_ci_u32_e32 v103, vcc_lo, 0, v103, vcc_lo
	s_delay_alu instid0(VALU_DEP_2)
	v_lshrrev_b32_e32 v112, v114, v112
; %bb.342:                              ;   in Loop: Header=BB2_143 Depth=2
	s_and_not1_saveexec_b32 s12, s12
; %bb.343:                              ;   in Loop: Header=BB2_143 Depth=2
	s_delay_alu instid0(VALU_DEP_1)
	v_bfe_u32 v103, v112, 23, 1
; %bb.344:                              ;   in Loop: Header=BB2_143 Depth=2
	s_or_b32 exec_lo, exec_lo, s12
	v_lshrrev_b32_e32 v112, 20, v112
	s_delay_alu instid0(VALU_DEP_2) | instskip(SKIP_2) | instid1(VALU_DEP_2)
	v_cmp_gt_i32_e32 vcc_lo, 16, v103
	v_lshrrev_b32_e32 v113, 24, v113
	v_min_i32_e32 v114, 15, v103
	v_dual_cndmask_b32 v112, 7, v112 :: v_dual_and_b32 v113, 0x80, v113
	s_delay_alu instid0(VALU_DEP_1) | instskip(SKIP_1) | instid1(VALU_DEP_2)
	v_or_b32_e32 v103, v103, v112
	v_and_b32_e32 v115, 7, v112
	v_cmp_ne_u32_e32 vcc_lo, 0, v103
	v_lshlrev_b32_e32 v114, 3, v114
	s_delay_alu instid0(VALU_DEP_1) | instskip(NEXT) | instid1(VALU_DEP_1)
	v_and_b32_e32 v114, 0xf8, v114
	v_or3_b32 v112, v114, v113, v115
	s_delay_alu instid0(VALU_DEP_1)
	v_cndmask_b32_e32 v103, 0, v112, vcc_lo
.LBB2_345:                              ;   in Loop: Header=BB2_143 Depth=2
	s_or_b32 exec_lo, exec_lo, s28
.LBB2_346:                              ;   in Loop: Header=BB2_143 Depth=2
	s_delay_alu instid0(SALU_CYCLE_1)
	s_or_b32 exec_lo, exec_lo, s27
	v_lshrrev_b32_e32 v113, 24, v15
	v_lshrrev_b32_e32 v112, 24, v11
	s_and_b32 vcc_lo, exec_lo, s26
	s_cbranch_vccz .LBB2_356
; %bb.347:                              ;   in Loop: Header=BB2_143 Depth=2
	s_mov_b32 s12, 0
	s_mov_b32 s28, exec_lo
                                        ; implicit-def: $sgpr27
	v_cmpx_lt_i16_e32 0x7f, v113
	s_xor_b32 s28, exec_lo, s28
	s_cbranch_execnz .LBB2_717
; %bb.348:                              ;   in Loop: Header=BB2_143 Depth=2
	s_or_saveexec_b32 s28, s28
	v_mov_b32_e32 v114, s27
	s_xor_b32 exec_lo, exec_lo, s28
	s_cbranch_execnz .LBB2_720
.LBB2_349:                              ;   in Loop: Header=BB2_143 Depth=2
	s_or_b32 exec_lo, exec_lo, s28
	s_and_saveexec_b32 s27, s12
	s_cbranch_execz .LBB2_351
.LBB2_350:                              ;   in Loop: Header=BB2_143 Depth=2
	v_bfe_u32 v114, v15, 24, 3
	v_bfe_u32 v117, v15, 27, 4
	s_delay_alu instid0(VALU_DEP_2) | instskip(NEXT) | instid1(VALU_DEP_2)
	v_clz_i32_u32_e32 v115, v114
	v_cmp_eq_u32_e32 vcc_lo, 0, v117
	s_delay_alu instid0(VALU_DEP_2) | instskip(NEXT) | instid1(VALU_DEP_1)
	v_min_u32_e32 v115, 32, v115
	v_subrev_nc_u32_e32 v116, 28, v115
	v_sub_nc_u32_e32 v115, 29, v115
	s_delay_alu instid0(VALU_DEP_1) | instskip(NEXT) | instid1(VALU_DEP_1)
	v_dual_cndmask_b32 v115, v117, v115 :: v_dual_lshlrev_b32 v116, v116, v113
	v_and_b32_e32 v116, 7, v116
	s_delay_alu instid0(VALU_DEP_2) | instskip(NEXT) | instid1(VALU_DEP_2)
	v_lshl_add_u32 v115, v115, 23, 0x3b800000
	v_cndmask_b32_e32 v114, v114, v116, vcc_lo
	v_and_b32_e32 v116, 0x80000000, v15
	s_delay_alu instid0(VALU_DEP_2) | instskip(NEXT) | instid1(VALU_DEP_1)
	v_lshlrev_b32_e32 v114, 20, v114
	v_or3_b32 v114, v116, v115, v114
.LBB2_351:                              ;   in Loop: Header=BB2_143 Depth=2
	s_or_b32 exec_lo, exec_lo, s27
	s_mov_b32 s12, 0
	s_mov_b32 s28, exec_lo
                                        ; implicit-def: $sgpr27
	v_cmpx_lt_i16_e32 0x7f, v112
	s_xor_b32 s28, exec_lo, s28
	s_cbranch_execnz .LBB2_721
; %bb.352:                              ;   in Loop: Header=BB2_143 Depth=2
	s_or_saveexec_b32 s28, s28
	v_mov_b32_e32 v115, s27
	s_xor_b32 exec_lo, exec_lo, s28
	s_cbranch_execnz .LBB2_724
.LBB2_353:                              ;   in Loop: Header=BB2_143 Depth=2
	s_or_b32 exec_lo, exec_lo, s28
	s_and_saveexec_b32 s27, s12
	s_cbranch_execz .LBB2_355
.LBB2_354:                              ;   in Loop: Header=BB2_143 Depth=2
	v_bfe_u32 v115, v11, 24, 3
	v_bfe_u32 v118, v11, 27, 4
	s_delay_alu instid0(VALU_DEP_2) | instskip(NEXT) | instid1(VALU_DEP_2)
	v_clz_i32_u32_e32 v116, v115
	v_cmp_eq_u32_e32 vcc_lo, 0, v118
	s_delay_alu instid0(VALU_DEP_2) | instskip(NEXT) | instid1(VALU_DEP_1)
	v_min_u32_e32 v116, 32, v116
	v_subrev_nc_u32_e32 v117, 28, v116
	v_sub_nc_u32_e32 v116, 29, v116
	s_delay_alu instid0(VALU_DEP_2) | instskip(NEXT) | instid1(VALU_DEP_1)
	v_lshlrev_b32_e32 v117, v117, v112
	v_dual_cndmask_b32 v116, v118, v116 :: v_dual_and_b32 v117, 7, v117
	s_delay_alu instid0(VALU_DEP_1) | instskip(NEXT) | instid1(VALU_DEP_2)
	v_lshl_add_u32 v116, v116, 23, 0x3b800000
	v_cndmask_b32_e32 v115, v115, v117, vcc_lo
	v_and_b32_e32 v117, 0x80000000, v11
	s_delay_alu instid0(VALU_DEP_2) | instskip(NEXT) | instid1(VALU_DEP_1)
	v_lshlrev_b32_e32 v115, 20, v115
	v_or3_b32 v115, v117, v116, v115
.LBB2_355:                              ;   in Loop: Header=BB2_143 Depth=2
	s_or_b32 exec_lo, exec_lo, s27
	s_delay_alu instid0(VALU_DEP_1) | instskip(SKIP_1) | instid1(VALU_DEP_1)
	v_dual_max_f32 v115, v115, v115 :: v_dual_max_f32 v114, v114, v114
	s_mov_b32 s12, 0
	v_max_f32_e32 v114, v114, v115
	s_branch .LBB2_357
.LBB2_356:                              ;   in Loop: Header=BB2_143 Depth=2
	s_mov_b32 s12, -1
                                        ; implicit-def: $vgpr114
.LBB2_357:                              ;   in Loop: Header=BB2_143 Depth=2
	s_delay_alu instid0(SALU_CYCLE_1)
	s_and_b32 vcc_lo, exec_lo, s12
	s_cbranch_vccz .LBB2_367
; %bb.358:                              ;   in Loop: Header=BB2_143 Depth=2
	s_mov_b32 s12, 0
	s_mov_b32 s28, exec_lo
                                        ; implicit-def: $sgpr27
	v_cmpx_lt_i16_e32 0x7f, v113
	s_xor_b32 s28, exec_lo, s28
	s_cbranch_execnz .LBB2_725
; %bb.359:                              ;   in Loop: Header=BB2_143 Depth=2
	s_or_saveexec_b32 s28, s28
	v_mov_b32_e32 v114, s27
	s_xor_b32 exec_lo, exec_lo, s28
	s_cbranch_execnz .LBB2_728
.LBB2_360:                              ;   in Loop: Header=BB2_143 Depth=2
	s_or_b32 exec_lo, exec_lo, s28
	s_and_saveexec_b32 s27, s12
	s_cbranch_execz .LBB2_362
.LBB2_361:                              ;   in Loop: Header=BB2_143 Depth=2
	v_bfe_u32 v114, v15, 24, 3
	s_delay_alu instid0(VALU_DEP_1) | instskip(NEXT) | instid1(VALU_DEP_1)
	v_clz_i32_u32_e32 v115, v114
	v_min_u32_e32 v115, 32, v115
	s_delay_alu instid0(VALU_DEP_1) | instskip(SKIP_1) | instid1(VALU_DEP_2)
	v_subrev_nc_u32_e32 v116, 28, v115
	v_sub_nc_u32_e32 v115, 29, v115
	v_lshlrev_b32_e32 v113, v116, v113
	v_bfe_u32 v116, v15, 27, 4
	v_and_b32_e32 v15, 0x80000000, v15
	s_delay_alu instid0(VALU_DEP_3) | instskip(NEXT) | instid1(VALU_DEP_3)
	v_and_b32_e32 v113, 7, v113
	v_cmp_eq_u32_e32 vcc_lo, 0, v116
	v_cndmask_b32_e32 v115, v116, v115, vcc_lo
	s_delay_alu instid0(VALU_DEP_3) | instskip(NEXT) | instid1(VALU_DEP_2)
	v_cndmask_b32_e32 v113, v114, v113, vcc_lo
	v_lshl_add_u32 v114, v115, 23, 0x3b800000
	s_delay_alu instid0(VALU_DEP_2) | instskip(NEXT) | instid1(VALU_DEP_1)
	v_lshlrev_b32_e32 v113, 20, v113
	v_or3_b32 v114, v15, v114, v113
.LBB2_362:                              ;   in Loop: Header=BB2_143 Depth=2
	s_or_b32 exec_lo, exec_lo, s27
	s_mov_b32 s12, 0
	s_mov_b32 s28, exec_lo
                                        ; implicit-def: $sgpr27
	v_cmpx_lt_i16_e32 0x7f, v112
	s_xor_b32 s28, exec_lo, s28
	s_cbranch_execnz .LBB2_729
; %bb.363:                              ;   in Loop: Header=BB2_143 Depth=2
	s_or_saveexec_b32 s28, s28
	v_mov_b32_e32 v15, s27
	s_xor_b32 exec_lo, exec_lo, s28
	s_cbranch_execnz .LBB2_732
.LBB2_364:                              ;   in Loop: Header=BB2_143 Depth=2
	s_or_b32 exec_lo, exec_lo, s28
	s_and_saveexec_b32 s27, s12
	s_cbranch_execz .LBB2_366
.LBB2_365:                              ;   in Loop: Header=BB2_143 Depth=2
	v_bfe_u32 v15, v11, 24, 3
	s_delay_alu instid0(VALU_DEP_1) | instskip(NEXT) | instid1(VALU_DEP_1)
	v_clz_i32_u32_e32 v113, v15
	v_min_u32_e32 v113, 32, v113
	s_delay_alu instid0(VALU_DEP_1) | instskip(SKIP_1) | instid1(VALU_DEP_2)
	v_subrev_nc_u32_e32 v115, 28, v113
	v_sub_nc_u32_e32 v113, 29, v113
	v_lshlrev_b32_e32 v112, v115, v112
	v_bfe_u32 v115, v11, 27, 4
	v_and_b32_e32 v11, 0x80000000, v11
	s_delay_alu instid0(VALU_DEP_2) | instskip(NEXT) | instid1(VALU_DEP_4)
	v_cmp_eq_u32_e32 vcc_lo, 0, v115
	v_dual_cndmask_b32 v113, v115, v113 :: v_dual_and_b32 v112, 7, v112
	s_delay_alu instid0(VALU_DEP_1) | instskip(NEXT) | instid1(VALU_DEP_2)
	v_cndmask_b32_e32 v15, v15, v112, vcc_lo
	v_lshl_add_u32 v112, v113, 23, 0x3b800000
	s_delay_alu instid0(VALU_DEP_2) | instskip(NEXT) | instid1(VALU_DEP_1)
	v_lshlrev_b32_e32 v15, 20, v15
	v_or3_b32 v15, v11, v112, v15
.LBB2_366:                              ;   in Loop: Header=BB2_143 Depth=2
	s_or_b32 exec_lo, exec_lo, s27
	s_delay_alu instid0(VALU_DEP_1) | instskip(SKIP_1) | instid1(VALU_DEP_1)
	v_max_f32_e32 v11, v15, v15
	v_max_f32_e32 v15, v114, v114
	v_min_f32_e32 v114, v15, v11
.LBB2_367:                              ;   in Loop: Header=BB2_143 Depth=2
	s_delay_alu instid0(VALU_DEP_1) | instskip(NEXT) | instid1(VALU_DEP_1)
	v_and_b32_e32 v11, 0x7f800000, v114
	v_cmp_ne_u32_e32 vcc_lo, 0x7f800000, v11
	v_mov_b32_e32 v11, 0x8000
	s_and_saveexec_b32 s27, vcc_lo
	s_cbranch_execz .LBB2_375
; %bb.368:                              ;   in Loop: Header=BB2_143 Depth=2
	v_mov_b32_e32 v11, 0
	s_mov_b32 s28, exec_lo
	v_cmpx_ne_u32_e32 0, v114
	s_cbranch_execz .LBB2_374
; %bb.369:                              ;   in Loop: Header=BB2_143 Depth=2
	v_bfe_u32 v11, v114, 23, 8
	s_delay_alu instid0(VALU_DEP_1) | instskip(SKIP_1) | instid1(VALU_DEP_2)
	v_sub_nc_u32_e32 v112, 0x78, v11
	v_cmp_gt_u32_e32 vcc_lo, 0x79, v11
	v_dual_cndmask_b32 v112, 0, v112 :: v_dual_and_b32 v15, 0x7fffff, v114
	s_delay_alu instid0(VALU_DEP_1) | instskip(SKIP_2) | instid1(VALU_DEP_4)
	v_or_b32_e32 v113, 0x800000, v15
	v_cmp_eq_u32_e32 vcc_lo, 0, v11
	v_add_nc_u32_e32 v11, 0xffffff89, v11
	v_cndmask_b32_e64 v112, v112, 0x77, vcc_lo
	s_delay_alu instid0(VALU_DEP_4) | instskip(NEXT) | instid1(VALU_DEP_3)
	v_cndmask_b32_e32 v15, v113, v15, vcc_lo
	v_cndmask_b32_e64 v11, v11, 0xffffff8a, vcc_lo
	s_delay_alu instid0(VALU_DEP_3) | instskip(NEXT) | instid1(VALU_DEP_3)
	v_lshl_add_u32 v113, 0x100000, v112, -1
	v_lshrrev_b32_e32 v115, v112, v15
	v_lshlrev_b32_e64 v117, v112, 0x80000
	s_delay_alu instid0(VALU_DEP_4) | instskip(NEXT) | instid1(VALU_DEP_4)
	v_add_nc_u32_e32 v112, v112, v11
	v_and_b32_e32 v15, v113, v15
	s_delay_alu instid0(VALU_DEP_4) | instskip(NEXT) | instid1(VALU_DEP_2)
	v_bfe_u32 v116, v115, 20, 1
	v_cmp_eq_u32_e64 s12, v15, v117
	s_delay_alu instid0(VALU_DEP_2) | instskip(NEXT) | instid1(VALU_DEP_1)
	v_add_nc_u32_e32 v113, -1, v116
	v_cndmask_b32_e64 v15, 0, v113, s12
	v_lshrrev_b32_e32 v113, 23, v115
	s_mov_b32 s12, exec_lo
	s_delay_alu instid0(VALU_DEP_2) | instskip(NEXT) | instid1(VALU_DEP_2)
	v_add_nc_u32_e32 v15, v15, v115
	v_xor_b32_e32 v113, 1, v113
	s_delay_alu instid0(VALU_DEP_2) | instskip(NEXT) | instid1(VALU_DEP_1)
	v_and_b32_e32 v11, 0xfffff, v15
	v_add_nc_u32_e32 v15, v11, v115
                                        ; implicit-def: $vgpr11
	s_delay_alu instid0(VALU_DEP_3)
	v_cmpx_ne_u32_e64 v112, v113
	s_xor_b32 s12, exec_lo, s12
; %bb.370:                              ;   in Loop: Header=BB2_143 Depth=2
	s_delay_alu instid0(VALU_DEP_2) | instskip(SKIP_2) | instid1(VALU_DEP_2)
	v_cmp_lt_u32_e32 vcc_lo, 0xffffff, v15
	v_sub_nc_u32_e32 v11, v112, v113
	v_cndmask_b32_e64 v112, 0, 1, vcc_lo
	v_add_co_ci_u32_e32 v11, vcc_lo, 0, v11, vcc_lo
	s_delay_alu instid0(VALU_DEP_2)
	v_lshrrev_b32_e32 v15, v112, v15
; %bb.371:                              ;   in Loop: Header=BB2_143 Depth=2
	s_and_not1_saveexec_b32 s12, s12
; %bb.372:                              ;   in Loop: Header=BB2_143 Depth=2
	s_delay_alu instid0(VALU_DEP_1)
	v_bfe_u32 v11, v15, 23, 1
; %bb.373:                              ;   in Loop: Header=BB2_143 Depth=2
	s_or_b32 exec_lo, exec_lo, s12
	v_lshrrev_b32_e32 v15, 20, v15
	s_delay_alu instid0(VALU_DEP_2) | instskip(SKIP_2) | instid1(VALU_DEP_2)
	v_cmp_gt_i32_e32 vcc_lo, 16, v11
	v_min_i32_e32 v112, 15, v11
	v_lshrrev_b32_e32 v113, 24, v114
	v_dual_cndmask_b32 v15, 7, v15 :: v_dual_lshlrev_b32 v112, 3, v112
	s_delay_alu instid0(VALU_DEP_2) | instskip(NEXT) | instid1(VALU_DEP_2)
	v_and_b32_e32 v113, 0x80, v113
	v_or_b32_e32 v11, v11, v15
	v_and_b32_e32 v114, 7, v15
	s_delay_alu instid0(VALU_DEP_2) | instskip(SKIP_1) | instid1(VALU_DEP_1)
	v_cmp_ne_u32_e32 vcc_lo, 0, v11
	v_and_b32_e32 v112, 0xf8, v112
	v_or3_b32 v112, v113, v112, v114
	s_delay_alu instid0(VALU_DEP_1) | instskip(NEXT) | instid1(VALU_DEP_1)
	v_lshlrev_b32_e32 v15, 8, v112
	v_cndmask_b32_e32 v11, 0, v15, vcc_lo
.LBB2_374:                              ;   in Loop: Header=BB2_143 Depth=2
	s_or_b32 exec_lo, exec_lo, s28
.LBB2_375:                              ;   in Loop: Header=BB2_143 Depth=2
	s_delay_alu instid0(SALU_CYCLE_1) | instskip(NEXT) | instid1(SALU_CYCLE_1)
	s_or_b32 exec_lo, exec_lo, s27
	s_and_b32 vcc_lo, exec_lo, s26
	s_cbranch_vccz .LBB2_385
; %bb.376:                              ;   in Loop: Header=BB2_143 Depth=2
	v_and_b32_e32 v112, 0xff, v16
	s_mov_b32 s12, 0
	s_mov_b32 s28, exec_lo
                                        ; implicit-def: $sgpr27
	s_delay_alu instid0(VALU_DEP_1)
	v_cmpx_lt_i16_e32 0x7f, v112
	s_xor_b32 s28, exec_lo, s28
	s_cbranch_execnz .LBB2_733
; %bb.377:                              ;   in Loop: Header=BB2_143 Depth=2
	s_or_saveexec_b32 s28, s28
	v_mov_b32_e32 v15, s27
	s_xor_b32 exec_lo, exec_lo, s28
	s_cbranch_execnz .LBB2_736
.LBB2_378:                              ;   in Loop: Header=BB2_143 Depth=2
	s_or_b32 exec_lo, exec_lo, s28
	s_and_saveexec_b32 s27, s12
	s_cbranch_execz .LBB2_380
.LBB2_379:                              ;   in Loop: Header=BB2_143 Depth=2
	v_and_b32_e32 v15, 7, v16
	v_bfe_u32 v114, v16, 3, 4
	v_lshlrev_b32_e32 v115, 24, v16
	s_delay_alu instid0(VALU_DEP_3) | instskip(NEXT) | instid1(VALU_DEP_3)
	v_clz_i32_u32_e32 v112, v15
	v_cmp_eq_u32_e32 vcc_lo, 0, v114
	s_delay_alu instid0(VALU_DEP_2) | instskip(NEXT) | instid1(VALU_DEP_1)
	v_min_u32_e32 v112, 32, v112
	v_subrev_nc_u32_e32 v113, 28, v112
	v_sub_nc_u32_e32 v112, 29, v112
	s_delay_alu instid0(VALU_DEP_2) | instskip(NEXT) | instid1(VALU_DEP_1)
	v_lshlrev_b32_e32 v113, v113, v16
	v_dual_cndmask_b32 v112, v114, v112 :: v_dual_and_b32 v113, 7, v113
	s_delay_alu instid0(VALU_DEP_1) | instskip(NEXT) | instid1(VALU_DEP_2)
	v_lshl_add_u32 v112, v112, 23, 0x3b800000
	v_cndmask_b32_e32 v15, v15, v113, vcc_lo
	v_and_b32_e32 v113, 0x80000000, v115
	s_delay_alu instid0(VALU_DEP_2) | instskip(NEXT) | instid1(VALU_DEP_1)
	v_lshlrev_b32_e32 v15, 20, v15
	v_or3_b32 v15, v113, v112, v15
.LBB2_380:                              ;   in Loop: Header=BB2_143 Depth=2
	s_or_b32 exec_lo, exec_lo, s27
	v_and_b32_e32 v113, 0xff, v12
	s_mov_b32 s12, 0
	s_mov_b32 s28, exec_lo
                                        ; implicit-def: $sgpr27
	s_delay_alu instid0(VALU_DEP_1)
	v_cmpx_lt_i16_e32 0x7f, v113
	s_xor_b32 s28, exec_lo, s28
	s_cbranch_execnz .LBB2_737
; %bb.381:                              ;   in Loop: Header=BB2_143 Depth=2
	s_or_saveexec_b32 s28, s28
	v_mov_b32_e32 v112, s27
	s_xor_b32 exec_lo, exec_lo, s28
	s_cbranch_execnz .LBB2_740
.LBB2_382:                              ;   in Loop: Header=BB2_143 Depth=2
	s_or_b32 exec_lo, exec_lo, s28
	s_and_saveexec_b32 s27, s12
	s_cbranch_execz .LBB2_384
.LBB2_383:                              ;   in Loop: Header=BB2_143 Depth=2
	v_bfe_u32 v115, v12, 3, 4
	v_lshlrev_b32_e32 v116, 24, v12
	s_delay_alu instid0(VALU_DEP_2) | instskip(SKIP_1) | instid1(VALU_DEP_1)
	v_cmp_eq_u32_e32 vcc_lo, 0, v115
	v_and_b32_e32 v112, 7, v12
	v_clz_i32_u32_e32 v113, v112
	s_delay_alu instid0(VALU_DEP_1) | instskip(NEXT) | instid1(VALU_DEP_1)
	v_min_u32_e32 v113, 32, v113
	v_subrev_nc_u32_e32 v114, 28, v113
	v_sub_nc_u32_e32 v113, 29, v113
	s_delay_alu instid0(VALU_DEP_1) | instskip(NEXT) | instid1(VALU_DEP_1)
	v_dual_cndmask_b32 v113, v115, v113 :: v_dual_lshlrev_b32 v114, v114, v12
	v_and_b32_e32 v114, 7, v114
	s_delay_alu instid0(VALU_DEP_2) | instskip(NEXT) | instid1(VALU_DEP_2)
	v_lshl_add_u32 v113, v113, 23, 0x3b800000
	v_cndmask_b32_e32 v112, v112, v114, vcc_lo
	v_and_b32_e32 v114, 0x80000000, v116
	s_delay_alu instid0(VALU_DEP_2) | instskip(NEXT) | instid1(VALU_DEP_1)
	v_lshlrev_b32_e32 v112, 20, v112
	v_or3_b32 v112, v114, v113, v112
.LBB2_384:                              ;   in Loop: Header=BB2_143 Depth=2
	s_or_b32 exec_lo, exec_lo, s27
	s_delay_alu instid0(VALU_DEP_1) | instskip(SKIP_1) | instid1(VALU_DEP_1)
	v_dual_max_f32 v112, v112, v112 :: v_dual_max_f32 v15, v15, v15
	s_mov_b32 s12, 0
	v_max_f32_e32 v112, v15, v112
	s_branch .LBB2_386
.LBB2_385:                              ;   in Loop: Header=BB2_143 Depth=2
	s_mov_b32 s12, -1
                                        ; implicit-def: $vgpr112
.LBB2_386:                              ;   in Loop: Header=BB2_143 Depth=2
	s_delay_alu instid0(SALU_CYCLE_1)
	s_and_b32 vcc_lo, exec_lo, s12
	s_cbranch_vccz .LBB2_396
; %bb.387:                              ;   in Loop: Header=BB2_143 Depth=2
	v_and_b32_e32 v112, 0xff, v16
	s_mov_b32 s12, 0
	s_mov_b32 s28, exec_lo
                                        ; implicit-def: $sgpr27
	s_delay_alu instid0(VALU_DEP_1)
	v_cmpx_lt_i16_e32 0x7f, v112
	s_xor_b32 s28, exec_lo, s28
	s_cbranch_execnz .LBB2_741
; %bb.388:                              ;   in Loop: Header=BB2_143 Depth=2
	s_or_saveexec_b32 s28, s28
	v_mov_b32_e32 v15, s27
	s_xor_b32 exec_lo, exec_lo, s28
	s_cbranch_execnz .LBB2_744
.LBB2_389:                              ;   in Loop: Header=BB2_143 Depth=2
	s_or_b32 exec_lo, exec_lo, s28
	s_and_saveexec_b32 s27, s12
	s_cbranch_execz .LBB2_391
.LBB2_390:                              ;   in Loop: Header=BB2_143 Depth=2
	v_and_b32_e32 v15, 7, v16
	v_bfe_u32 v114, v16, 3, 4
	v_lshlrev_b32_e32 v115, 24, v16
	s_delay_alu instid0(VALU_DEP_3) | instskip(NEXT) | instid1(VALU_DEP_3)
	v_clz_i32_u32_e32 v112, v15
	v_cmp_eq_u32_e32 vcc_lo, 0, v114
	s_delay_alu instid0(VALU_DEP_2) | instskip(NEXT) | instid1(VALU_DEP_1)
	v_min_u32_e32 v112, 32, v112
	v_subrev_nc_u32_e32 v113, 28, v112
	v_sub_nc_u32_e32 v112, 29, v112
	s_delay_alu instid0(VALU_DEP_2) | instskip(NEXT) | instid1(VALU_DEP_1)
	v_lshlrev_b32_e32 v113, v113, v16
	v_dual_cndmask_b32 v112, v114, v112 :: v_dual_and_b32 v113, 7, v113
	s_delay_alu instid0(VALU_DEP_1) | instskip(NEXT) | instid1(VALU_DEP_2)
	v_lshl_add_u32 v112, v112, 23, 0x3b800000
	v_cndmask_b32_e32 v15, v15, v113, vcc_lo
	v_and_b32_e32 v113, 0x80000000, v115
	s_delay_alu instid0(VALU_DEP_2) | instskip(NEXT) | instid1(VALU_DEP_1)
	v_lshlrev_b32_e32 v15, 20, v15
	v_or3_b32 v15, v113, v112, v15
.LBB2_391:                              ;   in Loop: Header=BB2_143 Depth=2
	s_or_b32 exec_lo, exec_lo, s27
	v_and_b32_e32 v113, 0xff, v12
	s_mov_b32 s12, 0
	s_mov_b32 s28, exec_lo
                                        ; implicit-def: $sgpr27
	s_delay_alu instid0(VALU_DEP_1)
	v_cmpx_lt_i16_e32 0x7f, v113
	s_xor_b32 s28, exec_lo, s28
	s_cbranch_execnz .LBB2_745
; %bb.392:                              ;   in Loop: Header=BB2_143 Depth=2
	s_or_saveexec_b32 s28, s28
	v_mov_b32_e32 v112, s27
	s_xor_b32 exec_lo, exec_lo, s28
	s_cbranch_execnz .LBB2_748
.LBB2_393:                              ;   in Loop: Header=BB2_143 Depth=2
	s_or_b32 exec_lo, exec_lo, s28
	s_and_saveexec_b32 s27, s12
	s_cbranch_execz .LBB2_395
.LBB2_394:                              ;   in Loop: Header=BB2_143 Depth=2
	v_bfe_u32 v115, v12, 3, 4
	v_lshlrev_b32_e32 v116, 24, v12
	s_delay_alu instid0(VALU_DEP_2) | instskip(SKIP_1) | instid1(VALU_DEP_1)
	v_cmp_eq_u32_e32 vcc_lo, 0, v115
	v_and_b32_e32 v112, 7, v12
	v_clz_i32_u32_e32 v113, v112
	s_delay_alu instid0(VALU_DEP_1) | instskip(NEXT) | instid1(VALU_DEP_1)
	v_min_u32_e32 v113, 32, v113
	v_subrev_nc_u32_e32 v114, 28, v113
	v_sub_nc_u32_e32 v113, 29, v113
	s_delay_alu instid0(VALU_DEP_1) | instskip(NEXT) | instid1(VALU_DEP_1)
	v_dual_cndmask_b32 v113, v115, v113 :: v_dual_lshlrev_b32 v114, v114, v12
	v_and_b32_e32 v114, 7, v114
	s_delay_alu instid0(VALU_DEP_2) | instskip(NEXT) | instid1(VALU_DEP_2)
	v_lshl_add_u32 v113, v113, 23, 0x3b800000
	v_cndmask_b32_e32 v112, v112, v114, vcc_lo
	v_and_b32_e32 v114, 0x80000000, v116
	s_delay_alu instid0(VALU_DEP_2) | instskip(NEXT) | instid1(VALU_DEP_1)
	v_lshlrev_b32_e32 v112, 20, v112
	v_or3_b32 v112, v114, v113, v112
.LBB2_395:                              ;   in Loop: Header=BB2_143 Depth=2
	s_or_b32 exec_lo, exec_lo, s27
	s_delay_alu instid0(VALU_DEP_1) | instskip(NEXT) | instid1(VALU_DEP_1)
	v_dual_max_f32 v112, v112, v112 :: v_dual_max_f32 v15, v15, v15
	v_min_f32_e32 v112, v15, v112
.LBB2_396:                              ;   in Loop: Header=BB2_143 Depth=2
	s_delay_alu instid0(VALU_DEP_1) | instskip(NEXT) | instid1(VALU_DEP_1)
	v_and_b32_e32 v15, 0x7f800000, v112
	v_cmp_ne_u32_e32 vcc_lo, 0x7f800000, v15
	v_mov_b32_e32 v15, 0x80
	s_and_saveexec_b32 s27, vcc_lo
	s_cbranch_execz .LBB2_404
; %bb.397:                              ;   in Loop: Header=BB2_143 Depth=2
	v_mov_b32_e32 v15, 0
	s_mov_b32 s28, exec_lo
	v_cmpx_ne_u32_e32 0, v112
	s_cbranch_execz .LBB2_403
; %bb.398:                              ;   in Loop: Header=BB2_143 Depth=2
	v_bfe_u32 v15, v112, 23, 8
	s_delay_alu instid0(VALU_DEP_1) | instskip(SKIP_1) | instid1(VALU_DEP_2)
	v_sub_nc_u32_e32 v114, 0x78, v15
	v_cmp_gt_u32_e32 vcc_lo, 0x79, v15
	v_dual_cndmask_b32 v114, 0, v114 :: v_dual_and_b32 v113, 0x7fffff, v112
	s_delay_alu instid0(VALU_DEP_1) | instskip(SKIP_2) | instid1(VALU_DEP_4)
	v_or_b32_e32 v115, 0x800000, v113
	v_cmp_eq_u32_e32 vcc_lo, 0, v15
	v_add_nc_u32_e32 v15, 0xffffff89, v15
	v_cndmask_b32_e64 v114, v114, 0x77, vcc_lo
	s_delay_alu instid0(VALU_DEP_2) | instskip(SKIP_1) | instid1(VALU_DEP_3)
	v_cndmask_b32_e64 v15, v15, 0xffffff8a, vcc_lo
	v_cndmask_b32_e32 v113, v115, v113, vcc_lo
	v_lshl_add_u32 v115, 0x100000, v114, -1
	v_lshlrev_b32_e64 v118, v114, 0x80000
	s_delay_alu instid0(VALU_DEP_3) | instskip(SKIP_1) | instid1(VALU_DEP_4)
	v_lshrrev_b32_e32 v116, v114, v113
	v_add_nc_u32_e32 v114, v114, v15
	v_and_b32_e32 v113, v115, v113
	s_delay_alu instid0(VALU_DEP_3) | instskip(NEXT) | instid1(VALU_DEP_2)
	v_bfe_u32 v117, v116, 20, 1
	v_cmp_eq_u32_e64 s12, v113, v118
	s_delay_alu instid0(VALU_DEP_2) | instskip(NEXT) | instid1(VALU_DEP_1)
	v_add_nc_u32_e32 v115, -1, v117
	v_cndmask_b32_e64 v113, 0, v115, s12
	v_lshrrev_b32_e32 v115, 23, v116
	s_mov_b32 s12, exec_lo
	s_delay_alu instid0(VALU_DEP_2) | instskip(NEXT) | instid1(VALU_DEP_2)
	v_add_nc_u32_e32 v113, v113, v116
	v_xor_b32_e32 v115, 1, v115
	s_delay_alu instid0(VALU_DEP_2) | instskip(NEXT) | instid1(VALU_DEP_1)
	v_and_b32_e32 v15, 0xfffff, v113
	v_add_nc_u32_e32 v113, v15, v116
                                        ; implicit-def: $vgpr15
	s_delay_alu instid0(VALU_DEP_3)
	v_cmpx_ne_u32_e64 v114, v115
	s_xor_b32 s12, exec_lo, s12
; %bb.399:                              ;   in Loop: Header=BB2_143 Depth=2
	s_delay_alu instid0(VALU_DEP_2) | instskip(SKIP_2) | instid1(VALU_DEP_2)
	v_cmp_lt_u32_e32 vcc_lo, 0xffffff, v113
	v_sub_nc_u32_e32 v15, v114, v115
	v_cndmask_b32_e64 v114, 0, 1, vcc_lo
	v_add_co_ci_u32_e32 v15, vcc_lo, 0, v15, vcc_lo
	s_delay_alu instid0(VALU_DEP_2)
	v_lshrrev_b32_e32 v113, v114, v113
; %bb.400:                              ;   in Loop: Header=BB2_143 Depth=2
	s_and_not1_saveexec_b32 s12, s12
; %bb.401:                              ;   in Loop: Header=BB2_143 Depth=2
	s_delay_alu instid0(VALU_DEP_1)
	v_bfe_u32 v15, v113, 23, 1
; %bb.402:                              ;   in Loop: Header=BB2_143 Depth=2
	s_or_b32 exec_lo, exec_lo, s12
	v_lshrrev_b32_e32 v113, 20, v113
	s_delay_alu instid0(VALU_DEP_2) | instskip(SKIP_2) | instid1(VALU_DEP_2)
	v_cmp_gt_i32_e32 vcc_lo, 16, v15
	v_lshrrev_b32_e32 v112, 24, v112
	v_min_i32_e32 v114, 15, v15
	v_dual_cndmask_b32 v113, 7, v113 :: v_dual_and_b32 v112, 0x80, v112
	s_delay_alu instid0(VALU_DEP_1) | instskip(SKIP_1) | instid1(VALU_DEP_2)
	v_or_b32_e32 v15, v15, v113
	v_and_b32_e32 v115, 7, v113
	v_cmp_ne_u32_e32 vcc_lo, 0, v15
	v_lshlrev_b32_e32 v114, 3, v114
	s_delay_alu instid0(VALU_DEP_1) | instskip(NEXT) | instid1(VALU_DEP_1)
	v_or3_b32 v112, v114, v112, v115
	v_cndmask_b32_e32 v15, 0, v112, vcc_lo
.LBB2_403:                              ;   in Loop: Header=BB2_143 Depth=2
	s_or_b32 exec_lo, exec_lo, s28
.LBB2_404:                              ;   in Loop: Header=BB2_143 Depth=2
	s_delay_alu instid0(SALU_CYCLE_1)
	s_or_b32 exec_lo, exec_lo, s27
	v_lshrrev_b16 v113, 8, v16
	v_lshrrev_b16 v112, 8, v12
	s_and_b32 vcc_lo, exec_lo, s26
	s_cbranch_vccz .LBB2_414
; %bb.405:                              ;   in Loop: Header=BB2_143 Depth=2
	s_mov_b32 s12, 0
	s_mov_b32 s28, exec_lo
                                        ; implicit-def: $sgpr27
	v_cmpx_lt_i16_e32 0x7f, v113
	s_xor_b32 s28, exec_lo, s28
	s_cbranch_execnz .LBB2_749
; %bb.406:                              ;   in Loop: Header=BB2_143 Depth=2
	s_or_saveexec_b32 s28, s28
	v_mov_b32_e32 v114, s27
	s_xor_b32 exec_lo, exec_lo, s28
	s_cbranch_execnz .LBB2_752
.LBB2_407:                              ;   in Loop: Header=BB2_143 Depth=2
	s_or_b32 exec_lo, exec_lo, s28
	s_and_saveexec_b32 s27, s12
	s_cbranch_execz .LBB2_409
.LBB2_408:                              ;   in Loop: Header=BB2_143 Depth=2
	v_and_b32_e32 v114, 0xffff, v113
	s_delay_alu instid0(VALU_DEP_1) | instskip(NEXT) | instid1(VALU_DEP_1)
	v_and_b32_e32 v115, 7, v114
	v_clz_i32_u32_e32 v116, v115
	s_delay_alu instid0(VALU_DEP_1) | instskip(NEXT) | instid1(VALU_DEP_1)
	v_min_u32_e32 v116, 32, v116
	v_subrev_nc_u32_e32 v117, 28, v116
	v_sub_nc_u32_e32 v116, 29, v116
	s_delay_alu instid0(VALU_DEP_2) | instskip(SKIP_1) | instid1(VALU_DEP_2)
	v_lshlrev_b32_e32 v117, v117, v114
	v_bfe_u32 v114, v114, 3, 4
	v_and_b32_e32 v117, 7, v117
	s_delay_alu instid0(VALU_DEP_2) | instskip(SKIP_1) | instid1(VALU_DEP_3)
	v_cmp_eq_u32_e32 vcc_lo, 0, v114
	v_cndmask_b32_e32 v114, v114, v116, vcc_lo
	v_dual_cndmask_b32 v115, v115, v117 :: v_dual_lshlrev_b32 v118, 16, v16
	s_delay_alu instid0(VALU_DEP_2) | instskip(NEXT) | instid1(VALU_DEP_2)
	v_lshl_add_u32 v114, v114, 23, 0x3b800000
	v_and_b32_e32 v116, 0x80000000, v118
	s_delay_alu instid0(VALU_DEP_3) | instskip(NEXT) | instid1(VALU_DEP_1)
	v_lshlrev_b32_e32 v115, 20, v115
	v_or3_b32 v114, v116, v114, v115
.LBB2_409:                              ;   in Loop: Header=BB2_143 Depth=2
	s_or_b32 exec_lo, exec_lo, s27
	s_mov_b32 s12, 0
	s_mov_b32 s28, exec_lo
                                        ; implicit-def: $sgpr27
	v_cmpx_lt_i16_e32 0x7f, v112
	s_xor_b32 s28, exec_lo, s28
	s_cbranch_execnz .LBB2_753
; %bb.410:                              ;   in Loop: Header=BB2_143 Depth=2
	s_or_saveexec_b32 s28, s28
	v_mov_b32_e32 v115, s27
	s_xor_b32 exec_lo, exec_lo, s28
	s_cbranch_execnz .LBB2_756
.LBB2_411:                              ;   in Loop: Header=BB2_143 Depth=2
	s_or_b32 exec_lo, exec_lo, s28
	s_and_saveexec_b32 s27, s12
	s_cbranch_execz .LBB2_413
.LBB2_412:                              ;   in Loop: Header=BB2_143 Depth=2
	v_and_b32_e32 v115, 0xffff, v112
	v_lshlrev_b32_e32 v119, 16, v12
	s_delay_alu instid0(VALU_DEP_2) | instskip(NEXT) | instid1(VALU_DEP_1)
	v_and_b32_e32 v116, 7, v115
	v_clz_i32_u32_e32 v117, v116
	s_delay_alu instid0(VALU_DEP_1) | instskip(NEXT) | instid1(VALU_DEP_1)
	v_min_u32_e32 v117, 32, v117
	v_subrev_nc_u32_e32 v118, 28, v117
	v_sub_nc_u32_e32 v117, 29, v117
	s_delay_alu instid0(VALU_DEP_2) | instskip(SKIP_1) | instid1(VALU_DEP_2)
	v_lshlrev_b32_e32 v118, v118, v115
	v_bfe_u32 v115, v115, 3, 4
	v_and_b32_e32 v118, 7, v118
	s_delay_alu instid0(VALU_DEP_2) | instskip(NEXT) | instid1(VALU_DEP_2)
	v_cmp_eq_u32_e32 vcc_lo, 0, v115
	v_dual_cndmask_b32 v115, v115, v117 :: v_dual_cndmask_b32 v116, v116, v118
	v_and_b32_e32 v117, 0x80000000, v119
	s_delay_alu instid0(VALU_DEP_2) | instskip(NEXT) | instid1(VALU_DEP_3)
	v_lshl_add_u32 v115, v115, 23, 0x3b800000
	v_lshlrev_b32_e32 v116, 20, v116
	s_delay_alu instid0(VALU_DEP_1)
	v_or3_b32 v115, v117, v115, v116
.LBB2_413:                              ;   in Loop: Header=BB2_143 Depth=2
	s_or_b32 exec_lo, exec_lo, s27
	s_delay_alu instid0(VALU_DEP_1) | instskip(SKIP_1) | instid1(VALU_DEP_1)
	v_dual_max_f32 v115, v115, v115 :: v_dual_max_f32 v114, v114, v114
	s_mov_b32 s12, 0
	v_max_f32_e32 v114, v114, v115
	s_branch .LBB2_415
.LBB2_414:                              ;   in Loop: Header=BB2_143 Depth=2
	s_mov_b32 s12, -1
                                        ; implicit-def: $vgpr114
.LBB2_415:                              ;   in Loop: Header=BB2_143 Depth=2
	s_delay_alu instid0(SALU_CYCLE_1)
	s_and_b32 vcc_lo, exec_lo, s12
	s_cbranch_vccz .LBB2_425
; %bb.416:                              ;   in Loop: Header=BB2_143 Depth=2
	s_mov_b32 s12, 0
	s_mov_b32 s28, exec_lo
                                        ; implicit-def: $sgpr27
	v_cmpx_lt_i16_e32 0x7f, v113
	s_xor_b32 s28, exec_lo, s28
	s_cbranch_execnz .LBB2_757
; %bb.417:                              ;   in Loop: Header=BB2_143 Depth=2
	s_or_saveexec_b32 s28, s28
	v_mov_b32_e32 v114, s27
	s_xor_b32 exec_lo, exec_lo, s28
	s_cbranch_execnz .LBB2_760
.LBB2_418:                              ;   in Loop: Header=BB2_143 Depth=2
	s_or_b32 exec_lo, exec_lo, s28
	s_and_saveexec_b32 s27, s12
	s_cbranch_execz .LBB2_420
.LBB2_419:                              ;   in Loop: Header=BB2_143 Depth=2
	v_and_b32_e32 v113, 0xffff, v113
	v_lshlrev_b32_e32 v117, 16, v16
	s_delay_alu instid0(VALU_DEP_2) | instskip(NEXT) | instid1(VALU_DEP_1)
	v_and_b32_e32 v114, 7, v113
	v_clz_i32_u32_e32 v115, v114
	s_delay_alu instid0(VALU_DEP_1) | instskip(NEXT) | instid1(VALU_DEP_1)
	v_min_u32_e32 v115, 32, v115
	v_subrev_nc_u32_e32 v116, 28, v115
	v_sub_nc_u32_e32 v115, 29, v115
	s_delay_alu instid0(VALU_DEP_2) | instskip(SKIP_1) | instid1(VALU_DEP_2)
	v_lshlrev_b32_e32 v116, v116, v113
	v_bfe_u32 v113, v113, 3, 4
	v_and_b32_e32 v116, 7, v116
	s_delay_alu instid0(VALU_DEP_2) | instskip(NEXT) | instid1(VALU_DEP_2)
	v_cmp_eq_u32_e32 vcc_lo, 0, v113
	v_dual_cndmask_b32 v113, v113, v115 :: v_dual_cndmask_b32 v114, v114, v116
	v_and_b32_e32 v115, 0x80000000, v117
	s_delay_alu instid0(VALU_DEP_2) | instskip(NEXT) | instid1(VALU_DEP_3)
	v_lshl_add_u32 v113, v113, 23, 0x3b800000
	v_lshlrev_b32_e32 v114, 20, v114
	s_delay_alu instid0(VALU_DEP_1)
	v_or3_b32 v114, v115, v113, v114
.LBB2_420:                              ;   in Loop: Header=BB2_143 Depth=2
	s_or_b32 exec_lo, exec_lo, s27
	s_mov_b32 s12, 0
	s_mov_b32 s28, exec_lo
                                        ; implicit-def: $sgpr27
	v_cmpx_lt_i16_e32 0x7f, v112
	s_xor_b32 s28, exec_lo, s28
	s_cbranch_execnz .LBB2_761
; %bb.421:                              ;   in Loop: Header=BB2_143 Depth=2
	s_or_saveexec_b32 s28, s28
	v_mov_b32_e32 v113, s27
	s_xor_b32 exec_lo, exec_lo, s28
	s_cbranch_execnz .LBB2_764
.LBB2_422:                              ;   in Loop: Header=BB2_143 Depth=2
	s_or_b32 exec_lo, exec_lo, s28
	s_and_saveexec_b32 s27, s12
	s_cbranch_execz .LBB2_424
.LBB2_423:                              ;   in Loop: Header=BB2_143 Depth=2
	v_and_b32_e32 v112, 0xffff, v112
	v_lshlrev_b32_e32 v117, 16, v12
	s_delay_alu instid0(VALU_DEP_2) | instskip(NEXT) | instid1(VALU_DEP_1)
	v_and_b32_e32 v113, 7, v112
	v_clz_i32_u32_e32 v115, v113
	s_delay_alu instid0(VALU_DEP_1) | instskip(NEXT) | instid1(VALU_DEP_1)
	v_min_u32_e32 v115, 32, v115
	v_subrev_nc_u32_e32 v116, 28, v115
	v_sub_nc_u32_e32 v115, 29, v115
	s_delay_alu instid0(VALU_DEP_2) | instskip(SKIP_1) | instid1(VALU_DEP_2)
	v_lshlrev_b32_e32 v116, v116, v112
	v_bfe_u32 v112, v112, 3, 4
	v_and_b32_e32 v116, 7, v116
	s_delay_alu instid0(VALU_DEP_2) | instskip(NEXT) | instid1(VALU_DEP_2)
	v_cmp_eq_u32_e32 vcc_lo, 0, v112
	v_dual_cndmask_b32 v112, v112, v115 :: v_dual_cndmask_b32 v113, v113, v116
	v_and_b32_e32 v115, 0x80000000, v117
	s_delay_alu instid0(VALU_DEP_2) | instskip(NEXT) | instid1(VALU_DEP_3)
	v_lshl_add_u32 v112, v112, 23, 0x3b800000
	v_lshlrev_b32_e32 v113, 20, v113
	s_delay_alu instid0(VALU_DEP_1)
	v_or3_b32 v113, v115, v112, v113
.LBB2_424:                              ;   in Loop: Header=BB2_143 Depth=2
	s_or_b32 exec_lo, exec_lo, s27
	s_delay_alu instid0(VALU_DEP_1) | instskip(NEXT) | instid1(VALU_DEP_1)
	v_dual_max_f32 v112, v113, v113 :: v_dual_max_f32 v113, v114, v114
	v_min_f32_e32 v114, v113, v112
.LBB2_425:                              ;   in Loop: Header=BB2_143 Depth=2
	s_delay_alu instid0(VALU_DEP_1) | instskip(NEXT) | instid1(VALU_DEP_1)
	v_and_b32_e32 v112, 0x7f800000, v114
	v_cmp_ne_u32_e32 vcc_lo, 0x7f800000, v112
	v_mov_b32_e32 v112, 0x80
	s_and_saveexec_b32 s27, vcc_lo
	s_cbranch_execz .LBB2_433
; %bb.426:                              ;   in Loop: Header=BB2_143 Depth=2
	v_mov_b32_e32 v112, 0
	s_mov_b32 s28, exec_lo
	v_cmpx_ne_u32_e32 0, v114
	s_cbranch_execz .LBB2_432
; %bb.427:                              ;   in Loop: Header=BB2_143 Depth=2
	v_bfe_u32 v112, v114, 23, 8
	v_and_b32_e32 v113, 0x7fffff, v114
	s_delay_alu instid0(VALU_DEP_2) | instskip(SKIP_1) | instid1(VALU_DEP_3)
	v_sub_nc_u32_e32 v115, 0x78, v112
	v_cmp_gt_u32_e32 vcc_lo, 0x79, v112
	v_or_b32_e32 v116, 0x800000, v113
	s_delay_alu instid0(VALU_DEP_3) | instskip(SKIP_2) | instid1(VALU_DEP_3)
	v_cndmask_b32_e32 v115, 0, v115, vcc_lo
	v_cmp_eq_u32_e32 vcc_lo, 0, v112
	v_add_nc_u32_e32 v112, 0xffffff89, v112
	v_cndmask_b32_e64 v115, v115, 0x77, vcc_lo
	v_cndmask_b32_e32 v113, v116, v113, vcc_lo
	s_delay_alu instid0(VALU_DEP_3) | instskip(NEXT) | instid1(VALU_DEP_3)
	v_cndmask_b32_e64 v112, v112, 0xffffff8a, vcc_lo
	v_lshl_add_u32 v116, 0x100000, v115, -1
	s_delay_alu instid0(VALU_DEP_3) | instskip(SKIP_1) | instid1(VALU_DEP_4)
	v_lshrrev_b32_e32 v117, v115, v113
	v_lshlrev_b32_e64 v119, v115, 0x80000
	v_add_nc_u32_e32 v115, v115, v112
	s_delay_alu instid0(VALU_DEP_4) | instskip(NEXT) | instid1(VALU_DEP_4)
	v_and_b32_e32 v113, v116, v113
	v_bfe_u32 v118, v117, 20, 1
	s_delay_alu instid0(VALU_DEP_2) | instskip(NEXT) | instid1(VALU_DEP_2)
	v_cmp_eq_u32_e64 s12, v113, v119
	v_add_nc_u32_e32 v116, -1, v118
	s_delay_alu instid0(VALU_DEP_1) | instskip(SKIP_2) | instid1(VALU_DEP_2)
	v_cndmask_b32_e64 v113, 0, v116, s12
	v_lshrrev_b32_e32 v116, 23, v117
	s_mov_b32 s12, exec_lo
	v_add_nc_u32_e32 v113, v113, v117
	s_delay_alu instid0(VALU_DEP_2) | instskip(NEXT) | instid1(VALU_DEP_2)
	v_xor_b32_e32 v116, 1, v116
	v_and_b32_e32 v112, 0xfffff, v113
	s_delay_alu instid0(VALU_DEP_1) | instskip(NEXT) | instid1(VALU_DEP_3)
	v_add_nc_u32_e32 v113, v112, v117
                                        ; implicit-def: $vgpr112
	v_cmpx_ne_u32_e64 v115, v116
	s_xor_b32 s12, exec_lo, s12
; %bb.428:                              ;   in Loop: Header=BB2_143 Depth=2
	s_delay_alu instid0(VALU_DEP_2) | instskip(SKIP_2) | instid1(VALU_DEP_2)
	v_cmp_lt_u32_e32 vcc_lo, 0xffffff, v113
	v_sub_nc_u32_e32 v112, v115, v116
	v_cndmask_b32_e64 v115, 0, 1, vcc_lo
	v_add_co_ci_u32_e32 v112, vcc_lo, 0, v112, vcc_lo
	s_delay_alu instid0(VALU_DEP_2)
	v_lshrrev_b32_e32 v113, v115, v113
; %bb.429:                              ;   in Loop: Header=BB2_143 Depth=2
	s_and_not1_saveexec_b32 s12, s12
; %bb.430:                              ;   in Loop: Header=BB2_143 Depth=2
	s_delay_alu instid0(VALU_DEP_1)
	v_bfe_u32 v112, v113, 23, 1
; %bb.431:                              ;   in Loop: Header=BB2_143 Depth=2
	s_or_b32 exec_lo, exec_lo, s12
	v_lshrrev_b32_e32 v113, 20, v113
	s_delay_alu instid0(VALU_DEP_2) | instskip(SKIP_2) | instid1(VALU_DEP_2)
	v_cmp_gt_i32_e32 vcc_lo, 16, v112
	v_lshrrev_b32_e32 v114, 24, v114
	v_min_i32_e32 v115, 15, v112
	v_dual_cndmask_b32 v113, 7, v113 :: v_dual_and_b32 v114, 0x80, v114
	s_delay_alu instid0(VALU_DEP_1) | instskip(SKIP_1) | instid1(VALU_DEP_2)
	v_or_b32_e32 v112, v112, v113
	v_and_b32_e32 v116, 7, v113
	v_cmp_ne_u32_e32 vcc_lo, 0, v112
	v_lshlrev_b32_e32 v115, 3, v115
	s_delay_alu instid0(VALU_DEP_1) | instskip(NEXT) | instid1(VALU_DEP_1)
	v_or3_b32 v113, v115, v114, v116
	v_cndmask_b32_e32 v112, 0, v113, vcc_lo
.LBB2_432:                              ;   in Loop: Header=BB2_143 Depth=2
	s_or_b32 exec_lo, exec_lo, s28
.LBB2_433:                              ;   in Loop: Header=BB2_143 Depth=2
	s_delay_alu instid0(SALU_CYCLE_1)
	s_or_b32 exec_lo, exec_lo, s27
	v_lshrrev_b32_e32 v114, 16, v16
	v_lshrrev_b32_e32 v113, 16, v12
	s_and_b32 vcc_lo, exec_lo, s26
	s_cbranch_vccz .LBB2_443
; %bb.434:                              ;   in Loop: Header=BB2_143 Depth=2
	s_delay_alu instid0(VALU_DEP_2) | instskip(SKIP_2) | instid1(VALU_DEP_1)
	v_and_b32_e32 v116, 0xff, v114
	s_mov_b32 s12, 0
	s_mov_b32 s28, exec_lo
                                        ; implicit-def: $sgpr27
	v_cmpx_lt_i16_e32 0x7f, v116
	s_xor_b32 s28, exec_lo, s28
	s_cbranch_execnz .LBB2_765
; %bb.435:                              ;   in Loop: Header=BB2_143 Depth=2
	s_or_saveexec_b32 s28, s28
	v_mov_b32_e32 v115, s27
	s_xor_b32 exec_lo, exec_lo, s28
	s_cbranch_execnz .LBB2_768
.LBB2_436:                              ;   in Loop: Header=BB2_143 Depth=2
	s_or_b32 exec_lo, exec_lo, s28
	s_and_saveexec_b32 s27, s12
	s_cbranch_execz .LBB2_438
.LBB2_437:                              ;   in Loop: Header=BB2_143 Depth=2
	v_bfe_u32 v115, v16, 16, 3
	v_bfe_u32 v118, v16, 19, 4
	v_lshlrev_b32_e32 v119, 24, v114
	s_delay_alu instid0(VALU_DEP_3) | instskip(NEXT) | instid1(VALU_DEP_3)
	v_clz_i32_u32_e32 v116, v115
	v_cmp_eq_u32_e32 vcc_lo, 0, v118
	s_delay_alu instid0(VALU_DEP_2) | instskip(NEXT) | instid1(VALU_DEP_1)
	v_min_u32_e32 v116, 32, v116
	v_subrev_nc_u32_e32 v117, 28, v116
	v_sub_nc_u32_e32 v116, 29, v116
	s_delay_alu instid0(VALU_DEP_1) | instskip(NEXT) | instid1(VALU_DEP_1)
	v_dual_cndmask_b32 v116, v118, v116 :: v_dual_lshlrev_b32 v117, v117, v114
	v_and_b32_e32 v117, 7, v117
	s_delay_alu instid0(VALU_DEP_2) | instskip(NEXT) | instid1(VALU_DEP_2)
	v_lshl_add_u32 v116, v116, 23, 0x3b800000
	v_cndmask_b32_e32 v115, v115, v117, vcc_lo
	v_and_b32_e32 v117, 0x80000000, v119
	s_delay_alu instid0(VALU_DEP_2) | instskip(NEXT) | instid1(VALU_DEP_1)
	v_lshlrev_b32_e32 v115, 20, v115
	v_or3_b32 v115, v117, v116, v115
.LBB2_438:                              ;   in Loop: Header=BB2_143 Depth=2
	s_or_b32 exec_lo, exec_lo, s27
	v_and_b32_e32 v117, 0xff, v113
	s_mov_b32 s12, 0
	s_mov_b32 s28, exec_lo
                                        ; implicit-def: $sgpr27
	s_delay_alu instid0(VALU_DEP_1)
	v_cmpx_lt_i16_e32 0x7f, v117
	s_xor_b32 s28, exec_lo, s28
	s_cbranch_execnz .LBB2_769
; %bb.439:                              ;   in Loop: Header=BB2_143 Depth=2
	s_or_saveexec_b32 s28, s28
	v_mov_b32_e32 v116, s27
	s_xor_b32 exec_lo, exec_lo, s28
	s_cbranch_execnz .LBB2_772
.LBB2_440:                              ;   in Loop: Header=BB2_143 Depth=2
	s_or_b32 exec_lo, exec_lo, s28
	s_and_saveexec_b32 s27, s12
	s_cbranch_execz .LBB2_442
.LBB2_441:                              ;   in Loop: Header=BB2_143 Depth=2
	v_bfe_u32 v116, v12, 16, 3
	v_bfe_u32 v119, v12, 19, 4
	v_lshlrev_b32_e32 v128, 24, v113
	s_delay_alu instid0(VALU_DEP_3) | instskip(NEXT) | instid1(VALU_DEP_3)
	v_clz_i32_u32_e32 v117, v116
	v_cmp_eq_u32_e32 vcc_lo, 0, v119
	s_delay_alu instid0(VALU_DEP_2) | instskip(NEXT) | instid1(VALU_DEP_1)
	v_min_u32_e32 v117, 32, v117
	v_subrev_nc_u32_e32 v118, 28, v117
	v_sub_nc_u32_e32 v117, 29, v117
	s_delay_alu instid0(VALU_DEP_2) | instskip(NEXT) | instid1(VALU_DEP_1)
	v_lshlrev_b32_e32 v118, v118, v113
	v_dual_cndmask_b32 v117, v119, v117 :: v_dual_and_b32 v118, 7, v118
	s_delay_alu instid0(VALU_DEP_1) | instskip(NEXT) | instid1(VALU_DEP_2)
	v_lshl_add_u32 v117, v117, 23, 0x3b800000
	v_cndmask_b32_e32 v116, v116, v118, vcc_lo
	v_and_b32_e32 v118, 0x80000000, v128
	s_delay_alu instid0(VALU_DEP_2) | instskip(NEXT) | instid1(VALU_DEP_1)
	v_lshlrev_b32_e32 v116, 20, v116
	v_or3_b32 v116, v118, v117, v116
.LBB2_442:                              ;   in Loop: Header=BB2_143 Depth=2
	s_or_b32 exec_lo, exec_lo, s27
	s_delay_alu instid0(VALU_DEP_1) | instskip(SKIP_1) | instid1(VALU_DEP_1)
	v_dual_max_f32 v116, v116, v116 :: v_dual_max_f32 v115, v115, v115
	s_mov_b32 s12, 0
	v_max_f32_e32 v115, v115, v116
	s_branch .LBB2_444
.LBB2_443:                              ;   in Loop: Header=BB2_143 Depth=2
	s_mov_b32 s12, -1
                                        ; implicit-def: $vgpr115
.LBB2_444:                              ;   in Loop: Header=BB2_143 Depth=2
	s_delay_alu instid0(SALU_CYCLE_1)
	s_and_b32 vcc_lo, exec_lo, s12
	s_cbranch_vccz .LBB2_454
; %bb.445:                              ;   in Loop: Header=BB2_143 Depth=2
	v_and_b32_e32 v116, 0xff, v114
	s_mov_b32 s12, 0
	s_mov_b32 s28, exec_lo
                                        ; implicit-def: $sgpr27
	s_delay_alu instid0(VALU_DEP_1)
	v_cmpx_lt_i16_e32 0x7f, v116
	s_xor_b32 s28, exec_lo, s28
	s_cbranch_execnz .LBB2_773
; %bb.446:                              ;   in Loop: Header=BB2_143 Depth=2
	s_or_saveexec_b32 s28, s28
	v_mov_b32_e32 v115, s27
	s_xor_b32 exec_lo, exec_lo, s28
	s_cbranch_execnz .LBB2_776
.LBB2_447:                              ;   in Loop: Header=BB2_143 Depth=2
	s_or_b32 exec_lo, exec_lo, s28
	s_and_saveexec_b32 s27, s12
	s_cbranch_execz .LBB2_449
.LBB2_448:                              ;   in Loop: Header=BB2_143 Depth=2
	v_bfe_u32 v115, v16, 16, 3
	v_bfe_u32 v118, v16, 19, 4
	s_delay_alu instid0(VALU_DEP_2) | instskip(NEXT) | instid1(VALU_DEP_2)
	v_clz_i32_u32_e32 v116, v115
	v_cmp_eq_u32_e32 vcc_lo, 0, v118
	s_delay_alu instid0(VALU_DEP_2) | instskip(NEXT) | instid1(VALU_DEP_1)
	v_min_u32_e32 v116, 32, v116
	v_subrev_nc_u32_e32 v117, 28, v116
	v_sub_nc_u32_e32 v116, 29, v116
	s_delay_alu instid0(VALU_DEP_1) | instskip(NEXT) | instid1(VALU_DEP_1)
	v_dual_cndmask_b32 v116, v118, v116 :: v_dual_lshlrev_b32 v117, v117, v114
	v_and_b32_e32 v117, 7, v117
	v_lshlrev_b32_e32 v114, 24, v114
	s_delay_alu instid0(VALU_DEP_3) | instskip(NEXT) | instid1(VALU_DEP_2)
	v_lshl_add_u32 v116, v116, 23, 0x3b800000
	v_dual_cndmask_b32 v115, v115, v117 :: v_dual_and_b32 v114, 0x80000000, v114
	s_delay_alu instid0(VALU_DEP_1) | instskip(NEXT) | instid1(VALU_DEP_1)
	v_lshlrev_b32_e32 v115, 20, v115
	v_or3_b32 v115, v114, v116, v115
.LBB2_449:                              ;   in Loop: Header=BB2_143 Depth=2
	s_or_b32 exec_lo, exec_lo, s27
	v_and_b32_e32 v116, 0xff, v113
	s_mov_b32 s12, 0
	s_mov_b32 s28, exec_lo
                                        ; implicit-def: $sgpr27
	s_delay_alu instid0(VALU_DEP_1)
	v_cmpx_lt_i16_e32 0x7f, v116
	s_xor_b32 s28, exec_lo, s28
	s_cbranch_execnz .LBB2_777
; %bb.450:                              ;   in Loop: Header=BB2_143 Depth=2
	s_or_saveexec_b32 s28, s28
	v_mov_b32_e32 v114, s27
	s_xor_b32 exec_lo, exec_lo, s28
	s_cbranch_execnz .LBB2_780
.LBB2_451:                              ;   in Loop: Header=BB2_143 Depth=2
	s_or_b32 exec_lo, exec_lo, s28
	s_and_saveexec_b32 s27, s12
	s_cbranch_execz .LBB2_453
.LBB2_452:                              ;   in Loop: Header=BB2_143 Depth=2
	v_bfe_u32 v114, v12, 16, 3
	v_bfe_u32 v118, v12, 19, 4
	s_delay_alu instid0(VALU_DEP_2) | instskip(NEXT) | instid1(VALU_DEP_2)
	v_clz_i32_u32_e32 v116, v114
	v_cmp_eq_u32_e32 vcc_lo, 0, v118
	s_delay_alu instid0(VALU_DEP_2) | instskip(NEXT) | instid1(VALU_DEP_1)
	v_min_u32_e32 v116, 32, v116
	v_subrev_nc_u32_e32 v117, 28, v116
	v_sub_nc_u32_e32 v116, 29, v116
	s_delay_alu instid0(VALU_DEP_1) | instskip(SKIP_1) | instid1(VALU_DEP_2)
	v_dual_cndmask_b32 v116, v118, v116 :: v_dual_lshlrev_b32 v117, v117, v113
	v_lshlrev_b32_e32 v113, 24, v113
	v_and_b32_e32 v117, 7, v117
	s_delay_alu instid0(VALU_DEP_3) | instskip(NEXT) | instid1(VALU_DEP_3)
	v_lshl_add_u32 v116, v116, 23, 0x3b800000
	v_and_b32_e32 v113, 0x80000000, v113
	s_delay_alu instid0(VALU_DEP_3) | instskip(NEXT) | instid1(VALU_DEP_1)
	v_cndmask_b32_e32 v114, v114, v117, vcc_lo
	v_lshlrev_b32_e32 v114, 20, v114
	s_delay_alu instid0(VALU_DEP_1)
	v_or3_b32 v114, v113, v116, v114
.LBB2_453:                              ;   in Loop: Header=BB2_143 Depth=2
	s_or_b32 exec_lo, exec_lo, s27
	s_delay_alu instid0(VALU_DEP_1) | instskip(NEXT) | instid1(VALU_DEP_1)
	v_dual_max_f32 v113, v114, v114 :: v_dual_max_f32 v114, v115, v115
	v_min_f32_e32 v115, v114, v113
.LBB2_454:                              ;   in Loop: Header=BB2_143 Depth=2
	s_delay_alu instid0(VALU_DEP_1) | instskip(NEXT) | instid1(VALU_DEP_1)
	v_and_b32_e32 v113, 0x7f800000, v115
	v_cmp_ne_u32_e32 vcc_lo, 0x7f800000, v113
	v_mov_b32_e32 v113, 0x80
	s_and_saveexec_b32 s27, vcc_lo
	s_cbranch_execz .LBB2_462
; %bb.455:                              ;   in Loop: Header=BB2_143 Depth=2
	v_mov_b32_e32 v113, 0
	s_mov_b32 s28, exec_lo
	v_cmpx_ne_u32_e32 0, v115
	s_cbranch_execz .LBB2_461
; %bb.456:                              ;   in Loop: Header=BB2_143 Depth=2
	v_bfe_u32 v113, v115, 23, 8
	v_and_b32_e32 v114, 0x7fffff, v115
	s_delay_alu instid0(VALU_DEP_2) | instskip(SKIP_1) | instid1(VALU_DEP_3)
	v_sub_nc_u32_e32 v116, 0x78, v113
	v_cmp_gt_u32_e32 vcc_lo, 0x79, v113
	v_or_b32_e32 v117, 0x800000, v114
	s_delay_alu instid0(VALU_DEP_3) | instskip(SKIP_2) | instid1(VALU_DEP_3)
	v_cndmask_b32_e32 v116, 0, v116, vcc_lo
	v_cmp_eq_u32_e32 vcc_lo, 0, v113
	v_add_nc_u32_e32 v113, 0xffffff89, v113
	v_cndmask_b32_e64 v116, v116, 0x77, vcc_lo
	v_cndmask_b32_e32 v114, v117, v114, vcc_lo
	s_delay_alu instid0(VALU_DEP_3) | instskip(NEXT) | instid1(VALU_DEP_3)
	v_cndmask_b32_e64 v113, v113, 0xffffff8a, vcc_lo
	v_lshl_add_u32 v117, 0x100000, v116, -1
	s_delay_alu instid0(VALU_DEP_3) | instskip(SKIP_1) | instid1(VALU_DEP_4)
	v_lshrrev_b32_e32 v118, v116, v114
	v_lshlrev_b32_e64 v128, v116, 0x80000
	v_add_nc_u32_e32 v116, v116, v113
	s_delay_alu instid0(VALU_DEP_4) | instskip(NEXT) | instid1(VALU_DEP_4)
	v_and_b32_e32 v114, v117, v114
	v_bfe_u32 v119, v118, 20, 1
	s_delay_alu instid0(VALU_DEP_2) | instskip(NEXT) | instid1(VALU_DEP_2)
	v_cmp_eq_u32_e64 s12, v114, v128
	v_add_nc_u32_e32 v117, -1, v119
	s_delay_alu instid0(VALU_DEP_1) | instskip(SKIP_2) | instid1(VALU_DEP_2)
	v_cndmask_b32_e64 v114, 0, v117, s12
	v_lshrrev_b32_e32 v117, 23, v118
	s_mov_b32 s12, exec_lo
	v_add_nc_u32_e32 v114, v114, v118
	s_delay_alu instid0(VALU_DEP_2) | instskip(NEXT) | instid1(VALU_DEP_2)
	v_xor_b32_e32 v117, 1, v117
	v_and_b32_e32 v113, 0xfffff, v114
	s_delay_alu instid0(VALU_DEP_1) | instskip(NEXT) | instid1(VALU_DEP_3)
	v_add_nc_u32_e32 v114, v113, v118
                                        ; implicit-def: $vgpr113
	v_cmpx_ne_u32_e64 v116, v117
	s_xor_b32 s12, exec_lo, s12
; %bb.457:                              ;   in Loop: Header=BB2_143 Depth=2
	s_delay_alu instid0(VALU_DEP_2) | instskip(SKIP_2) | instid1(VALU_DEP_2)
	v_cmp_lt_u32_e32 vcc_lo, 0xffffff, v114
	v_sub_nc_u32_e32 v113, v116, v117
	v_cndmask_b32_e64 v116, 0, 1, vcc_lo
	v_add_co_ci_u32_e32 v113, vcc_lo, 0, v113, vcc_lo
	s_delay_alu instid0(VALU_DEP_2)
	v_lshrrev_b32_e32 v114, v116, v114
; %bb.458:                              ;   in Loop: Header=BB2_143 Depth=2
	s_and_not1_saveexec_b32 s12, s12
; %bb.459:                              ;   in Loop: Header=BB2_143 Depth=2
	s_delay_alu instid0(VALU_DEP_1)
	v_bfe_u32 v113, v114, 23, 1
; %bb.460:                              ;   in Loop: Header=BB2_143 Depth=2
	s_or_b32 exec_lo, exec_lo, s12
	v_lshrrev_b32_e32 v114, 20, v114
	s_delay_alu instid0(VALU_DEP_2) | instskip(SKIP_2) | instid1(VALU_DEP_2)
	v_cmp_gt_i32_e32 vcc_lo, 16, v113
	v_lshrrev_b32_e32 v115, 24, v115
	v_min_i32_e32 v116, 15, v113
	v_dual_cndmask_b32 v114, 7, v114 :: v_dual_and_b32 v115, 0x80, v115
	s_delay_alu instid0(VALU_DEP_1) | instskip(SKIP_1) | instid1(VALU_DEP_2)
	v_or_b32_e32 v113, v113, v114
	v_and_b32_e32 v117, 7, v114
	v_cmp_ne_u32_e32 vcc_lo, 0, v113
	v_lshlrev_b32_e32 v116, 3, v116
	s_delay_alu instid0(VALU_DEP_1) | instskip(NEXT) | instid1(VALU_DEP_1)
	v_or3_b32 v114, v116, v115, v117
	v_cndmask_b32_e32 v113, 0, v114, vcc_lo
.LBB2_461:                              ;   in Loop: Header=BB2_143 Depth=2
	s_or_b32 exec_lo, exec_lo, s28
.LBB2_462:                              ;   in Loop: Header=BB2_143 Depth=2
	s_delay_alu instid0(SALU_CYCLE_1)
	s_or_b32 exec_lo, exec_lo, s27
	v_lshrrev_b32_e32 v115, 24, v16
	v_lshrrev_b32_e32 v114, 24, v12
	s_and_b32 vcc_lo, exec_lo, s26
	s_cbranch_vccz .LBB2_472
; %bb.463:                              ;   in Loop: Header=BB2_143 Depth=2
	s_mov_b32 s12, 0
	s_mov_b32 s28, exec_lo
                                        ; implicit-def: $sgpr27
	v_cmpx_lt_i16_e32 0x7f, v115
	s_xor_b32 s28, exec_lo, s28
	s_cbranch_execnz .LBB2_781
; %bb.464:                              ;   in Loop: Header=BB2_143 Depth=2
	s_or_saveexec_b32 s28, s28
	v_mov_b32_e32 v116, s27
	s_xor_b32 exec_lo, exec_lo, s28
	s_cbranch_execnz .LBB2_784
.LBB2_465:                              ;   in Loop: Header=BB2_143 Depth=2
	s_or_b32 exec_lo, exec_lo, s28
	s_and_saveexec_b32 s27, s12
	s_cbranch_execz .LBB2_467
.LBB2_466:                              ;   in Loop: Header=BB2_143 Depth=2
	v_bfe_u32 v116, v16, 24, 3
	v_bfe_u32 v119, v16, 27, 4
	s_delay_alu instid0(VALU_DEP_2) | instskip(NEXT) | instid1(VALU_DEP_2)
	v_clz_i32_u32_e32 v117, v116
	v_cmp_eq_u32_e32 vcc_lo, 0, v119
	s_delay_alu instid0(VALU_DEP_2) | instskip(NEXT) | instid1(VALU_DEP_1)
	v_min_u32_e32 v117, 32, v117
	v_subrev_nc_u32_e32 v118, 28, v117
	v_sub_nc_u32_e32 v117, 29, v117
	s_delay_alu instid0(VALU_DEP_1) | instskip(NEXT) | instid1(VALU_DEP_1)
	v_dual_cndmask_b32 v117, v119, v117 :: v_dual_lshlrev_b32 v118, v118, v115
	v_and_b32_e32 v118, 7, v118
	s_delay_alu instid0(VALU_DEP_2) | instskip(NEXT) | instid1(VALU_DEP_2)
	v_lshl_add_u32 v117, v117, 23, 0x3b800000
	v_cndmask_b32_e32 v116, v116, v118, vcc_lo
	v_and_b32_e32 v118, 0x80000000, v16
	s_delay_alu instid0(VALU_DEP_2) | instskip(NEXT) | instid1(VALU_DEP_1)
	v_lshlrev_b32_e32 v116, 20, v116
	v_or3_b32 v116, v118, v117, v116
.LBB2_467:                              ;   in Loop: Header=BB2_143 Depth=2
	s_or_b32 exec_lo, exec_lo, s27
	s_mov_b32 s12, 0
	s_mov_b32 s28, exec_lo
                                        ; implicit-def: $sgpr27
	v_cmpx_lt_i16_e32 0x7f, v114
	s_xor_b32 s28, exec_lo, s28
	s_cbranch_execnz .LBB2_785
; %bb.468:                              ;   in Loop: Header=BB2_143 Depth=2
	s_or_saveexec_b32 s28, s28
	v_mov_b32_e32 v117, s27
	s_xor_b32 exec_lo, exec_lo, s28
	s_cbranch_execnz .LBB2_788
.LBB2_469:                              ;   in Loop: Header=BB2_143 Depth=2
	s_or_b32 exec_lo, exec_lo, s28
	s_and_saveexec_b32 s27, s12
	s_cbranch_execz .LBB2_471
.LBB2_470:                              ;   in Loop: Header=BB2_143 Depth=2
	v_bfe_u32 v117, v12, 24, 3
	v_bfe_u32 v128, v12, 27, 4
	s_delay_alu instid0(VALU_DEP_2) | instskip(NEXT) | instid1(VALU_DEP_2)
	v_clz_i32_u32_e32 v118, v117
	v_cmp_eq_u32_e32 vcc_lo, 0, v128
	s_delay_alu instid0(VALU_DEP_2) | instskip(NEXT) | instid1(VALU_DEP_1)
	v_min_u32_e32 v118, 32, v118
	v_subrev_nc_u32_e32 v119, 28, v118
	v_sub_nc_u32_e32 v118, 29, v118
	s_delay_alu instid0(VALU_DEP_2) | instskip(NEXT) | instid1(VALU_DEP_1)
	v_lshlrev_b32_e32 v119, v119, v114
	v_dual_cndmask_b32 v118, v128, v118 :: v_dual_and_b32 v119, 7, v119
	s_delay_alu instid0(VALU_DEP_1) | instskip(NEXT) | instid1(VALU_DEP_2)
	v_lshl_add_u32 v118, v118, 23, 0x3b800000
	v_cndmask_b32_e32 v117, v117, v119, vcc_lo
	v_and_b32_e32 v119, 0x80000000, v12
	s_delay_alu instid0(VALU_DEP_2) | instskip(NEXT) | instid1(VALU_DEP_1)
	v_lshlrev_b32_e32 v117, 20, v117
	v_or3_b32 v117, v119, v118, v117
.LBB2_471:                              ;   in Loop: Header=BB2_143 Depth=2
	s_or_b32 exec_lo, exec_lo, s27
	s_delay_alu instid0(VALU_DEP_1) | instskip(SKIP_1) | instid1(VALU_DEP_1)
	v_dual_max_f32 v117, v117, v117 :: v_dual_max_f32 v116, v116, v116
	s_mov_b32 s12, 0
	v_max_f32_e32 v116, v116, v117
	s_branch .LBB2_473
.LBB2_472:                              ;   in Loop: Header=BB2_143 Depth=2
	s_mov_b32 s12, -1
                                        ; implicit-def: $vgpr116
.LBB2_473:                              ;   in Loop: Header=BB2_143 Depth=2
	s_delay_alu instid0(SALU_CYCLE_1)
	s_and_b32 vcc_lo, exec_lo, s12
	s_cbranch_vccz .LBB2_483
; %bb.474:                              ;   in Loop: Header=BB2_143 Depth=2
	s_mov_b32 s12, 0
	s_mov_b32 s28, exec_lo
                                        ; implicit-def: $sgpr27
	v_cmpx_lt_i16_e32 0x7f, v115
	s_xor_b32 s28, exec_lo, s28
	s_cbranch_execnz .LBB2_789
; %bb.475:                              ;   in Loop: Header=BB2_143 Depth=2
	s_or_saveexec_b32 s28, s28
	v_mov_b32_e32 v116, s27
	s_xor_b32 exec_lo, exec_lo, s28
	s_cbranch_execnz .LBB2_792
.LBB2_476:                              ;   in Loop: Header=BB2_143 Depth=2
	s_or_b32 exec_lo, exec_lo, s28
	s_and_saveexec_b32 s27, s12
	s_cbranch_execz .LBB2_478
.LBB2_477:                              ;   in Loop: Header=BB2_143 Depth=2
	v_bfe_u32 v116, v16, 24, 3
	s_delay_alu instid0(VALU_DEP_1) | instskip(NEXT) | instid1(VALU_DEP_1)
	v_clz_i32_u32_e32 v117, v116
	v_min_u32_e32 v117, 32, v117
	s_delay_alu instid0(VALU_DEP_1) | instskip(SKIP_1) | instid1(VALU_DEP_2)
	v_subrev_nc_u32_e32 v118, 28, v117
	v_sub_nc_u32_e32 v117, 29, v117
	v_lshlrev_b32_e32 v115, v118, v115
	v_bfe_u32 v118, v16, 27, 4
	v_and_b32_e32 v16, 0x80000000, v16
	s_delay_alu instid0(VALU_DEP_3) | instskip(NEXT) | instid1(VALU_DEP_3)
	v_and_b32_e32 v115, 7, v115
	v_cmp_eq_u32_e32 vcc_lo, 0, v118
	v_cndmask_b32_e32 v117, v118, v117, vcc_lo
	s_delay_alu instid0(VALU_DEP_3) | instskip(NEXT) | instid1(VALU_DEP_2)
	v_cndmask_b32_e32 v115, v116, v115, vcc_lo
	v_lshl_add_u32 v116, v117, 23, 0x3b800000
	s_delay_alu instid0(VALU_DEP_2) | instskip(NEXT) | instid1(VALU_DEP_1)
	v_lshlrev_b32_e32 v115, 20, v115
	v_or3_b32 v116, v16, v116, v115
.LBB2_478:                              ;   in Loop: Header=BB2_143 Depth=2
	s_or_b32 exec_lo, exec_lo, s27
	s_mov_b32 s12, 0
	s_mov_b32 s28, exec_lo
                                        ; implicit-def: $sgpr27
	v_cmpx_lt_i16_e32 0x7f, v114
	s_xor_b32 s28, exec_lo, s28
	s_cbranch_execnz .LBB2_793
; %bb.479:                              ;   in Loop: Header=BB2_143 Depth=2
	s_or_saveexec_b32 s28, s28
	v_mov_b32_e32 v16, s27
	s_xor_b32 exec_lo, exec_lo, s28
	s_cbranch_execnz .LBB2_796
.LBB2_480:                              ;   in Loop: Header=BB2_143 Depth=2
	s_or_b32 exec_lo, exec_lo, s28
	s_and_saveexec_b32 s27, s12
	s_cbranch_execz .LBB2_482
.LBB2_481:                              ;   in Loop: Header=BB2_143 Depth=2
	v_bfe_u32 v16, v12, 24, 3
	s_delay_alu instid0(VALU_DEP_1) | instskip(NEXT) | instid1(VALU_DEP_1)
	v_clz_i32_u32_e32 v115, v16
	v_min_u32_e32 v115, 32, v115
	s_delay_alu instid0(VALU_DEP_1) | instskip(SKIP_1) | instid1(VALU_DEP_2)
	v_subrev_nc_u32_e32 v117, 28, v115
	v_sub_nc_u32_e32 v115, 29, v115
	v_lshlrev_b32_e32 v114, v117, v114
	v_bfe_u32 v117, v12, 27, 4
	v_and_b32_e32 v12, 0x80000000, v12
	s_delay_alu instid0(VALU_DEP_2) | instskip(NEXT) | instid1(VALU_DEP_4)
	v_cmp_eq_u32_e32 vcc_lo, 0, v117
	v_dual_cndmask_b32 v115, v117, v115 :: v_dual_and_b32 v114, 7, v114
	s_delay_alu instid0(VALU_DEP_1) | instskip(NEXT) | instid1(VALU_DEP_2)
	v_cndmask_b32_e32 v16, v16, v114, vcc_lo
	v_lshl_add_u32 v114, v115, 23, 0x3b800000
	s_delay_alu instid0(VALU_DEP_2) | instskip(NEXT) | instid1(VALU_DEP_1)
	v_lshlrev_b32_e32 v16, 20, v16
	v_or3_b32 v16, v12, v114, v16
.LBB2_482:                              ;   in Loop: Header=BB2_143 Depth=2
	s_or_b32 exec_lo, exec_lo, s27
	s_delay_alu instid0(VALU_DEP_1) | instskip(SKIP_1) | instid1(VALU_DEP_1)
	v_max_f32_e32 v12, v16, v16
	v_max_f32_e32 v16, v116, v116
	v_min_f32_e32 v116, v16, v12
.LBB2_483:                              ;   in Loop: Header=BB2_143 Depth=2
	s_delay_alu instid0(VALU_DEP_1) | instskip(NEXT) | instid1(VALU_DEP_1)
	v_and_b32_e32 v12, 0x7f800000, v116
	v_cmp_ne_u32_e32 vcc_lo, 0x7f800000, v12
	v_mov_b32_e32 v12, 0x80
	s_and_saveexec_b32 s27, vcc_lo
	s_cbranch_execz .LBB2_491
; %bb.484:                              ;   in Loop: Header=BB2_143 Depth=2
	v_mov_b32_e32 v12, 0
	s_mov_b32 s28, exec_lo
	v_cmpx_ne_u32_e32 0, v116
	s_cbranch_execz .LBB2_490
; %bb.485:                              ;   in Loop: Header=BB2_143 Depth=2
	v_bfe_u32 v12, v116, 23, 8
	v_and_b32_e32 v16, 0x7fffff, v116
	s_delay_alu instid0(VALU_DEP_2) | instskip(SKIP_1) | instid1(VALU_DEP_3)
	v_sub_nc_u32_e32 v114, 0x78, v12
	v_cmp_gt_u32_e32 vcc_lo, 0x79, v12
	v_or_b32_e32 v115, 0x800000, v16
	s_delay_alu instid0(VALU_DEP_3) | instskip(SKIP_2) | instid1(VALU_DEP_3)
	v_cndmask_b32_e32 v114, 0, v114, vcc_lo
	v_cmp_eq_u32_e32 vcc_lo, 0, v12
	v_add_nc_u32_e32 v12, 0xffffff89, v12
	v_cndmask_b32_e64 v114, v114, 0x77, vcc_lo
	v_cndmask_b32_e32 v16, v115, v16, vcc_lo
	s_delay_alu instid0(VALU_DEP_3) | instskip(NEXT) | instid1(VALU_DEP_3)
	v_cndmask_b32_e64 v12, v12, 0xffffff8a, vcc_lo
	v_lshl_add_u32 v115, 0x100000, v114, -1
	s_delay_alu instid0(VALU_DEP_3) | instskip(SKIP_1) | instid1(VALU_DEP_4)
	v_lshrrev_b32_e32 v117, v114, v16
	v_lshlrev_b32_e64 v119, v114, 0x80000
	v_add_nc_u32_e32 v114, v114, v12
	s_delay_alu instid0(VALU_DEP_4) | instskip(NEXT) | instid1(VALU_DEP_4)
	v_and_b32_e32 v16, v115, v16
	v_bfe_u32 v118, v117, 20, 1
	s_delay_alu instid0(VALU_DEP_2) | instskip(NEXT) | instid1(VALU_DEP_2)
	v_cmp_eq_u32_e64 s12, v16, v119
	v_add_nc_u32_e32 v115, -1, v118
	s_delay_alu instid0(VALU_DEP_1) | instskip(SKIP_2) | instid1(VALU_DEP_2)
	v_cndmask_b32_e64 v16, 0, v115, s12
	v_lshrrev_b32_e32 v115, 23, v117
	s_mov_b32 s12, exec_lo
	v_add_nc_u32_e32 v16, v16, v117
	s_delay_alu instid0(VALU_DEP_2) | instskip(NEXT) | instid1(VALU_DEP_2)
	v_xor_b32_e32 v115, 1, v115
	v_and_b32_e32 v12, 0xfffff, v16
	s_delay_alu instid0(VALU_DEP_1) | instskip(NEXT) | instid1(VALU_DEP_3)
	v_add_nc_u32_e32 v16, v12, v117
                                        ; implicit-def: $vgpr12
	v_cmpx_ne_u32_e64 v114, v115
	s_xor_b32 s12, exec_lo, s12
; %bb.486:                              ;   in Loop: Header=BB2_143 Depth=2
	s_delay_alu instid0(VALU_DEP_2) | instskip(SKIP_2) | instid1(VALU_DEP_2)
	v_cmp_lt_u32_e32 vcc_lo, 0xffffff, v16
	v_sub_nc_u32_e32 v12, v114, v115
	v_cndmask_b32_e64 v114, 0, 1, vcc_lo
	v_add_co_ci_u32_e32 v12, vcc_lo, 0, v12, vcc_lo
	s_delay_alu instid0(VALU_DEP_2)
	v_lshrrev_b32_e32 v16, v114, v16
; %bb.487:                              ;   in Loop: Header=BB2_143 Depth=2
	s_and_not1_saveexec_b32 s12, s12
; %bb.488:                              ;   in Loop: Header=BB2_143 Depth=2
	s_delay_alu instid0(VALU_DEP_1)
	v_bfe_u32 v12, v16, 23, 1
; %bb.489:                              ;   in Loop: Header=BB2_143 Depth=2
	s_or_b32 exec_lo, exec_lo, s12
	v_lshrrev_b32_e32 v16, 20, v16
	s_delay_alu instid0(VALU_DEP_2) | instskip(SKIP_2) | instid1(VALU_DEP_4)
	v_cmp_gt_i32_e32 vcc_lo, 16, v12
	v_lshrrev_b32_e32 v114, 24, v116
	v_min_i32_e32 v115, 15, v12
	v_cndmask_b32_e32 v16, 7, v16, vcc_lo
	s_delay_alu instid0(VALU_DEP_3) | instskip(NEXT) | instid1(VALU_DEP_3)
	v_and_b32_e32 v114, 0x80, v114
	v_lshlrev_b32_e32 v115, 3, v115
	s_delay_alu instid0(VALU_DEP_3) | instskip(SKIP_1) | instid1(VALU_DEP_2)
	v_and_b32_e32 v116, 7, v16
	v_or_b32_e32 v12, v12, v16
	v_or3_b32 v16, v115, v114, v116
	s_delay_alu instid0(VALU_DEP_2) | instskip(NEXT) | instid1(VALU_DEP_2)
	v_cmp_ne_u32_e32 vcc_lo, 0, v12
	v_cndmask_b32_e32 v12, 0, v16, vcc_lo
.LBB2_490:                              ;   in Loop: Header=BB2_143 Depth=2
	s_or_b32 exec_lo, exec_lo, s28
.LBB2_491:                              ;   in Loop: Header=BB2_143 Depth=2
	s_delay_alu instid0(SALU_CYCLE_1) | instskip(NEXT) | instid1(SALU_CYCLE_1)
	s_or_b32 exec_lo, exec_lo, s27
	s_and_b32 vcc_lo, exec_lo, s26
	s_cbranch_vccz .LBB2_501
; %bb.492:                              ;   in Loop: Header=BB2_143 Depth=2
	v_and_b32_e32 v114, 0xff, v17
	s_mov_b32 s12, 0
	s_mov_b32 s28, exec_lo
                                        ; implicit-def: $sgpr27
	s_delay_alu instid0(VALU_DEP_1)
	v_cmpx_lt_i16_e32 0x7f, v114
	s_xor_b32 s28, exec_lo, s28
	s_cbranch_execnz .LBB2_797
; %bb.493:                              ;   in Loop: Header=BB2_143 Depth=2
	s_or_saveexec_b32 s28, s28
	v_mov_b32_e32 v16, s27
	s_xor_b32 exec_lo, exec_lo, s28
	s_cbranch_execnz .LBB2_800
.LBB2_494:                              ;   in Loop: Header=BB2_143 Depth=2
	s_or_b32 exec_lo, exec_lo, s28
	s_and_saveexec_b32 s27, s12
	s_cbranch_execz .LBB2_496
.LBB2_495:                              ;   in Loop: Header=BB2_143 Depth=2
	v_and_b32_e32 v16, 7, v17
	v_bfe_u32 v116, v17, 3, 4
	s_delay_alu instid0(VALU_DEP_2) | instskip(NEXT) | instid1(VALU_DEP_2)
	v_clz_i32_u32_e32 v114, v16
	v_cmp_eq_u32_e32 vcc_lo, 0, v116
	s_delay_alu instid0(VALU_DEP_2) | instskip(NEXT) | instid1(VALU_DEP_1)
	v_min_u32_e32 v114, 32, v114
	v_subrev_nc_u32_e32 v115, 28, v114
	v_sub_nc_u32_e32 v114, 29, v114
	s_delay_alu instid0(VALU_DEP_1) | instskip(NEXT) | instid1(VALU_DEP_1)
	v_dual_cndmask_b32 v114, v116, v114 :: v_dual_lshlrev_b32 v115, v115, v17
	v_and_b32_e32 v115, 7, v115
	v_lshlrev_b32_e32 v117, 24, v17
	s_delay_alu instid0(VALU_DEP_3) | instskip(NEXT) | instid1(VALU_DEP_2)
	v_lshl_add_u32 v114, v114, 23, 0x3b800000
	v_dual_cndmask_b32 v16, v16, v115 :: v_dual_and_b32 v115, 0x80000000, v117
	s_delay_alu instid0(VALU_DEP_1) | instskip(NEXT) | instid1(VALU_DEP_1)
	v_lshlrev_b32_e32 v16, 20, v16
	v_or3_b32 v16, v115, v114, v16
.LBB2_496:                              ;   in Loop: Header=BB2_143 Depth=2
	s_or_b32 exec_lo, exec_lo, s27
	v_and_b32_e32 v115, 0xff, v13
	s_mov_b32 s12, 0
	s_mov_b32 s28, exec_lo
                                        ; implicit-def: $sgpr27
	s_delay_alu instid0(VALU_DEP_1)
	v_cmpx_lt_i16_e32 0x7f, v115
	s_xor_b32 s28, exec_lo, s28
	s_cbranch_execnz .LBB2_801
; %bb.497:                              ;   in Loop: Header=BB2_143 Depth=2
	s_or_saveexec_b32 s28, s28
	v_mov_b32_e32 v114, s27
	s_xor_b32 exec_lo, exec_lo, s28
	s_cbranch_execnz .LBB2_804
.LBB2_498:                              ;   in Loop: Header=BB2_143 Depth=2
	s_or_b32 exec_lo, exec_lo, s28
	s_and_saveexec_b32 s27, s12
	s_cbranch_execz .LBB2_500
.LBB2_499:                              ;   in Loop: Header=BB2_143 Depth=2
	v_bfe_u32 v117, v13, 3, 4
	v_lshlrev_b32_e32 v118, 24, v13
	s_delay_alu instid0(VALU_DEP_2) | instskip(SKIP_1) | instid1(VALU_DEP_1)
	v_cmp_eq_u32_e32 vcc_lo, 0, v117
	v_and_b32_e32 v114, 7, v13
	v_clz_i32_u32_e32 v115, v114
	s_delay_alu instid0(VALU_DEP_1) | instskip(NEXT) | instid1(VALU_DEP_1)
	v_min_u32_e32 v115, 32, v115
	v_subrev_nc_u32_e32 v116, 28, v115
	v_sub_nc_u32_e32 v115, 29, v115
	s_delay_alu instid0(VALU_DEP_1) | instskip(NEXT) | instid1(VALU_DEP_1)
	v_dual_cndmask_b32 v115, v117, v115 :: v_dual_lshlrev_b32 v116, v116, v13
	v_and_b32_e32 v116, 7, v116
	s_delay_alu instid0(VALU_DEP_2) | instskip(NEXT) | instid1(VALU_DEP_2)
	v_lshl_add_u32 v115, v115, 23, 0x3b800000
	v_cndmask_b32_e32 v114, v114, v116, vcc_lo
	v_and_b32_e32 v116, 0x80000000, v118
	s_delay_alu instid0(VALU_DEP_2) | instskip(NEXT) | instid1(VALU_DEP_1)
	v_lshlrev_b32_e32 v114, 20, v114
	v_or3_b32 v114, v116, v115, v114
.LBB2_500:                              ;   in Loop: Header=BB2_143 Depth=2
	s_or_b32 exec_lo, exec_lo, s27
	s_delay_alu instid0(VALU_DEP_1) | instskip(SKIP_2) | instid1(VALU_DEP_1)
	v_max_f32_e32 v114, v114, v114
	v_max_f32_e32 v16, v16, v16
	s_mov_b32 s12, 0
	v_max_f32_e32 v114, v16, v114
	s_branch .LBB2_502
.LBB2_501:                              ;   in Loop: Header=BB2_143 Depth=2
	s_mov_b32 s12, -1
                                        ; implicit-def: $vgpr114
.LBB2_502:                              ;   in Loop: Header=BB2_143 Depth=2
	s_delay_alu instid0(SALU_CYCLE_1)
	s_and_b32 vcc_lo, exec_lo, s12
	s_cbranch_vccz .LBB2_512
; %bb.503:                              ;   in Loop: Header=BB2_143 Depth=2
	v_and_b32_e32 v114, 0xff, v17
	s_mov_b32 s12, 0
	s_mov_b32 s28, exec_lo
                                        ; implicit-def: $sgpr27
	s_delay_alu instid0(VALU_DEP_1)
	v_cmpx_lt_i16_e32 0x7f, v114
	s_xor_b32 s28, exec_lo, s28
	s_cbranch_execnz .LBB2_805
; %bb.504:                              ;   in Loop: Header=BB2_143 Depth=2
	s_or_saveexec_b32 s28, s28
	v_mov_b32_e32 v16, s27
	s_xor_b32 exec_lo, exec_lo, s28
	s_cbranch_execnz .LBB2_808
.LBB2_505:                              ;   in Loop: Header=BB2_143 Depth=2
	s_or_b32 exec_lo, exec_lo, s28
	s_and_saveexec_b32 s27, s12
	s_cbranch_execz .LBB2_507
.LBB2_506:                              ;   in Loop: Header=BB2_143 Depth=2
	v_and_b32_e32 v16, 7, v17
	v_bfe_u32 v116, v17, 3, 4
	s_delay_alu instid0(VALU_DEP_2) | instskip(NEXT) | instid1(VALU_DEP_2)
	v_clz_i32_u32_e32 v114, v16
	v_cmp_eq_u32_e32 vcc_lo, 0, v116
	s_delay_alu instid0(VALU_DEP_2) | instskip(NEXT) | instid1(VALU_DEP_1)
	v_min_u32_e32 v114, 32, v114
	v_subrev_nc_u32_e32 v115, 28, v114
	v_sub_nc_u32_e32 v114, 29, v114
	s_delay_alu instid0(VALU_DEP_1) | instskip(NEXT) | instid1(VALU_DEP_1)
	v_dual_cndmask_b32 v114, v116, v114 :: v_dual_lshlrev_b32 v115, v115, v17
	v_and_b32_e32 v115, 7, v115
	v_lshlrev_b32_e32 v117, 24, v17
	s_delay_alu instid0(VALU_DEP_3) | instskip(NEXT) | instid1(VALU_DEP_2)
	v_lshl_add_u32 v114, v114, 23, 0x3b800000
	v_dual_cndmask_b32 v16, v16, v115 :: v_dual_and_b32 v115, 0x80000000, v117
	s_delay_alu instid0(VALU_DEP_1) | instskip(NEXT) | instid1(VALU_DEP_1)
	v_lshlrev_b32_e32 v16, 20, v16
	v_or3_b32 v16, v115, v114, v16
.LBB2_507:                              ;   in Loop: Header=BB2_143 Depth=2
	s_or_b32 exec_lo, exec_lo, s27
	v_and_b32_e32 v115, 0xff, v13
	s_mov_b32 s12, 0
	s_mov_b32 s28, exec_lo
                                        ; implicit-def: $sgpr27
	s_delay_alu instid0(VALU_DEP_1)
	v_cmpx_lt_i16_e32 0x7f, v115
	s_xor_b32 s28, exec_lo, s28
	s_cbranch_execnz .LBB2_809
; %bb.508:                              ;   in Loop: Header=BB2_143 Depth=2
	s_or_saveexec_b32 s28, s28
	v_mov_b32_e32 v114, s27
	s_xor_b32 exec_lo, exec_lo, s28
	s_cbranch_execnz .LBB2_812
.LBB2_509:                              ;   in Loop: Header=BB2_143 Depth=2
	s_or_b32 exec_lo, exec_lo, s28
	s_and_saveexec_b32 s27, s12
	s_cbranch_execz .LBB2_511
.LBB2_510:                              ;   in Loop: Header=BB2_143 Depth=2
	v_bfe_u32 v117, v13, 3, 4
	v_lshlrev_b32_e32 v118, 24, v13
	s_delay_alu instid0(VALU_DEP_2) | instskip(SKIP_1) | instid1(VALU_DEP_1)
	v_cmp_eq_u32_e32 vcc_lo, 0, v117
	v_and_b32_e32 v114, 7, v13
	v_clz_i32_u32_e32 v115, v114
	s_delay_alu instid0(VALU_DEP_1) | instskip(NEXT) | instid1(VALU_DEP_1)
	v_min_u32_e32 v115, 32, v115
	v_subrev_nc_u32_e32 v116, 28, v115
	v_sub_nc_u32_e32 v115, 29, v115
	s_delay_alu instid0(VALU_DEP_1) | instskip(NEXT) | instid1(VALU_DEP_1)
	v_dual_cndmask_b32 v115, v117, v115 :: v_dual_lshlrev_b32 v116, v116, v13
	v_and_b32_e32 v116, 7, v116
	s_delay_alu instid0(VALU_DEP_2) | instskip(NEXT) | instid1(VALU_DEP_2)
	v_lshl_add_u32 v115, v115, 23, 0x3b800000
	v_cndmask_b32_e32 v114, v114, v116, vcc_lo
	v_and_b32_e32 v116, 0x80000000, v118
	s_delay_alu instid0(VALU_DEP_2) | instskip(NEXT) | instid1(VALU_DEP_1)
	v_lshlrev_b32_e32 v114, 20, v114
	v_or3_b32 v114, v116, v115, v114
.LBB2_511:                              ;   in Loop: Header=BB2_143 Depth=2
	s_or_b32 exec_lo, exec_lo, s27
	s_delay_alu instid0(VALU_DEP_1) | instskip(SKIP_1) | instid1(VALU_DEP_1)
	v_max_f32_e32 v114, v114, v114
	v_max_f32_e32 v16, v16, v16
	v_min_f32_e32 v114, v16, v114
.LBB2_512:                              ;   in Loop: Header=BB2_143 Depth=2
	s_delay_alu instid0(VALU_DEP_1) | instskip(NEXT) | instid1(VALU_DEP_1)
	v_and_b32_e32 v16, 0x7f800000, v114
	v_cmp_ne_u32_e32 vcc_lo, 0x7f800000, v16
	v_mov_b32_e32 v16, 0x80
	s_and_saveexec_b32 s27, vcc_lo
	s_cbranch_execz .LBB2_520
; %bb.513:                              ;   in Loop: Header=BB2_143 Depth=2
	v_mov_b32_e32 v16, 0
	s_mov_b32 s28, exec_lo
	v_cmpx_ne_u32_e32 0, v114
	s_cbranch_execz .LBB2_519
; %bb.514:                              ;   in Loop: Header=BB2_143 Depth=2
	v_bfe_u32 v16, v114, 23, 8
	s_delay_alu instid0(VALU_DEP_1) | instskip(SKIP_1) | instid1(VALU_DEP_2)
	v_sub_nc_u32_e32 v116, 0x78, v16
	v_cmp_gt_u32_e32 vcc_lo, 0x79, v16
	v_dual_cndmask_b32 v116, 0, v116 :: v_dual_and_b32 v115, 0x7fffff, v114
	s_delay_alu instid0(VALU_DEP_1) | instskip(SKIP_2) | instid1(VALU_DEP_4)
	v_or_b32_e32 v117, 0x800000, v115
	v_cmp_eq_u32_e32 vcc_lo, 0, v16
	v_add_nc_u32_e32 v16, 0xffffff89, v16
	v_cndmask_b32_e64 v116, v116, 0x77, vcc_lo
	s_delay_alu instid0(VALU_DEP_4) | instskip(NEXT) | instid1(VALU_DEP_3)
	v_cndmask_b32_e32 v115, v117, v115, vcc_lo
	v_cndmask_b32_e64 v16, v16, 0xffffff8a, vcc_lo
	s_delay_alu instid0(VALU_DEP_3) | instskip(NEXT) | instid1(VALU_DEP_3)
	v_lshl_add_u32 v117, 0x100000, v116, -1
	v_lshrrev_b32_e32 v118, v116, v115
	v_lshlrev_b32_e64 v128, v116, 0x80000
	s_delay_alu instid0(VALU_DEP_4) | instskip(NEXT) | instid1(VALU_DEP_4)
	v_add_nc_u32_e32 v116, v116, v16
	v_and_b32_e32 v115, v117, v115
	s_delay_alu instid0(VALU_DEP_4) | instskip(NEXT) | instid1(VALU_DEP_2)
	v_bfe_u32 v119, v118, 20, 1
	v_cmp_eq_u32_e64 s12, v115, v128
	s_delay_alu instid0(VALU_DEP_2) | instskip(NEXT) | instid1(VALU_DEP_1)
	v_add_nc_u32_e32 v117, -1, v119
	v_cndmask_b32_e64 v115, 0, v117, s12
	v_lshrrev_b32_e32 v117, 23, v118
	s_mov_b32 s12, exec_lo
	s_delay_alu instid0(VALU_DEP_2) | instskip(NEXT) | instid1(VALU_DEP_2)
	v_add_nc_u32_e32 v115, v115, v118
	v_xor_b32_e32 v117, 1, v117
	s_delay_alu instid0(VALU_DEP_2) | instskip(NEXT) | instid1(VALU_DEP_1)
	v_and_b32_e32 v16, 0xfffff, v115
	v_add_nc_u32_e32 v115, v16, v118
                                        ; implicit-def: $vgpr16
	s_delay_alu instid0(VALU_DEP_3)
	v_cmpx_ne_u32_e64 v116, v117
	s_xor_b32 s12, exec_lo, s12
; %bb.515:                              ;   in Loop: Header=BB2_143 Depth=2
	s_delay_alu instid0(VALU_DEP_2) | instskip(SKIP_2) | instid1(VALU_DEP_2)
	v_cmp_lt_u32_e32 vcc_lo, 0xffffff, v115
	v_sub_nc_u32_e32 v16, v116, v117
	v_cndmask_b32_e64 v116, 0, 1, vcc_lo
	v_add_co_ci_u32_e32 v16, vcc_lo, 0, v16, vcc_lo
	s_delay_alu instid0(VALU_DEP_2)
	v_lshrrev_b32_e32 v115, v116, v115
; %bb.516:                              ;   in Loop: Header=BB2_143 Depth=2
	s_and_not1_saveexec_b32 s12, s12
; %bb.517:                              ;   in Loop: Header=BB2_143 Depth=2
	s_delay_alu instid0(VALU_DEP_1)
	v_bfe_u32 v16, v115, 23, 1
; %bb.518:                              ;   in Loop: Header=BB2_143 Depth=2
	s_or_b32 exec_lo, exec_lo, s12
	v_lshrrev_b32_e32 v115, 20, v115
	s_delay_alu instid0(VALU_DEP_2) | instskip(SKIP_2) | instid1(VALU_DEP_2)
	v_cmp_gt_i32_e32 vcc_lo, 16, v16
	v_lshrrev_b32_e32 v114, 24, v114
	v_min_i32_e32 v116, 15, v16
	v_dual_cndmask_b32 v115, 7, v115 :: v_dual_and_b32 v114, 0x80, v114
	s_delay_alu instid0(VALU_DEP_2) | instskip(NEXT) | instid1(VALU_DEP_2)
	v_lshlrev_b32_e32 v116, 3, v116
	v_or_b32_e32 v16, v16, v115
	s_delay_alu instid0(VALU_DEP_1) | instskip(SKIP_1) | instid1(VALU_DEP_1)
	v_cmp_ne_u32_e32 vcc_lo, 0, v16
	v_and_b32_e32 v117, 7, v115
	v_or3_b32 v114, v116, v114, v117
	s_delay_alu instid0(VALU_DEP_1)
	v_cndmask_b32_e32 v16, 0, v114, vcc_lo
.LBB2_519:                              ;   in Loop: Header=BB2_143 Depth=2
	s_or_b32 exec_lo, exec_lo, s28
.LBB2_520:                              ;   in Loop: Header=BB2_143 Depth=2
	s_delay_alu instid0(SALU_CYCLE_1)
	s_or_b32 exec_lo, exec_lo, s27
	v_lshrrev_b16 v115, 8, v17
	v_lshrrev_b16 v114, 8, v13
	s_and_b32 vcc_lo, exec_lo, s26
	s_cbranch_vccz .LBB2_530
; %bb.521:                              ;   in Loop: Header=BB2_143 Depth=2
	s_mov_b32 s12, 0
	s_mov_b32 s28, exec_lo
                                        ; implicit-def: $sgpr27
	v_cmpx_lt_i16_e32 0x7f, v115
	s_xor_b32 s28, exec_lo, s28
	s_cbranch_execnz .LBB2_813
; %bb.522:                              ;   in Loop: Header=BB2_143 Depth=2
	s_or_saveexec_b32 s28, s28
	v_mov_b32_e32 v116, s27
	s_xor_b32 exec_lo, exec_lo, s28
	s_cbranch_execnz .LBB2_816
.LBB2_523:                              ;   in Loop: Header=BB2_143 Depth=2
	s_or_b32 exec_lo, exec_lo, s28
	s_and_saveexec_b32 s27, s12
	s_cbranch_execz .LBB2_525
.LBB2_524:                              ;   in Loop: Header=BB2_143 Depth=2
	v_and_b32_e32 v116, 0xffff, v115
	s_delay_alu instid0(VALU_DEP_1) | instskip(NEXT) | instid1(VALU_DEP_1)
	v_and_b32_e32 v117, 7, v116
	v_clz_i32_u32_e32 v118, v117
	s_delay_alu instid0(VALU_DEP_1) | instskip(NEXT) | instid1(VALU_DEP_1)
	v_min_u32_e32 v118, 32, v118
	v_subrev_nc_u32_e32 v119, 28, v118
	v_sub_nc_u32_e32 v118, 29, v118
	s_delay_alu instid0(VALU_DEP_2) | instskip(SKIP_1) | instid1(VALU_DEP_2)
	v_lshlrev_b32_e32 v119, v119, v116
	v_bfe_u32 v116, v116, 3, 4
	v_and_b32_e32 v119, 7, v119
	s_delay_alu instid0(VALU_DEP_2) | instskip(SKIP_1) | instid1(VALU_DEP_3)
	v_cmp_eq_u32_e32 vcc_lo, 0, v116
	v_cndmask_b32_e32 v116, v116, v118, vcc_lo
	v_dual_cndmask_b32 v117, v117, v119 :: v_dual_lshlrev_b32 v128, 16, v17
	s_delay_alu instid0(VALU_DEP_2) | instskip(NEXT) | instid1(VALU_DEP_2)
	v_lshl_add_u32 v116, v116, 23, 0x3b800000
	v_and_b32_e32 v118, 0x80000000, v128
	s_delay_alu instid0(VALU_DEP_3) | instskip(NEXT) | instid1(VALU_DEP_1)
	v_lshlrev_b32_e32 v117, 20, v117
	v_or3_b32 v116, v118, v116, v117
.LBB2_525:                              ;   in Loop: Header=BB2_143 Depth=2
	s_or_b32 exec_lo, exec_lo, s27
	s_mov_b32 s12, 0
	s_mov_b32 s28, exec_lo
                                        ; implicit-def: $sgpr27
	v_cmpx_lt_i16_e32 0x7f, v114
	s_xor_b32 s28, exec_lo, s28
	s_cbranch_execnz .LBB2_817
; %bb.526:                              ;   in Loop: Header=BB2_143 Depth=2
	s_or_saveexec_b32 s28, s28
	v_mov_b32_e32 v117, s27
	s_xor_b32 exec_lo, exec_lo, s28
	s_cbranch_execnz .LBB2_820
.LBB2_527:                              ;   in Loop: Header=BB2_143 Depth=2
	s_or_b32 exec_lo, exec_lo, s28
	s_and_saveexec_b32 s27, s12
	s_cbranch_execz .LBB2_529
.LBB2_528:                              ;   in Loop: Header=BB2_143 Depth=2
	v_and_b32_e32 v117, 0xffff, v114
	v_lshlrev_b32_e32 v129, 16, v13
	s_delay_alu instid0(VALU_DEP_2) | instskip(NEXT) | instid1(VALU_DEP_1)
	v_and_b32_e32 v118, 7, v117
	v_clz_i32_u32_e32 v119, v118
	s_delay_alu instid0(VALU_DEP_1) | instskip(NEXT) | instid1(VALU_DEP_1)
	v_min_u32_e32 v119, 32, v119
	v_subrev_nc_u32_e32 v128, 28, v119
	v_sub_nc_u32_e32 v119, 29, v119
	s_delay_alu instid0(VALU_DEP_2) | instskip(SKIP_1) | instid1(VALU_DEP_2)
	v_lshlrev_b32_e32 v128, v128, v117
	v_bfe_u32 v117, v117, 3, 4
	v_and_b32_e32 v128, 7, v128
	s_delay_alu instid0(VALU_DEP_2) | instskip(NEXT) | instid1(VALU_DEP_2)
	v_cmp_eq_u32_e32 vcc_lo, 0, v117
	v_dual_cndmask_b32 v117, v117, v119 :: v_dual_cndmask_b32 v118, v118, v128
	v_and_b32_e32 v119, 0x80000000, v129
	s_delay_alu instid0(VALU_DEP_2) | instskip(NEXT) | instid1(VALU_DEP_3)
	v_lshl_add_u32 v117, v117, 23, 0x3b800000
	v_lshlrev_b32_e32 v118, 20, v118
	s_delay_alu instid0(VALU_DEP_1)
	v_or3_b32 v117, v119, v117, v118
.LBB2_529:                              ;   in Loop: Header=BB2_143 Depth=2
	s_or_b32 exec_lo, exec_lo, s27
	s_delay_alu instid0(VALU_DEP_1) | instskip(SKIP_1) | instid1(VALU_DEP_1)
	v_dual_max_f32 v117, v117, v117 :: v_dual_max_f32 v116, v116, v116
	s_mov_b32 s12, 0
	v_max_f32_e32 v116, v116, v117
	s_branch .LBB2_531
.LBB2_530:                              ;   in Loop: Header=BB2_143 Depth=2
	s_mov_b32 s12, -1
                                        ; implicit-def: $vgpr116
.LBB2_531:                              ;   in Loop: Header=BB2_143 Depth=2
	s_delay_alu instid0(SALU_CYCLE_1)
	s_and_b32 vcc_lo, exec_lo, s12
	s_cbranch_vccz .LBB2_541
; %bb.532:                              ;   in Loop: Header=BB2_143 Depth=2
	s_mov_b32 s12, 0
	s_mov_b32 s28, exec_lo
                                        ; implicit-def: $sgpr27
	v_cmpx_lt_i16_e32 0x7f, v115
	s_xor_b32 s28, exec_lo, s28
	s_cbranch_execnz .LBB2_821
; %bb.533:                              ;   in Loop: Header=BB2_143 Depth=2
	s_or_saveexec_b32 s28, s28
	v_mov_b32_e32 v116, s27
	s_xor_b32 exec_lo, exec_lo, s28
	s_cbranch_execnz .LBB2_824
.LBB2_534:                              ;   in Loop: Header=BB2_143 Depth=2
	s_or_b32 exec_lo, exec_lo, s28
	s_and_saveexec_b32 s27, s12
	s_cbranch_execz .LBB2_536
.LBB2_535:                              ;   in Loop: Header=BB2_143 Depth=2
	v_and_b32_e32 v115, 0xffff, v115
	v_lshlrev_b32_e32 v119, 16, v17
	s_delay_alu instid0(VALU_DEP_2) | instskip(NEXT) | instid1(VALU_DEP_1)
	v_and_b32_e32 v116, 7, v115
	v_clz_i32_u32_e32 v117, v116
	s_delay_alu instid0(VALU_DEP_1) | instskip(NEXT) | instid1(VALU_DEP_1)
	v_min_u32_e32 v117, 32, v117
	v_subrev_nc_u32_e32 v118, 28, v117
	v_sub_nc_u32_e32 v117, 29, v117
	s_delay_alu instid0(VALU_DEP_2) | instskip(SKIP_1) | instid1(VALU_DEP_2)
	v_lshlrev_b32_e32 v118, v118, v115
	v_bfe_u32 v115, v115, 3, 4
	v_and_b32_e32 v118, 7, v118
	s_delay_alu instid0(VALU_DEP_2) | instskip(NEXT) | instid1(VALU_DEP_2)
	v_cmp_eq_u32_e32 vcc_lo, 0, v115
	v_dual_cndmask_b32 v115, v115, v117 :: v_dual_cndmask_b32 v116, v116, v118
	v_and_b32_e32 v117, 0x80000000, v119
	s_delay_alu instid0(VALU_DEP_2) | instskip(NEXT) | instid1(VALU_DEP_3)
	v_lshl_add_u32 v115, v115, 23, 0x3b800000
	v_lshlrev_b32_e32 v116, 20, v116
	s_delay_alu instid0(VALU_DEP_1)
	v_or3_b32 v116, v117, v115, v116
.LBB2_536:                              ;   in Loop: Header=BB2_143 Depth=2
	s_or_b32 exec_lo, exec_lo, s27
	s_mov_b32 s12, 0
	s_mov_b32 s28, exec_lo
                                        ; implicit-def: $sgpr27
	v_cmpx_lt_i16_e32 0x7f, v114
	s_xor_b32 s28, exec_lo, s28
	s_cbranch_execnz .LBB2_825
; %bb.537:                              ;   in Loop: Header=BB2_143 Depth=2
	s_or_saveexec_b32 s28, s28
	v_mov_b32_e32 v115, s27
	s_xor_b32 exec_lo, exec_lo, s28
	s_cbranch_execnz .LBB2_828
.LBB2_538:                              ;   in Loop: Header=BB2_143 Depth=2
	s_or_b32 exec_lo, exec_lo, s28
	s_and_saveexec_b32 s27, s12
	s_cbranch_execz .LBB2_540
.LBB2_539:                              ;   in Loop: Header=BB2_143 Depth=2
	v_and_b32_e32 v114, 0xffff, v114
	v_lshlrev_b32_e32 v119, 16, v13
	s_delay_alu instid0(VALU_DEP_2) | instskip(NEXT) | instid1(VALU_DEP_1)
	v_and_b32_e32 v115, 7, v114
	v_clz_i32_u32_e32 v117, v115
	s_delay_alu instid0(VALU_DEP_1) | instskip(NEXT) | instid1(VALU_DEP_1)
	v_min_u32_e32 v117, 32, v117
	v_subrev_nc_u32_e32 v118, 28, v117
	v_sub_nc_u32_e32 v117, 29, v117
	s_delay_alu instid0(VALU_DEP_2) | instskip(SKIP_1) | instid1(VALU_DEP_2)
	v_lshlrev_b32_e32 v118, v118, v114
	v_bfe_u32 v114, v114, 3, 4
	v_and_b32_e32 v118, 7, v118
	s_delay_alu instid0(VALU_DEP_2) | instskip(NEXT) | instid1(VALU_DEP_2)
	v_cmp_eq_u32_e32 vcc_lo, 0, v114
	v_dual_cndmask_b32 v114, v114, v117 :: v_dual_cndmask_b32 v115, v115, v118
	v_and_b32_e32 v117, 0x80000000, v119
	s_delay_alu instid0(VALU_DEP_2) | instskip(NEXT) | instid1(VALU_DEP_3)
	v_lshl_add_u32 v114, v114, 23, 0x3b800000
	v_lshlrev_b32_e32 v115, 20, v115
	s_delay_alu instid0(VALU_DEP_1)
	v_or3_b32 v115, v117, v114, v115
.LBB2_540:                              ;   in Loop: Header=BB2_143 Depth=2
	s_or_b32 exec_lo, exec_lo, s27
	s_delay_alu instid0(VALU_DEP_1) | instskip(NEXT) | instid1(VALU_DEP_1)
	v_dual_max_f32 v114, v115, v115 :: v_dual_max_f32 v115, v116, v116
	v_min_f32_e32 v116, v115, v114
.LBB2_541:                              ;   in Loop: Header=BB2_143 Depth=2
	s_delay_alu instid0(VALU_DEP_1) | instskip(NEXT) | instid1(VALU_DEP_1)
	v_and_b32_e32 v114, 0x7f800000, v116
	v_cmp_ne_u32_e32 vcc_lo, 0x7f800000, v114
	v_mov_b32_e32 v114, 0x80
	s_and_saveexec_b32 s27, vcc_lo
	s_cbranch_execz .LBB2_549
; %bb.542:                              ;   in Loop: Header=BB2_143 Depth=2
	v_mov_b32_e32 v114, 0
	s_mov_b32 s28, exec_lo
	v_cmpx_ne_u32_e32 0, v116
	s_cbranch_execz .LBB2_548
; %bb.543:                              ;   in Loop: Header=BB2_143 Depth=2
	v_bfe_u32 v114, v116, 23, 8
	v_and_b32_e32 v115, 0x7fffff, v116
	s_delay_alu instid0(VALU_DEP_2) | instskip(SKIP_1) | instid1(VALU_DEP_3)
	v_sub_nc_u32_e32 v117, 0x78, v114
	v_cmp_gt_u32_e32 vcc_lo, 0x79, v114
	v_or_b32_e32 v118, 0x800000, v115
	s_delay_alu instid0(VALU_DEP_3) | instskip(SKIP_2) | instid1(VALU_DEP_3)
	v_cndmask_b32_e32 v117, 0, v117, vcc_lo
	v_cmp_eq_u32_e32 vcc_lo, 0, v114
	v_add_nc_u32_e32 v114, 0xffffff89, v114
	v_cndmask_b32_e64 v117, v117, 0x77, vcc_lo
	v_cndmask_b32_e32 v115, v118, v115, vcc_lo
	s_delay_alu instid0(VALU_DEP_3) | instskip(NEXT) | instid1(VALU_DEP_3)
	v_cndmask_b32_e64 v114, v114, 0xffffff8a, vcc_lo
	v_lshl_add_u32 v118, 0x100000, v117, -1
	s_delay_alu instid0(VALU_DEP_3) | instskip(SKIP_1) | instid1(VALU_DEP_4)
	v_lshrrev_b32_e32 v119, v117, v115
	v_lshlrev_b32_e64 v129, v117, 0x80000
	v_add_nc_u32_e32 v117, v117, v114
	s_delay_alu instid0(VALU_DEP_4) | instskip(NEXT) | instid1(VALU_DEP_4)
	v_and_b32_e32 v115, v118, v115
	v_bfe_u32 v128, v119, 20, 1
	s_delay_alu instid0(VALU_DEP_2) | instskip(NEXT) | instid1(VALU_DEP_2)
	v_cmp_eq_u32_e64 s12, v115, v129
	v_add_nc_u32_e32 v118, -1, v128
	s_delay_alu instid0(VALU_DEP_1) | instskip(SKIP_2) | instid1(VALU_DEP_2)
	v_cndmask_b32_e64 v115, 0, v118, s12
	v_lshrrev_b32_e32 v118, 23, v119
	s_mov_b32 s12, exec_lo
	v_add_nc_u32_e32 v115, v115, v119
	s_delay_alu instid0(VALU_DEP_2) | instskip(NEXT) | instid1(VALU_DEP_2)
	v_xor_b32_e32 v118, 1, v118
	v_and_b32_e32 v114, 0xfffff, v115
	s_delay_alu instid0(VALU_DEP_1) | instskip(NEXT) | instid1(VALU_DEP_3)
	v_add_nc_u32_e32 v115, v114, v119
                                        ; implicit-def: $vgpr114
	v_cmpx_ne_u32_e64 v117, v118
	s_xor_b32 s12, exec_lo, s12
; %bb.544:                              ;   in Loop: Header=BB2_143 Depth=2
	s_delay_alu instid0(VALU_DEP_2) | instskip(SKIP_2) | instid1(VALU_DEP_2)
	v_cmp_lt_u32_e32 vcc_lo, 0xffffff, v115
	v_sub_nc_u32_e32 v114, v117, v118
	v_cndmask_b32_e64 v117, 0, 1, vcc_lo
	v_add_co_ci_u32_e32 v114, vcc_lo, 0, v114, vcc_lo
	s_delay_alu instid0(VALU_DEP_2)
	v_lshrrev_b32_e32 v115, v117, v115
; %bb.545:                              ;   in Loop: Header=BB2_143 Depth=2
	s_and_not1_saveexec_b32 s12, s12
; %bb.546:                              ;   in Loop: Header=BB2_143 Depth=2
	s_delay_alu instid0(VALU_DEP_1)
	v_bfe_u32 v114, v115, 23, 1
; %bb.547:                              ;   in Loop: Header=BB2_143 Depth=2
	s_or_b32 exec_lo, exec_lo, s12
	v_lshrrev_b32_e32 v115, 20, v115
	s_delay_alu instid0(VALU_DEP_2) | instskip(SKIP_2) | instid1(VALU_DEP_2)
	v_cmp_gt_i32_e32 vcc_lo, 16, v114
	v_lshrrev_b32_e32 v116, 24, v116
	v_min_i32_e32 v117, 15, v114
	v_dual_cndmask_b32 v115, 7, v115 :: v_dual_and_b32 v116, 0x80, v116
	s_delay_alu instid0(VALU_DEP_1) | instskip(SKIP_1) | instid1(VALU_DEP_2)
	v_or_b32_e32 v114, v114, v115
	v_and_b32_e32 v118, 7, v115
	v_cmp_ne_u32_e32 vcc_lo, 0, v114
	v_lshlrev_b32_e32 v117, 3, v117
	s_delay_alu instid0(VALU_DEP_1) | instskip(NEXT) | instid1(VALU_DEP_1)
	v_or3_b32 v115, v117, v116, v118
	v_cndmask_b32_e32 v114, 0, v115, vcc_lo
.LBB2_548:                              ;   in Loop: Header=BB2_143 Depth=2
	s_or_b32 exec_lo, exec_lo, s28
.LBB2_549:                              ;   in Loop: Header=BB2_143 Depth=2
	s_delay_alu instid0(SALU_CYCLE_1)
	s_or_b32 exec_lo, exec_lo, s27
	v_lshrrev_b32_e32 v116, 16, v17
	v_lshrrev_b32_e32 v115, 16, v13
	s_and_b32 vcc_lo, exec_lo, s26
	s_cbranch_vccz .LBB2_559
; %bb.550:                              ;   in Loop: Header=BB2_143 Depth=2
	s_delay_alu instid0(VALU_DEP_2) | instskip(SKIP_2) | instid1(VALU_DEP_1)
	v_and_b32_e32 v118, 0xff, v116
	s_mov_b32 s12, 0
	s_mov_b32 s28, exec_lo
                                        ; implicit-def: $sgpr27
	v_cmpx_lt_i16_e32 0x7f, v118
	s_xor_b32 s28, exec_lo, s28
	s_cbranch_execnz .LBB2_829
; %bb.551:                              ;   in Loop: Header=BB2_143 Depth=2
	s_or_saveexec_b32 s28, s28
	v_mov_b32_e32 v117, s27
	s_xor_b32 exec_lo, exec_lo, s28
	s_cbranch_execnz .LBB2_832
.LBB2_552:                              ;   in Loop: Header=BB2_143 Depth=2
	s_or_b32 exec_lo, exec_lo, s28
	s_and_saveexec_b32 s27, s12
	s_cbranch_execz .LBB2_554
.LBB2_553:                              ;   in Loop: Header=BB2_143 Depth=2
	v_bfe_u32 v117, v17, 16, 3
	v_bfe_u32 v128, v17, 19, 4
	v_lshlrev_b32_e32 v129, 24, v116
	s_delay_alu instid0(VALU_DEP_3) | instskip(NEXT) | instid1(VALU_DEP_3)
	v_clz_i32_u32_e32 v118, v117
	v_cmp_eq_u32_e32 vcc_lo, 0, v128
	s_delay_alu instid0(VALU_DEP_2) | instskip(NEXT) | instid1(VALU_DEP_1)
	v_min_u32_e32 v118, 32, v118
	v_subrev_nc_u32_e32 v119, 28, v118
	v_sub_nc_u32_e32 v118, 29, v118
	s_delay_alu instid0(VALU_DEP_1) | instskip(NEXT) | instid1(VALU_DEP_1)
	v_dual_cndmask_b32 v118, v128, v118 :: v_dual_lshlrev_b32 v119, v119, v116
	v_and_b32_e32 v119, 7, v119
	s_delay_alu instid0(VALU_DEP_2) | instskip(NEXT) | instid1(VALU_DEP_2)
	v_lshl_add_u32 v118, v118, 23, 0x3b800000
	v_cndmask_b32_e32 v117, v117, v119, vcc_lo
	v_and_b32_e32 v119, 0x80000000, v129
	s_delay_alu instid0(VALU_DEP_2) | instskip(NEXT) | instid1(VALU_DEP_1)
	v_lshlrev_b32_e32 v117, 20, v117
	v_or3_b32 v117, v119, v118, v117
.LBB2_554:                              ;   in Loop: Header=BB2_143 Depth=2
	s_or_b32 exec_lo, exec_lo, s27
	v_and_b32_e32 v119, 0xff, v115
	s_mov_b32 s12, 0
	s_mov_b32 s28, exec_lo
                                        ; implicit-def: $sgpr27
	s_delay_alu instid0(VALU_DEP_1)
	v_cmpx_lt_i16_e32 0x7f, v119
	s_xor_b32 s28, exec_lo, s28
	s_cbranch_execnz .LBB2_833
; %bb.555:                              ;   in Loop: Header=BB2_143 Depth=2
	s_or_saveexec_b32 s28, s28
	v_mov_b32_e32 v118, s27
	s_xor_b32 exec_lo, exec_lo, s28
	s_cbranch_execnz .LBB2_836
.LBB2_556:                              ;   in Loop: Header=BB2_143 Depth=2
	s_or_b32 exec_lo, exec_lo, s28
	s_and_saveexec_b32 s27, s12
	s_cbranch_execz .LBB2_558
.LBB2_557:                              ;   in Loop: Header=BB2_143 Depth=2
	v_bfe_u32 v118, v13, 16, 3
	v_bfe_u32 v129, v13, 19, 4
	v_lshlrev_b32_e32 v130, 24, v115
	s_delay_alu instid0(VALU_DEP_3) | instskip(NEXT) | instid1(VALU_DEP_3)
	v_clz_i32_u32_e32 v119, v118
	v_cmp_eq_u32_e32 vcc_lo, 0, v129
	s_delay_alu instid0(VALU_DEP_2) | instskip(NEXT) | instid1(VALU_DEP_1)
	v_min_u32_e32 v119, 32, v119
	v_subrev_nc_u32_e32 v128, 28, v119
	v_sub_nc_u32_e32 v119, 29, v119
	s_delay_alu instid0(VALU_DEP_2) | instskip(NEXT) | instid1(VALU_DEP_1)
	v_lshlrev_b32_e32 v128, v128, v115
	v_dual_cndmask_b32 v119, v129, v119 :: v_dual_and_b32 v128, 7, v128
	s_delay_alu instid0(VALU_DEP_1) | instskip(NEXT) | instid1(VALU_DEP_2)
	v_lshl_add_u32 v119, v119, 23, 0x3b800000
	v_cndmask_b32_e32 v118, v118, v128, vcc_lo
	v_and_b32_e32 v128, 0x80000000, v130
	s_delay_alu instid0(VALU_DEP_2) | instskip(NEXT) | instid1(VALU_DEP_1)
	v_lshlrev_b32_e32 v118, 20, v118
	v_or3_b32 v118, v128, v119, v118
.LBB2_558:                              ;   in Loop: Header=BB2_143 Depth=2
	s_or_b32 exec_lo, exec_lo, s27
	s_delay_alu instid0(VALU_DEP_1) | instskip(SKIP_1) | instid1(VALU_DEP_1)
	v_dual_max_f32 v118, v118, v118 :: v_dual_max_f32 v117, v117, v117
	s_mov_b32 s12, 0
	v_max_f32_e32 v117, v117, v118
	s_branch .LBB2_560
.LBB2_559:                              ;   in Loop: Header=BB2_143 Depth=2
	s_mov_b32 s12, -1
                                        ; implicit-def: $vgpr117
.LBB2_560:                              ;   in Loop: Header=BB2_143 Depth=2
	s_delay_alu instid0(SALU_CYCLE_1)
	s_and_b32 vcc_lo, exec_lo, s12
	s_cbranch_vccz .LBB2_570
; %bb.561:                              ;   in Loop: Header=BB2_143 Depth=2
	v_and_b32_e32 v118, 0xff, v116
	s_mov_b32 s12, 0
	s_mov_b32 s28, exec_lo
                                        ; implicit-def: $sgpr27
	s_delay_alu instid0(VALU_DEP_1)
	v_cmpx_lt_i16_e32 0x7f, v118
	s_xor_b32 s28, exec_lo, s28
	s_cbranch_execnz .LBB2_837
; %bb.562:                              ;   in Loop: Header=BB2_143 Depth=2
	s_or_saveexec_b32 s28, s28
	v_mov_b32_e32 v117, s27
	s_xor_b32 exec_lo, exec_lo, s28
	s_cbranch_execnz .LBB2_840
.LBB2_563:                              ;   in Loop: Header=BB2_143 Depth=2
	s_or_b32 exec_lo, exec_lo, s28
	s_and_saveexec_b32 s27, s12
	s_cbranch_execz .LBB2_565
.LBB2_564:                              ;   in Loop: Header=BB2_143 Depth=2
	v_bfe_u32 v117, v17, 16, 3
	v_bfe_u32 v128, v17, 19, 4
	s_delay_alu instid0(VALU_DEP_2) | instskip(NEXT) | instid1(VALU_DEP_2)
	v_clz_i32_u32_e32 v118, v117
	v_cmp_eq_u32_e32 vcc_lo, 0, v128
	s_delay_alu instid0(VALU_DEP_2) | instskip(NEXT) | instid1(VALU_DEP_1)
	v_min_u32_e32 v118, 32, v118
	v_subrev_nc_u32_e32 v119, 28, v118
	v_sub_nc_u32_e32 v118, 29, v118
	s_delay_alu instid0(VALU_DEP_1) | instskip(NEXT) | instid1(VALU_DEP_1)
	v_dual_cndmask_b32 v118, v128, v118 :: v_dual_lshlrev_b32 v119, v119, v116
	v_and_b32_e32 v119, 7, v119
	v_lshlrev_b32_e32 v116, 24, v116
	s_delay_alu instid0(VALU_DEP_3) | instskip(NEXT) | instid1(VALU_DEP_2)
	v_lshl_add_u32 v118, v118, 23, 0x3b800000
	v_dual_cndmask_b32 v117, v117, v119 :: v_dual_and_b32 v116, 0x80000000, v116
	s_delay_alu instid0(VALU_DEP_1) | instskip(NEXT) | instid1(VALU_DEP_1)
	v_lshlrev_b32_e32 v117, 20, v117
	v_or3_b32 v117, v116, v118, v117
.LBB2_565:                              ;   in Loop: Header=BB2_143 Depth=2
	s_or_b32 exec_lo, exec_lo, s27
	v_and_b32_e32 v118, 0xff, v115
	s_mov_b32 s12, 0
	s_mov_b32 s28, exec_lo
                                        ; implicit-def: $sgpr27
	s_delay_alu instid0(VALU_DEP_1)
	v_cmpx_lt_i16_e32 0x7f, v118
	s_xor_b32 s28, exec_lo, s28
	s_cbranch_execnz .LBB2_841
; %bb.566:                              ;   in Loop: Header=BB2_143 Depth=2
	s_or_saveexec_b32 s28, s28
	v_mov_b32_e32 v116, s27
	s_xor_b32 exec_lo, exec_lo, s28
	s_cbranch_execnz .LBB2_844
.LBB2_567:                              ;   in Loop: Header=BB2_143 Depth=2
	s_or_b32 exec_lo, exec_lo, s28
	s_and_saveexec_b32 s27, s12
	s_cbranch_execz .LBB2_569
.LBB2_568:                              ;   in Loop: Header=BB2_143 Depth=2
	v_bfe_u32 v116, v13, 16, 3
	v_bfe_u32 v128, v13, 19, 4
	s_delay_alu instid0(VALU_DEP_2) | instskip(NEXT) | instid1(VALU_DEP_2)
	v_clz_i32_u32_e32 v118, v116
	v_cmp_eq_u32_e32 vcc_lo, 0, v128
	s_delay_alu instid0(VALU_DEP_2) | instskip(NEXT) | instid1(VALU_DEP_1)
	v_min_u32_e32 v118, 32, v118
	v_subrev_nc_u32_e32 v119, 28, v118
	v_sub_nc_u32_e32 v118, 29, v118
	s_delay_alu instid0(VALU_DEP_1) | instskip(SKIP_1) | instid1(VALU_DEP_2)
	v_dual_cndmask_b32 v118, v128, v118 :: v_dual_lshlrev_b32 v119, v119, v115
	v_lshlrev_b32_e32 v115, 24, v115
	v_and_b32_e32 v119, 7, v119
	s_delay_alu instid0(VALU_DEP_3) | instskip(NEXT) | instid1(VALU_DEP_3)
	v_lshl_add_u32 v118, v118, 23, 0x3b800000
	v_and_b32_e32 v115, 0x80000000, v115
	s_delay_alu instid0(VALU_DEP_3) | instskip(NEXT) | instid1(VALU_DEP_1)
	v_cndmask_b32_e32 v116, v116, v119, vcc_lo
	v_lshlrev_b32_e32 v116, 20, v116
	s_delay_alu instid0(VALU_DEP_1)
	v_or3_b32 v116, v115, v118, v116
.LBB2_569:                              ;   in Loop: Header=BB2_143 Depth=2
	s_or_b32 exec_lo, exec_lo, s27
	s_delay_alu instid0(VALU_DEP_1) | instskip(NEXT) | instid1(VALU_DEP_1)
	v_dual_max_f32 v115, v116, v116 :: v_dual_max_f32 v116, v117, v117
	v_min_f32_e32 v117, v116, v115
.LBB2_570:                              ;   in Loop: Header=BB2_143 Depth=2
	s_delay_alu instid0(VALU_DEP_1) | instskip(NEXT) | instid1(VALU_DEP_1)
	v_and_b32_e32 v115, 0x7f800000, v117
	v_cmp_ne_u32_e32 vcc_lo, 0x7f800000, v115
	v_mov_b32_e32 v115, 0x80
	s_and_saveexec_b32 s27, vcc_lo
	s_cbranch_execz .LBB2_578
; %bb.571:                              ;   in Loop: Header=BB2_143 Depth=2
	v_mov_b32_e32 v115, 0
	s_mov_b32 s28, exec_lo
	v_cmpx_ne_u32_e32 0, v117
	s_cbranch_execz .LBB2_577
; %bb.572:                              ;   in Loop: Header=BB2_143 Depth=2
	v_bfe_u32 v115, v117, 23, 8
	v_and_b32_e32 v116, 0x7fffff, v117
	s_delay_alu instid0(VALU_DEP_2) | instskip(SKIP_1) | instid1(VALU_DEP_3)
	v_sub_nc_u32_e32 v118, 0x78, v115
	v_cmp_gt_u32_e32 vcc_lo, 0x79, v115
	v_or_b32_e32 v119, 0x800000, v116
	s_delay_alu instid0(VALU_DEP_3) | instskip(SKIP_2) | instid1(VALU_DEP_3)
	v_cndmask_b32_e32 v118, 0, v118, vcc_lo
	v_cmp_eq_u32_e32 vcc_lo, 0, v115
	v_add_nc_u32_e32 v115, 0xffffff89, v115
	v_cndmask_b32_e64 v118, v118, 0x77, vcc_lo
	v_cndmask_b32_e32 v116, v119, v116, vcc_lo
	s_delay_alu instid0(VALU_DEP_3) | instskip(NEXT) | instid1(VALU_DEP_3)
	v_cndmask_b32_e64 v115, v115, 0xffffff8a, vcc_lo
	v_lshl_add_u32 v119, 0x100000, v118, -1
	s_delay_alu instid0(VALU_DEP_3) | instskip(SKIP_1) | instid1(VALU_DEP_4)
	v_lshrrev_b32_e32 v128, v118, v116
	v_lshlrev_b32_e64 v130, v118, 0x80000
	v_add_nc_u32_e32 v118, v118, v115
	s_delay_alu instid0(VALU_DEP_4) | instskip(NEXT) | instid1(VALU_DEP_4)
	v_and_b32_e32 v116, v119, v116
	v_bfe_u32 v129, v128, 20, 1
	s_delay_alu instid0(VALU_DEP_2) | instskip(NEXT) | instid1(VALU_DEP_2)
	v_cmp_eq_u32_e64 s12, v116, v130
	v_add_nc_u32_e32 v119, -1, v129
	s_delay_alu instid0(VALU_DEP_1) | instskip(SKIP_2) | instid1(VALU_DEP_2)
	v_cndmask_b32_e64 v116, 0, v119, s12
	v_lshrrev_b32_e32 v119, 23, v128
	s_mov_b32 s12, exec_lo
	v_add_nc_u32_e32 v116, v116, v128
	s_delay_alu instid0(VALU_DEP_2) | instskip(NEXT) | instid1(VALU_DEP_2)
	v_xor_b32_e32 v119, 1, v119
	v_and_b32_e32 v115, 0xfffff, v116
	s_delay_alu instid0(VALU_DEP_1) | instskip(NEXT) | instid1(VALU_DEP_3)
	v_add_nc_u32_e32 v116, v115, v128
                                        ; implicit-def: $vgpr115
	v_cmpx_ne_u32_e64 v118, v119
	s_xor_b32 s12, exec_lo, s12
; %bb.573:                              ;   in Loop: Header=BB2_143 Depth=2
	s_delay_alu instid0(VALU_DEP_2) | instskip(SKIP_2) | instid1(VALU_DEP_2)
	v_cmp_lt_u32_e32 vcc_lo, 0xffffff, v116
	v_sub_nc_u32_e32 v115, v118, v119
	v_cndmask_b32_e64 v118, 0, 1, vcc_lo
	v_add_co_ci_u32_e32 v115, vcc_lo, 0, v115, vcc_lo
	s_delay_alu instid0(VALU_DEP_2)
	v_lshrrev_b32_e32 v116, v118, v116
; %bb.574:                              ;   in Loop: Header=BB2_143 Depth=2
	s_and_not1_saveexec_b32 s12, s12
; %bb.575:                              ;   in Loop: Header=BB2_143 Depth=2
	s_delay_alu instid0(VALU_DEP_1)
	v_bfe_u32 v115, v116, 23, 1
; %bb.576:                              ;   in Loop: Header=BB2_143 Depth=2
	s_or_b32 exec_lo, exec_lo, s12
	v_lshrrev_b32_e32 v116, 20, v116
	s_delay_alu instid0(VALU_DEP_2) | instskip(SKIP_2) | instid1(VALU_DEP_2)
	v_cmp_gt_i32_e32 vcc_lo, 16, v115
	v_lshrrev_b32_e32 v117, 24, v117
	v_min_i32_e32 v118, 15, v115
	v_dual_cndmask_b32 v116, 7, v116 :: v_dual_and_b32 v117, 0x80, v117
	s_delay_alu instid0(VALU_DEP_1) | instskip(SKIP_1) | instid1(VALU_DEP_2)
	v_or_b32_e32 v115, v115, v116
	v_and_b32_e32 v119, 7, v116
	v_cmp_ne_u32_e32 vcc_lo, 0, v115
	v_lshlrev_b32_e32 v118, 3, v118
	s_delay_alu instid0(VALU_DEP_1) | instskip(NEXT) | instid1(VALU_DEP_1)
	v_and_b32_e32 v118, 0xf8, v118
	v_or3_b32 v116, v118, v117, v119
	s_delay_alu instid0(VALU_DEP_1)
	v_cndmask_b32_e32 v115, 0, v116, vcc_lo
.LBB2_577:                              ;   in Loop: Header=BB2_143 Depth=2
	s_or_b32 exec_lo, exec_lo, s28
.LBB2_578:                              ;   in Loop: Header=BB2_143 Depth=2
	s_delay_alu instid0(SALU_CYCLE_1)
	s_or_b32 exec_lo, exec_lo, s27
	v_lshrrev_b32_e32 v117, 24, v17
	v_lshrrev_b32_e32 v116, 24, v13
	s_and_b32 vcc_lo, exec_lo, s26
	s_cbranch_vccz .LBB2_588
; %bb.579:                              ;   in Loop: Header=BB2_143 Depth=2
	s_mov_b32 s12, 0
	s_mov_b32 s28, exec_lo
                                        ; implicit-def: $sgpr27
	v_cmpx_lt_i16_e32 0x7f, v117
	s_xor_b32 s28, exec_lo, s28
	s_cbranch_execnz .LBB2_845
; %bb.580:                              ;   in Loop: Header=BB2_143 Depth=2
	s_or_saveexec_b32 s28, s28
	v_mov_b32_e32 v118, s27
	s_xor_b32 exec_lo, exec_lo, s28
	s_cbranch_execnz .LBB2_848
.LBB2_581:                              ;   in Loop: Header=BB2_143 Depth=2
	s_or_b32 exec_lo, exec_lo, s28
	s_and_saveexec_b32 s27, s12
	s_cbranch_execz .LBB2_583
.LBB2_582:                              ;   in Loop: Header=BB2_143 Depth=2
	v_bfe_u32 v118, v17, 24, 3
	v_bfe_u32 v129, v17, 27, 4
	s_delay_alu instid0(VALU_DEP_2) | instskip(NEXT) | instid1(VALU_DEP_2)
	v_clz_i32_u32_e32 v119, v118
	v_cmp_eq_u32_e32 vcc_lo, 0, v129
	s_delay_alu instid0(VALU_DEP_2) | instskip(NEXT) | instid1(VALU_DEP_1)
	v_min_u32_e32 v119, 32, v119
	v_subrev_nc_u32_e32 v128, 28, v119
	v_sub_nc_u32_e32 v119, 29, v119
	s_delay_alu instid0(VALU_DEP_1) | instskip(NEXT) | instid1(VALU_DEP_1)
	v_dual_cndmask_b32 v119, v129, v119 :: v_dual_lshlrev_b32 v128, v128, v117
	v_and_b32_e32 v128, 7, v128
	s_delay_alu instid0(VALU_DEP_2) | instskip(NEXT) | instid1(VALU_DEP_2)
	v_lshl_add_u32 v119, v119, 23, 0x3b800000
	v_cndmask_b32_e32 v118, v118, v128, vcc_lo
	v_and_b32_e32 v128, 0x80000000, v17
	s_delay_alu instid0(VALU_DEP_2) | instskip(NEXT) | instid1(VALU_DEP_1)
	v_lshlrev_b32_e32 v118, 20, v118
	v_or3_b32 v118, v128, v119, v118
.LBB2_583:                              ;   in Loop: Header=BB2_143 Depth=2
	s_or_b32 exec_lo, exec_lo, s27
	s_mov_b32 s12, 0
	s_mov_b32 s28, exec_lo
                                        ; implicit-def: $sgpr27
	v_cmpx_lt_i16_e32 0x7f, v116
	s_xor_b32 s28, exec_lo, s28
	s_cbranch_execnz .LBB2_849
; %bb.584:                              ;   in Loop: Header=BB2_143 Depth=2
	s_or_saveexec_b32 s28, s28
	v_mov_b32_e32 v119, s27
	s_xor_b32 exec_lo, exec_lo, s28
	s_cbranch_execnz .LBB2_852
.LBB2_585:                              ;   in Loop: Header=BB2_143 Depth=2
	s_or_b32 exec_lo, exec_lo, s28
	s_and_saveexec_b32 s27, s12
	s_cbranch_execz .LBB2_587
.LBB2_586:                              ;   in Loop: Header=BB2_143 Depth=2
	v_bfe_u32 v119, v13, 24, 3
	v_bfe_u32 v130, v13, 27, 4
	s_delay_alu instid0(VALU_DEP_2) | instskip(NEXT) | instid1(VALU_DEP_2)
	v_clz_i32_u32_e32 v128, v119
	v_cmp_eq_u32_e32 vcc_lo, 0, v130
	s_delay_alu instid0(VALU_DEP_2) | instskip(NEXT) | instid1(VALU_DEP_1)
	v_min_u32_e32 v128, 32, v128
	v_subrev_nc_u32_e32 v129, 28, v128
	v_sub_nc_u32_e32 v128, 29, v128
	s_delay_alu instid0(VALU_DEP_2) | instskip(NEXT) | instid1(VALU_DEP_1)
	v_lshlrev_b32_e32 v129, v129, v116
	v_dual_cndmask_b32 v128, v130, v128 :: v_dual_and_b32 v129, 7, v129
	s_delay_alu instid0(VALU_DEP_1) | instskip(NEXT) | instid1(VALU_DEP_2)
	v_lshl_add_u32 v128, v128, 23, 0x3b800000
	v_cndmask_b32_e32 v119, v119, v129, vcc_lo
	v_and_b32_e32 v129, 0x80000000, v13
	s_delay_alu instid0(VALU_DEP_2) | instskip(NEXT) | instid1(VALU_DEP_1)
	v_lshlrev_b32_e32 v119, 20, v119
	v_or3_b32 v119, v129, v128, v119
.LBB2_587:                              ;   in Loop: Header=BB2_143 Depth=2
	s_or_b32 exec_lo, exec_lo, s27
	s_delay_alu instid0(VALU_DEP_1) | instskip(SKIP_1) | instid1(VALU_DEP_1)
	v_dual_max_f32 v119, v119, v119 :: v_dual_max_f32 v118, v118, v118
	s_mov_b32 s12, 0
	v_max_f32_e32 v118, v118, v119
	s_branch .LBB2_589
.LBB2_588:                              ;   in Loop: Header=BB2_143 Depth=2
	s_mov_b32 s12, -1
                                        ; implicit-def: $vgpr118
.LBB2_589:                              ;   in Loop: Header=BB2_143 Depth=2
	s_delay_alu instid0(SALU_CYCLE_1)
	s_and_b32 vcc_lo, exec_lo, s12
	s_cbranch_vccz .LBB2_599
; %bb.590:                              ;   in Loop: Header=BB2_143 Depth=2
	s_mov_b32 s12, 0
	s_mov_b32 s28, exec_lo
                                        ; implicit-def: $sgpr27
	v_cmpx_lt_i16_e32 0x7f, v117
	s_xor_b32 s28, exec_lo, s28
	s_cbranch_execnz .LBB2_853
; %bb.591:                              ;   in Loop: Header=BB2_143 Depth=2
	s_or_saveexec_b32 s28, s28
	v_mov_b32_e32 v118, s27
	s_xor_b32 exec_lo, exec_lo, s28
	s_cbranch_execnz .LBB2_856
.LBB2_592:                              ;   in Loop: Header=BB2_143 Depth=2
	s_or_b32 exec_lo, exec_lo, s28
	s_and_saveexec_b32 s27, s12
	s_cbranch_execz .LBB2_594
.LBB2_593:                              ;   in Loop: Header=BB2_143 Depth=2
	v_bfe_u32 v118, v17, 24, 3
	s_delay_alu instid0(VALU_DEP_1) | instskip(NEXT) | instid1(VALU_DEP_1)
	v_clz_i32_u32_e32 v119, v118
	v_min_u32_e32 v119, 32, v119
	s_delay_alu instid0(VALU_DEP_1) | instskip(SKIP_1) | instid1(VALU_DEP_2)
	v_subrev_nc_u32_e32 v128, 28, v119
	v_sub_nc_u32_e32 v119, 29, v119
	v_lshlrev_b32_e32 v117, v128, v117
	v_bfe_u32 v128, v17, 27, 4
	v_and_b32_e32 v17, 0x80000000, v17
	s_delay_alu instid0(VALU_DEP_3) | instskip(NEXT) | instid1(VALU_DEP_3)
	v_and_b32_e32 v117, 7, v117
	v_cmp_eq_u32_e32 vcc_lo, 0, v128
	v_cndmask_b32_e32 v119, v128, v119, vcc_lo
	s_delay_alu instid0(VALU_DEP_3) | instskip(NEXT) | instid1(VALU_DEP_2)
	v_cndmask_b32_e32 v117, v118, v117, vcc_lo
	v_lshl_add_u32 v118, v119, 23, 0x3b800000
	s_delay_alu instid0(VALU_DEP_2) | instskip(NEXT) | instid1(VALU_DEP_1)
	v_lshlrev_b32_e32 v117, 20, v117
	v_or3_b32 v118, v17, v118, v117
.LBB2_594:                              ;   in Loop: Header=BB2_143 Depth=2
	s_or_b32 exec_lo, exec_lo, s27
	s_mov_b32 s12, 0
	s_mov_b32 s28, exec_lo
                                        ; implicit-def: $sgpr27
	v_cmpx_lt_i16_e32 0x7f, v116
	s_xor_b32 s28, exec_lo, s28
	s_cbranch_execnz .LBB2_857
; %bb.595:                              ;   in Loop: Header=BB2_143 Depth=2
	s_or_saveexec_b32 s28, s28
	v_mov_b32_e32 v17, s27
	s_xor_b32 exec_lo, exec_lo, s28
	s_cbranch_execnz .LBB2_860
.LBB2_596:                              ;   in Loop: Header=BB2_143 Depth=2
	s_or_b32 exec_lo, exec_lo, s28
	s_and_saveexec_b32 s27, s12
	s_cbranch_execz .LBB2_598
.LBB2_597:                              ;   in Loop: Header=BB2_143 Depth=2
	v_bfe_u32 v17, v13, 24, 3
	s_delay_alu instid0(VALU_DEP_1) | instskip(NEXT) | instid1(VALU_DEP_1)
	v_clz_i32_u32_e32 v117, v17
	v_min_u32_e32 v117, 32, v117
	s_delay_alu instid0(VALU_DEP_1) | instskip(SKIP_1) | instid1(VALU_DEP_2)
	v_subrev_nc_u32_e32 v119, 28, v117
	v_sub_nc_u32_e32 v117, 29, v117
	v_lshlrev_b32_e32 v116, v119, v116
	v_bfe_u32 v119, v13, 27, 4
	v_and_b32_e32 v13, 0x80000000, v13
	s_delay_alu instid0(VALU_DEP_2) | instskip(NEXT) | instid1(VALU_DEP_4)
	v_cmp_eq_u32_e32 vcc_lo, 0, v119
	v_dual_cndmask_b32 v117, v119, v117 :: v_dual_and_b32 v116, 7, v116
	s_delay_alu instid0(VALU_DEP_1) | instskip(NEXT) | instid1(VALU_DEP_2)
	v_cndmask_b32_e32 v17, v17, v116, vcc_lo
	v_lshl_add_u32 v116, v117, 23, 0x3b800000
	s_delay_alu instid0(VALU_DEP_2) | instskip(NEXT) | instid1(VALU_DEP_1)
	v_lshlrev_b32_e32 v17, 20, v17
	v_or3_b32 v17, v13, v116, v17
.LBB2_598:                              ;   in Loop: Header=BB2_143 Depth=2
	s_or_b32 exec_lo, exec_lo, s27
	s_delay_alu instid0(VALU_DEP_1) | instskip(SKIP_1) | instid1(VALU_DEP_1)
	v_max_f32_e32 v13, v17, v17
	v_max_f32_e32 v17, v118, v118
	v_min_f32_e32 v118, v17, v13
.LBB2_599:                              ;   in Loop: Header=BB2_143 Depth=2
	s_delay_alu instid0(VALU_DEP_1) | instskip(NEXT) | instid1(VALU_DEP_1)
	v_and_b32_e32 v13, 0x7f800000, v118
	v_cmp_ne_u32_e32 vcc_lo, 0x7f800000, v13
	v_mov_b32_e32 v13, 0x8000
	s_and_saveexec_b32 s27, vcc_lo
	s_cbranch_execz .LBB2_142
; %bb.600:                              ;   in Loop: Header=BB2_143 Depth=2
	v_mov_b32_e32 v13, 0
	s_mov_b32 s28, exec_lo
	v_cmpx_ne_u32_e32 0, v118
	s_cbranch_execz .LBB2_141
; %bb.601:                              ;   in Loop: Header=BB2_143 Depth=2
	v_bfe_u32 v13, v118, 23, 8
	s_delay_alu instid0(VALU_DEP_1) | instskip(SKIP_1) | instid1(VALU_DEP_2)
	v_sub_nc_u32_e32 v116, 0x78, v13
	v_cmp_gt_u32_e32 vcc_lo, 0x79, v13
	v_dual_cndmask_b32 v116, 0, v116 :: v_dual_and_b32 v17, 0x7fffff, v118
	s_delay_alu instid0(VALU_DEP_1) | instskip(SKIP_2) | instid1(VALU_DEP_4)
	v_or_b32_e32 v117, 0x800000, v17
	v_cmp_eq_u32_e32 vcc_lo, 0, v13
	v_add_nc_u32_e32 v13, 0xffffff89, v13
	v_cndmask_b32_e64 v116, v116, 0x77, vcc_lo
	s_delay_alu instid0(VALU_DEP_4) | instskip(NEXT) | instid1(VALU_DEP_3)
	v_cndmask_b32_e32 v17, v117, v17, vcc_lo
	v_cndmask_b32_e64 v13, v13, 0xffffff8a, vcc_lo
	s_delay_alu instid0(VALU_DEP_3) | instskip(NEXT) | instid1(VALU_DEP_3)
	v_lshl_add_u32 v117, 0x100000, v116, -1
	v_lshrrev_b32_e32 v119, v116, v17
	v_lshlrev_b32_e64 v129, v116, 0x80000
	s_delay_alu instid0(VALU_DEP_4) | instskip(NEXT) | instid1(VALU_DEP_4)
	v_add_nc_u32_e32 v116, v116, v13
	v_and_b32_e32 v17, v117, v17
	s_delay_alu instid0(VALU_DEP_4) | instskip(NEXT) | instid1(VALU_DEP_2)
	v_bfe_u32 v128, v119, 20, 1
	v_cmp_eq_u32_e64 s12, v17, v129
	s_delay_alu instid0(VALU_DEP_2) | instskip(NEXT) | instid1(VALU_DEP_1)
	v_add_nc_u32_e32 v117, -1, v128
	v_cndmask_b32_e64 v17, 0, v117, s12
	v_lshrrev_b32_e32 v117, 23, v119
	s_mov_b32 s12, exec_lo
	s_delay_alu instid0(VALU_DEP_2) | instskip(NEXT) | instid1(VALU_DEP_2)
	v_add_nc_u32_e32 v17, v17, v119
	v_xor_b32_e32 v117, 1, v117
	s_delay_alu instid0(VALU_DEP_2) | instskip(NEXT) | instid1(VALU_DEP_1)
	v_and_b32_e32 v13, 0xfffff, v17
	v_add_nc_u32_e32 v17, v13, v119
                                        ; implicit-def: $vgpr13
	s_delay_alu instid0(VALU_DEP_3)
	v_cmpx_ne_u32_e64 v116, v117
	s_xor_b32 s12, exec_lo, s12
; %bb.602:                              ;   in Loop: Header=BB2_143 Depth=2
	s_delay_alu instid0(VALU_DEP_2) | instskip(SKIP_2) | instid1(VALU_DEP_2)
	v_cmp_lt_u32_e32 vcc_lo, 0xffffff, v17
	v_sub_nc_u32_e32 v13, v116, v117
	v_cndmask_b32_e64 v116, 0, 1, vcc_lo
	v_add_co_ci_u32_e32 v13, vcc_lo, 0, v13, vcc_lo
	s_delay_alu instid0(VALU_DEP_2)
	v_lshrrev_b32_e32 v17, v116, v17
; %bb.603:                              ;   in Loop: Header=BB2_143 Depth=2
	s_and_not1_saveexec_b32 s12, s12
	s_cbranch_execz .LBB2_140
; %bb.604:                              ;   in Loop: Header=BB2_143 Depth=2
	s_delay_alu instid0(VALU_DEP_1)
	v_bfe_u32 v13, v17, 23, 1
	s_branch .LBB2_140
.LBB2_605:                              ;   in Loop: Header=BB2_143 Depth=2
	s_mov_b32 s12, -1
	s_mov_b32 s29, exec_lo
                                        ; implicit-def: $sgpr27
	v_cmpx_eq_u16_e32 0x80, v100
; %bb.606:                              ;   in Loop: Header=BB2_143 Depth=2
	s_mov_b32 s27, 0x7f800001
	s_xor_b32 s12, exec_lo, -1
; %bb.607:                              ;   in Loop: Header=BB2_143 Depth=2
	s_or_b32 exec_lo, exec_lo, s29
	s_delay_alu instid0(SALU_CYCLE_1)
	s_and_b32 s12, s12, exec_lo
                                        ; implicit-def: $vgpr100
	s_or_saveexec_b32 s28, s28
	v_mov_b32_e32 v97, s27
	s_xor_b32 exec_lo, exec_lo, s28
	s_cbranch_execz .LBB2_146
.LBB2_608:                              ;   in Loop: Header=BB2_143 Depth=2
	v_cmp_ne_u16_e32 vcc_lo, 0, v100
	v_mov_b32_e32 v97, 0
	s_and_not1_b32 s12, s12, exec_lo
	s_and_b32 s27, vcc_lo, exec_lo
	s_delay_alu instid0(SALU_CYCLE_1)
	s_or_b32 s12, s12, s27
	s_or_b32 exec_lo, exec_lo, s28
	s_and_saveexec_b32 s27, s12
	s_cbranch_execnz .LBB2_147
	s_branch .LBB2_148
.LBB2_609:                              ;   in Loop: Header=BB2_143 Depth=2
	s_mov_b32 s12, -1
	s_mov_b32 s29, exec_lo
                                        ; implicit-def: $sgpr27
	v_cmpx_eq_u16_e32 0x80, v101
; %bb.610:                              ;   in Loop: Header=BB2_143 Depth=2
	s_mov_b32 s27, 0x7f800001
	s_xor_b32 s12, exec_lo, -1
; %bb.611:                              ;   in Loop: Header=BB2_143 Depth=2
	s_or_b32 exec_lo, exec_lo, s29
	s_delay_alu instid0(SALU_CYCLE_1)
	s_and_b32 s12, s12, exec_lo
                                        ; implicit-def: $vgpr101
	s_or_saveexec_b32 s28, s28
	v_mov_b32_e32 v100, s27
	s_xor_b32 exec_lo, exec_lo, s28
	s_cbranch_execz .LBB2_150
.LBB2_612:                              ;   in Loop: Header=BB2_143 Depth=2
	v_cmp_ne_u16_e32 vcc_lo, 0, v101
	v_mov_b32_e32 v100, 0
	s_and_not1_b32 s12, s12, exec_lo
	s_and_b32 s27, vcc_lo, exec_lo
	s_delay_alu instid0(SALU_CYCLE_1)
	s_or_b32 s12, s12, s27
	s_or_b32 exec_lo, exec_lo, s28
	s_and_saveexec_b32 s27, s12
	s_cbranch_execnz .LBB2_151
	s_branch .LBB2_152
.LBB2_613:                              ;   in Loop: Header=BB2_143 Depth=2
	s_mov_b32 s12, -1
	s_mov_b32 s29, exec_lo
                                        ; implicit-def: $sgpr27
	v_cmpx_eq_u16_e32 0x80, v100
; %bb.614:                              ;   in Loop: Header=BB2_143 Depth=2
	s_mov_b32 s27, 0x7f800001
	s_xor_b32 s12, exec_lo, -1
; %bb.615:                              ;   in Loop: Header=BB2_143 Depth=2
	s_or_b32 exec_lo, exec_lo, s29
	s_delay_alu instid0(SALU_CYCLE_1)
	s_and_b32 s12, s12, exec_lo
                                        ; implicit-def: $vgpr100
	s_or_saveexec_b32 s28, s28
	v_mov_b32_e32 v97, s27
	s_xor_b32 exec_lo, exec_lo, s28
	s_cbranch_execz .LBB2_157
.LBB2_616:                              ;   in Loop: Header=BB2_143 Depth=2
	v_cmp_ne_u16_e32 vcc_lo, 0, v100
	v_mov_b32_e32 v97, 0
	s_and_not1_b32 s12, s12, exec_lo
	s_and_b32 s27, vcc_lo, exec_lo
	s_delay_alu instid0(SALU_CYCLE_1)
	s_or_b32 s12, s12, s27
	s_or_b32 exec_lo, exec_lo, s28
	s_and_saveexec_b32 s27, s12
	s_cbranch_execnz .LBB2_158
	s_branch .LBB2_159
.LBB2_617:                              ;   in Loop: Header=BB2_143 Depth=2
	s_mov_b32 s12, -1
	s_mov_b32 s29, exec_lo
                                        ; implicit-def: $sgpr27
	v_cmpx_eq_u16_e32 0x80, v101
; %bb.618:                              ;   in Loop: Header=BB2_143 Depth=2
	s_mov_b32 s27, 0x7f800001
	s_xor_b32 s12, exec_lo, -1
; %bb.619:                              ;   in Loop: Header=BB2_143 Depth=2
	s_or_b32 exec_lo, exec_lo, s29
	s_delay_alu instid0(SALU_CYCLE_1)
	s_and_b32 s12, s12, exec_lo
                                        ; implicit-def: $vgpr101
	s_or_saveexec_b32 s28, s28
	v_mov_b32_e32 v100, s27
	s_xor_b32 exec_lo, exec_lo, s28
	s_cbranch_execz .LBB2_161
.LBB2_620:                              ;   in Loop: Header=BB2_143 Depth=2
	v_cmp_ne_u16_e32 vcc_lo, 0, v101
	v_mov_b32_e32 v100, 0
	s_and_not1_b32 s12, s12, exec_lo
	s_and_b32 s27, vcc_lo, exec_lo
	s_delay_alu instid0(SALU_CYCLE_1)
	s_or_b32 s12, s12, s27
	s_or_b32 exec_lo, exec_lo, s28
	s_and_saveexec_b32 s27, s12
	s_cbranch_execnz .LBB2_162
	s_branch .LBB2_163
.LBB2_621:                              ;   in Loop: Header=BB2_143 Depth=2
	s_mov_b32 s12, -1
	s_mov_b32 s29, exec_lo
                                        ; implicit-def: $sgpr27
	v_cmpx_eq_u16_e32 0x80, v101
; %bb.622:                              ;   in Loop: Header=BB2_143 Depth=2
	s_mov_b32 s27, 0x7f800001
	s_xor_b32 s12, exec_lo, -1
; %bb.623:                              ;   in Loop: Header=BB2_143 Depth=2
	s_or_b32 exec_lo, exec_lo, s29
	s_delay_alu instid0(SALU_CYCLE_1)
	s_and_b32 s12, s12, exec_lo
	s_or_saveexec_b32 s28, s28
	v_mov_b32_e32 v102, s27
	s_xor_b32 exec_lo, exec_lo, s28
	s_cbranch_execz .LBB2_175
.LBB2_624:                              ;   in Loop: Header=BB2_143 Depth=2
	v_cmp_ne_u16_e32 vcc_lo, 0, v101
	v_mov_b32_e32 v102, 0
	s_and_not1_b32 s12, s12, exec_lo
	s_and_b32 s27, vcc_lo, exec_lo
	s_delay_alu instid0(SALU_CYCLE_1)
	s_or_b32 s12, s12, s27
	s_or_b32 exec_lo, exec_lo, s28
	s_and_saveexec_b32 s27, s12
	s_cbranch_execnz .LBB2_176
	s_branch .LBB2_177
.LBB2_625:                              ;   in Loop: Header=BB2_143 Depth=2
	s_mov_b32 s12, -1
	s_mov_b32 s29, exec_lo
                                        ; implicit-def: $sgpr27
	v_cmpx_eq_u16_e32 0x80, v100
; %bb.626:                              ;   in Loop: Header=BB2_143 Depth=2
	s_mov_b32 s27, 0x7f800001
	s_xor_b32 s12, exec_lo, -1
; %bb.627:                              ;   in Loop: Header=BB2_143 Depth=2
	s_or_b32 exec_lo, exec_lo, s29
	s_delay_alu instid0(SALU_CYCLE_1)
	s_and_b32 s12, s12, exec_lo
	s_or_saveexec_b32 s28, s28
	v_mov_b32_e32 v103, s27
	s_xor_b32 exec_lo, exec_lo, s28
	s_cbranch_execz .LBB2_179
.LBB2_628:                              ;   in Loop: Header=BB2_143 Depth=2
	v_cmp_ne_u16_e32 vcc_lo, 0, v100
	v_mov_b32_e32 v103, 0
	s_and_not1_b32 s12, s12, exec_lo
	s_and_b32 s27, vcc_lo, exec_lo
	s_delay_alu instid0(SALU_CYCLE_1)
	s_or_b32 s12, s12, s27
	s_or_b32 exec_lo, exec_lo, s28
	s_and_saveexec_b32 s27, s12
	s_cbranch_execnz .LBB2_180
	s_branch .LBB2_181
.LBB2_629:                              ;   in Loop: Header=BB2_143 Depth=2
	s_mov_b32 s12, -1
	s_mov_b32 s29, exec_lo
                                        ; implicit-def: $sgpr27
	v_cmpx_eq_u16_e32 0x80, v101
; %bb.630:                              ;   in Loop: Header=BB2_143 Depth=2
	s_mov_b32 s27, 0x7f800001
	s_xor_b32 s12, exec_lo, -1
; %bb.631:                              ;   in Loop: Header=BB2_143 Depth=2
	s_or_b32 exec_lo, exec_lo, s29
	s_delay_alu instid0(SALU_CYCLE_1)
	s_and_b32 s12, s12, exec_lo
	s_or_saveexec_b32 s28, s28
	v_mov_b32_e32 v102, s27
	s_xor_b32 exec_lo, exec_lo, s28
	s_cbranch_execz .LBB2_186
.LBB2_632:                              ;   in Loop: Header=BB2_143 Depth=2
	v_cmp_ne_u16_e32 vcc_lo, 0, v101
	v_mov_b32_e32 v102, 0
	s_and_not1_b32 s12, s12, exec_lo
	s_and_b32 s27, vcc_lo, exec_lo
	s_delay_alu instid0(SALU_CYCLE_1)
	s_or_b32 s12, s12, s27
	s_or_b32 exec_lo, exec_lo, s28
	s_and_saveexec_b32 s27, s12
	s_cbranch_execnz .LBB2_187
	s_branch .LBB2_188
.LBB2_633:                              ;   in Loop: Header=BB2_143 Depth=2
	s_mov_b32 s12, -1
	s_mov_b32 s29, exec_lo
                                        ; implicit-def: $sgpr27
	v_cmpx_eq_u16_e32 0x80, v100
; %bb.634:                              ;   in Loop: Header=BB2_143 Depth=2
	s_mov_b32 s27, 0x7f800001
	s_xor_b32 s12, exec_lo, -1
; %bb.635:                              ;   in Loop: Header=BB2_143 Depth=2
	s_or_b32 exec_lo, exec_lo, s29
	s_delay_alu instid0(SALU_CYCLE_1)
	s_and_b32 s12, s12, exec_lo
	s_or_saveexec_b32 s28, s28
	v_mov_b32_e32 v101, s27
	s_xor_b32 exec_lo, exec_lo, s28
	s_cbranch_execz .LBB2_190
.LBB2_636:                              ;   in Loop: Header=BB2_143 Depth=2
	v_cmp_ne_u16_e32 vcc_lo, 0, v100
	v_mov_b32_e32 v101, 0
	s_and_not1_b32 s12, s12, exec_lo
	s_and_b32 s27, vcc_lo, exec_lo
	s_delay_alu instid0(SALU_CYCLE_1)
	s_or_b32 s12, s12, s27
	s_or_b32 exec_lo, exec_lo, s28
	s_and_saveexec_b32 s27, s12
	s_cbranch_execnz .LBB2_191
	s_branch .LBB2_192
.LBB2_637:                              ;   in Loop: Header=BB2_143 Depth=2
	s_mov_b32 s12, -1
	s_mov_b32 s29, exec_lo
                                        ; implicit-def: $sgpr27
	v_cmpx_eq_u16_e32 0x80, v112
; %bb.638:                              ;   in Loop: Header=BB2_143 Depth=2
	s_mov_b32 s27, 0x7f800001
	s_xor_b32 s12, exec_lo, -1
; %bb.639:                              ;   in Loop: Header=BB2_143 Depth=2
	s_or_b32 exec_lo, exec_lo, s29
	s_delay_alu instid0(SALU_CYCLE_1)
	s_and_b32 s12, s12, exec_lo
                                        ; implicit-def: $vgpr112
	s_or_saveexec_b32 s28, s28
	v_mov_b32_e32 v103, s27
	s_xor_b32 exec_lo, exec_lo, s28
	s_cbranch_execz .LBB2_204
.LBB2_640:                              ;   in Loop: Header=BB2_143 Depth=2
	v_cmp_ne_u16_e32 vcc_lo, 0, v112
	v_mov_b32_e32 v103, 0
	s_and_not1_b32 s12, s12, exec_lo
	s_and_b32 s27, vcc_lo, exec_lo
	s_delay_alu instid0(SALU_CYCLE_1)
	s_or_b32 s12, s12, s27
	s_or_b32 exec_lo, exec_lo, s28
	s_and_saveexec_b32 s27, s12
	s_cbranch_execnz .LBB2_205
	s_branch .LBB2_206
.LBB2_641:                              ;   in Loop: Header=BB2_143 Depth=2
	s_mov_b32 s12, -1
	s_mov_b32 s29, exec_lo
                                        ; implicit-def: $sgpr27
	v_cmpx_eq_u16_e32 0x80, v113
; %bb.642:                              ;   in Loop: Header=BB2_143 Depth=2
	s_mov_b32 s27, 0x7f800001
	s_xor_b32 s12, exec_lo, -1
; %bb.643:                              ;   in Loop: Header=BB2_143 Depth=2
	s_or_b32 exec_lo, exec_lo, s29
	s_delay_alu instid0(SALU_CYCLE_1)
	s_and_b32 s12, s12, exec_lo
                                        ; implicit-def: $vgpr113
	s_or_saveexec_b32 s28, s28
	v_mov_b32_e32 v112, s27
	s_xor_b32 exec_lo, exec_lo, s28
	s_cbranch_execz .LBB2_208
.LBB2_644:                              ;   in Loop: Header=BB2_143 Depth=2
	v_cmp_ne_u16_e32 vcc_lo, 0, v113
	v_mov_b32_e32 v112, 0
	s_and_not1_b32 s12, s12, exec_lo
	s_and_b32 s27, vcc_lo, exec_lo
	s_delay_alu instid0(SALU_CYCLE_1)
	s_or_b32 s12, s12, s27
	s_or_b32 exec_lo, exec_lo, s28
	s_and_saveexec_b32 s27, s12
	s_cbranch_execnz .LBB2_209
	s_branch .LBB2_210
.LBB2_645:                              ;   in Loop: Header=BB2_143 Depth=2
	s_mov_b32 s12, -1
	s_mov_b32 s29, exec_lo
                                        ; implicit-def: $sgpr27
	v_cmpx_eq_u16_e32 0x80, v112
; %bb.646:                              ;   in Loop: Header=BB2_143 Depth=2
	s_mov_b32 s27, 0x7f800001
	s_xor_b32 s12, exec_lo, -1
; %bb.647:                              ;   in Loop: Header=BB2_143 Depth=2
	s_or_b32 exec_lo, exec_lo, s29
	s_delay_alu instid0(SALU_CYCLE_1)
	s_and_b32 s12, s12, exec_lo
                                        ; implicit-def: $vgpr112
	s_or_saveexec_b32 s28, s28
	v_mov_b32_e32 v103, s27
	s_xor_b32 exec_lo, exec_lo, s28
	s_cbranch_execz .LBB2_215
.LBB2_648:                              ;   in Loop: Header=BB2_143 Depth=2
	v_cmp_ne_u16_e32 vcc_lo, 0, v112
	v_mov_b32_e32 v103, 0
	s_and_not1_b32 s12, s12, exec_lo
	s_and_b32 s27, vcc_lo, exec_lo
	s_delay_alu instid0(SALU_CYCLE_1)
	s_or_b32 s12, s12, s27
	s_or_b32 exec_lo, exec_lo, s28
	s_and_saveexec_b32 s27, s12
	s_cbranch_execnz .LBB2_216
	s_branch .LBB2_217
.LBB2_649:                              ;   in Loop: Header=BB2_143 Depth=2
	s_mov_b32 s12, -1
	s_mov_b32 s29, exec_lo
                                        ; implicit-def: $sgpr27
	v_cmpx_eq_u16_e32 0x80, v112
; %bb.650:                              ;   in Loop: Header=BB2_143 Depth=2
	s_mov_b32 s27, 0x7f800001
	s_xor_b32 s12, exec_lo, -1
; %bb.651:                              ;   in Loop: Header=BB2_143 Depth=2
	s_or_b32 exec_lo, exec_lo, s29
	s_delay_alu instid0(SALU_CYCLE_1)
	s_and_b32 s12, s12, exec_lo
                                        ; implicit-def: $vgpr112
	s_or_saveexec_b32 s28, s28
	v_mov_b32_e32 v102, s27
	s_xor_b32 exec_lo, exec_lo, s28
	s_cbranch_execz .LBB2_219
.LBB2_652:                              ;   in Loop: Header=BB2_143 Depth=2
	v_cmp_ne_u16_e32 vcc_lo, 0, v112
	v_mov_b32_e32 v102, 0
	s_and_not1_b32 s12, s12, exec_lo
	s_and_b32 s27, vcc_lo, exec_lo
	s_delay_alu instid0(SALU_CYCLE_1)
	s_or_b32 s12, s12, s27
	s_or_b32 exec_lo, exec_lo, s28
	s_and_saveexec_b32 s27, s12
	s_cbranch_execnz .LBB2_220
	s_branch .LBB2_221
.LBB2_653:                              ;   in Loop: Header=BB2_143 Depth=2
	s_mov_b32 s12, -1
	s_mov_b32 s29, exec_lo
                                        ; implicit-def: $sgpr27
	v_cmpx_eq_u16_e32 0x80, v103
; %bb.654:                              ;   in Loop: Header=BB2_143 Depth=2
	s_mov_b32 s27, 0x7f800001
	s_xor_b32 s12, exec_lo, -1
; %bb.655:                              ;   in Loop: Header=BB2_143 Depth=2
	s_or_b32 exec_lo, exec_lo, s29
	s_delay_alu instid0(SALU_CYCLE_1)
	s_and_b32 s12, s12, exec_lo
	s_or_saveexec_b32 s28, s28
	v_mov_b32_e32 v112, s27
	s_xor_b32 exec_lo, exec_lo, s28
	s_cbranch_execz .LBB2_233
.LBB2_656:                              ;   in Loop: Header=BB2_143 Depth=2
	v_cmp_ne_u16_e32 vcc_lo, 0, v103
	v_mov_b32_e32 v112, 0
	s_and_not1_b32 s12, s12, exec_lo
	s_and_b32 s27, vcc_lo, exec_lo
	s_delay_alu instid0(SALU_CYCLE_1)
	s_or_b32 s12, s12, s27
	s_or_b32 exec_lo, exec_lo, s28
	s_and_saveexec_b32 s27, s12
	s_cbranch_execnz .LBB2_234
	s_branch .LBB2_235
.LBB2_657:                              ;   in Loop: Header=BB2_143 Depth=2
	s_mov_b32 s12, -1
	s_mov_b32 s29, exec_lo
                                        ; implicit-def: $sgpr27
	v_cmpx_eq_u16_e32 0x80, v102
; %bb.658:                              ;   in Loop: Header=BB2_143 Depth=2
	s_mov_b32 s27, 0x7f800001
	s_xor_b32 s12, exec_lo, -1
; %bb.659:                              ;   in Loop: Header=BB2_143 Depth=2
	s_or_b32 exec_lo, exec_lo, s29
	s_delay_alu instid0(SALU_CYCLE_1)
	s_and_b32 s12, s12, exec_lo
	s_or_saveexec_b32 s28, s28
	v_mov_b32_e32 v113, s27
	s_xor_b32 exec_lo, exec_lo, s28
	s_cbranch_execz .LBB2_237
.LBB2_660:                              ;   in Loop: Header=BB2_143 Depth=2
	v_cmp_ne_u16_e32 vcc_lo, 0, v102
	v_mov_b32_e32 v113, 0
	s_and_not1_b32 s12, s12, exec_lo
	s_and_b32 s27, vcc_lo, exec_lo
	s_delay_alu instid0(SALU_CYCLE_1)
	s_or_b32 s12, s12, s27
	s_or_b32 exec_lo, exec_lo, s28
	s_and_saveexec_b32 s27, s12
	s_cbranch_execnz .LBB2_238
	s_branch .LBB2_239
.LBB2_661:                              ;   in Loop: Header=BB2_143 Depth=2
	s_mov_b32 s12, -1
	s_mov_b32 s29, exec_lo
                                        ; implicit-def: $sgpr27
	v_cmpx_eq_u16_e32 0x80, v103
; %bb.662:                              ;   in Loop: Header=BB2_143 Depth=2
	s_mov_b32 s27, 0x7f800001
	s_xor_b32 s12, exec_lo, -1
; %bb.663:                              ;   in Loop: Header=BB2_143 Depth=2
	s_or_b32 exec_lo, exec_lo, s29
	s_delay_alu instid0(SALU_CYCLE_1)
	s_and_b32 s12, s12, exec_lo
	s_or_saveexec_b32 s28, s28
	v_mov_b32_e32 v112, s27
	s_xor_b32 exec_lo, exec_lo, s28
	s_cbranch_execz .LBB2_244
.LBB2_664:                              ;   in Loop: Header=BB2_143 Depth=2
	v_cmp_ne_u16_e32 vcc_lo, 0, v103
	v_mov_b32_e32 v112, 0
	s_and_not1_b32 s12, s12, exec_lo
	s_and_b32 s27, vcc_lo, exec_lo
	s_delay_alu instid0(SALU_CYCLE_1)
	s_or_b32 s12, s12, s27
	s_or_b32 exec_lo, exec_lo, s28
	s_and_saveexec_b32 s27, s12
	s_cbranch_execnz .LBB2_245
	s_branch .LBB2_246
.LBB2_665:                              ;   in Loop: Header=BB2_143 Depth=2
	s_mov_b32 s12, -1
	s_mov_b32 s29, exec_lo
                                        ; implicit-def: $sgpr27
	v_cmpx_eq_u16_e32 0x80, v102
; %bb.666:                              ;   in Loop: Header=BB2_143 Depth=2
	s_mov_b32 s27, 0x7f800001
	s_xor_b32 s12, exec_lo, -1
; %bb.667:                              ;   in Loop: Header=BB2_143 Depth=2
	s_or_b32 exec_lo, exec_lo, s29
	s_delay_alu instid0(SALU_CYCLE_1)
	s_and_b32 s12, s12, exec_lo
	s_or_saveexec_b32 s28, s28
	v_mov_b32_e32 v14, s27
	s_xor_b32 exec_lo, exec_lo, s28
	s_cbranch_execz .LBB2_248
.LBB2_668:                              ;   in Loop: Header=BB2_143 Depth=2
	v_cmp_ne_u16_e32 vcc_lo, 0, v102
	v_mov_b32_e32 v14, 0
	s_and_not1_b32 s12, s12, exec_lo
	s_and_b32 s27, vcc_lo, exec_lo
	s_delay_alu instid0(SALU_CYCLE_1)
	s_or_b32 s12, s12, s27
	s_or_b32 exec_lo, exec_lo, s28
	s_and_saveexec_b32 s27, s12
	s_cbranch_execnz .LBB2_249
	s_branch .LBB2_250
.LBB2_669:                              ;   in Loop: Header=BB2_143 Depth=2
	s_mov_b32 s12, -1
	s_mov_b32 s29, exec_lo
                                        ; implicit-def: $sgpr27
	v_cmpx_eq_u16_e32 0x80, v102
; %bb.670:                              ;   in Loop: Header=BB2_143 Depth=2
	s_mov_b32 s27, 0x7f800001
	s_xor_b32 s12, exec_lo, -1
; %bb.671:                              ;   in Loop: Header=BB2_143 Depth=2
	s_or_b32 exec_lo, exec_lo, s29
	s_delay_alu instid0(SALU_CYCLE_1)
	s_and_b32 s12, s12, exec_lo
                                        ; implicit-def: $vgpr102
	s_or_saveexec_b32 s28, s28
	v_mov_b32_e32 v14, s27
	s_xor_b32 exec_lo, exec_lo, s28
	s_cbranch_execz .LBB2_262
.LBB2_672:                              ;   in Loop: Header=BB2_143 Depth=2
	v_cmp_ne_u16_e32 vcc_lo, 0, v102
	v_mov_b32_e32 v14, 0
	s_and_not1_b32 s12, s12, exec_lo
	s_and_b32 s27, vcc_lo, exec_lo
	s_delay_alu instid0(SALU_CYCLE_1)
	s_or_b32 s12, s12, s27
	s_or_b32 exec_lo, exec_lo, s28
	s_and_saveexec_b32 s27, s12
	s_cbranch_execnz .LBB2_263
	s_branch .LBB2_264
.LBB2_673:                              ;   in Loop: Header=BB2_143 Depth=2
	s_mov_b32 s12, -1
	s_mov_b32 s29, exec_lo
                                        ; implicit-def: $sgpr27
	v_cmpx_eq_u16_e32 0x80, v103
; %bb.674:                              ;   in Loop: Header=BB2_143 Depth=2
	s_mov_b32 s27, 0x7f800001
	s_xor_b32 s12, exec_lo, -1
; %bb.675:                              ;   in Loop: Header=BB2_143 Depth=2
	s_or_b32 exec_lo, exec_lo, s29
	s_delay_alu instid0(SALU_CYCLE_1)
	s_and_b32 s12, s12, exec_lo
                                        ; implicit-def: $vgpr103
	s_or_saveexec_b32 s28, s28
	v_mov_b32_e32 v102, s27
	s_xor_b32 exec_lo, exec_lo, s28
	s_cbranch_execz .LBB2_266
.LBB2_676:                              ;   in Loop: Header=BB2_143 Depth=2
	v_cmp_ne_u16_e32 vcc_lo, 0, v103
	v_mov_b32_e32 v102, 0
	s_and_not1_b32 s12, s12, exec_lo
	s_and_b32 s27, vcc_lo, exec_lo
	s_delay_alu instid0(SALU_CYCLE_1)
	s_or_b32 s12, s12, s27
	s_or_b32 exec_lo, exec_lo, s28
	s_and_saveexec_b32 s27, s12
	s_cbranch_execnz .LBB2_267
	s_branch .LBB2_268
.LBB2_677:                              ;   in Loop: Header=BB2_143 Depth=2
	s_mov_b32 s12, -1
	s_mov_b32 s29, exec_lo
                                        ; implicit-def: $sgpr27
	v_cmpx_eq_u16_e32 0x80, v102
; %bb.678:                              ;   in Loop: Header=BB2_143 Depth=2
	s_mov_b32 s27, 0x7f800001
	s_xor_b32 s12, exec_lo, -1
; %bb.679:                              ;   in Loop: Header=BB2_143 Depth=2
	s_or_b32 exec_lo, exec_lo, s29
	s_delay_alu instid0(SALU_CYCLE_1)
	s_and_b32 s12, s12, exec_lo
                                        ; implicit-def: $vgpr102
	s_or_saveexec_b32 s28, s28
	v_mov_b32_e32 v14, s27
	s_xor_b32 exec_lo, exec_lo, s28
	s_cbranch_execz .LBB2_273
.LBB2_680:                              ;   in Loop: Header=BB2_143 Depth=2
	v_cmp_ne_u16_e32 vcc_lo, 0, v102
	v_mov_b32_e32 v14, 0
	s_and_not1_b32 s12, s12, exec_lo
	s_and_b32 s27, vcc_lo, exec_lo
	s_delay_alu instid0(SALU_CYCLE_1)
	s_or_b32 s12, s12, s27
	s_or_b32 exec_lo, exec_lo, s28
	s_and_saveexec_b32 s27, s12
	s_cbranch_execnz .LBB2_274
	s_branch .LBB2_275
.LBB2_681:                              ;   in Loop: Header=BB2_143 Depth=2
	s_mov_b32 s12, -1
	s_mov_b32 s29, exec_lo
                                        ; implicit-def: $sgpr27
	v_cmpx_eq_u16_e32 0x80, v103
; %bb.682:                              ;   in Loop: Header=BB2_143 Depth=2
	s_mov_b32 s27, 0x7f800001
	s_xor_b32 s12, exec_lo, -1
; %bb.683:                              ;   in Loop: Header=BB2_143 Depth=2
	s_or_b32 exec_lo, exec_lo, s29
	s_delay_alu instid0(SALU_CYCLE_1)
	s_and_b32 s12, s12, exec_lo
                                        ; implicit-def: $vgpr103
	s_or_saveexec_b32 s28, s28
	v_mov_b32_e32 v102, s27
	s_xor_b32 exec_lo, exec_lo, s28
	s_cbranch_execz .LBB2_277
.LBB2_684:                              ;   in Loop: Header=BB2_143 Depth=2
	v_cmp_ne_u16_e32 vcc_lo, 0, v103
	v_mov_b32_e32 v102, 0
	s_and_not1_b32 s12, s12, exec_lo
	s_and_b32 s27, vcc_lo, exec_lo
	s_delay_alu instid0(SALU_CYCLE_1)
	s_or_b32 s12, s12, s27
	s_or_b32 exec_lo, exec_lo, s28
	s_and_saveexec_b32 s27, s12
	s_cbranch_execnz .LBB2_278
	s_branch .LBB2_279
.LBB2_685:                              ;   in Loop: Header=BB2_143 Depth=2
	s_mov_b32 s12, -1
	s_mov_b32 s29, exec_lo
                                        ; implicit-def: $sgpr27
	v_cmpx_eq_u16_e32 0x80, v103
; %bb.686:                              ;   in Loop: Header=BB2_143 Depth=2
	s_mov_b32 s27, 0x7f800001
	s_xor_b32 s12, exec_lo, -1
; %bb.687:                              ;   in Loop: Header=BB2_143 Depth=2
	s_or_b32 exec_lo, exec_lo, s29
	s_delay_alu instid0(SALU_CYCLE_1)
	s_and_b32 s12, s12, exec_lo
	s_or_saveexec_b32 s28, s28
	v_mov_b32_e32 v112, s27
	s_xor_b32 exec_lo, exec_lo, s28
	s_cbranch_execz .LBB2_291
.LBB2_688:                              ;   in Loop: Header=BB2_143 Depth=2
	v_cmp_ne_u16_e32 vcc_lo, 0, v103
	v_mov_b32_e32 v112, 0
	s_and_not1_b32 s12, s12, exec_lo
	s_and_b32 s27, vcc_lo, exec_lo
	s_delay_alu instid0(SALU_CYCLE_1)
	s_or_b32 s12, s12, s27
	s_or_b32 exec_lo, exec_lo, s28
	s_and_saveexec_b32 s27, s12
	s_cbranch_execnz .LBB2_292
	s_branch .LBB2_293
.LBB2_689:                              ;   in Loop: Header=BB2_143 Depth=2
	s_mov_b32 s12, -1
	s_mov_b32 s29, exec_lo
                                        ; implicit-def: $sgpr27
	v_cmpx_eq_u16_e32 0x80, v102
; %bb.690:                              ;   in Loop: Header=BB2_143 Depth=2
	s_mov_b32 s27, 0x7f800001
	s_xor_b32 s12, exec_lo, -1
; %bb.691:                              ;   in Loop: Header=BB2_143 Depth=2
	s_or_b32 exec_lo, exec_lo, s29
	s_delay_alu instid0(SALU_CYCLE_1)
	s_and_b32 s12, s12, exec_lo
	s_or_saveexec_b32 s28, s28
	v_mov_b32_e32 v113, s27
	s_xor_b32 exec_lo, exec_lo, s28
	s_cbranch_execz .LBB2_295
.LBB2_692:                              ;   in Loop: Header=BB2_143 Depth=2
	v_cmp_ne_u16_e32 vcc_lo, 0, v102
	v_mov_b32_e32 v113, 0
	s_and_not1_b32 s12, s12, exec_lo
	s_and_b32 s27, vcc_lo, exec_lo
	s_delay_alu instid0(SALU_CYCLE_1)
	s_or_b32 s12, s12, s27
	s_or_b32 exec_lo, exec_lo, s28
	s_and_saveexec_b32 s27, s12
	s_cbranch_execnz .LBB2_296
	s_branch .LBB2_297
.LBB2_693:                              ;   in Loop: Header=BB2_143 Depth=2
	s_mov_b32 s12, -1
	s_mov_b32 s29, exec_lo
                                        ; implicit-def: $sgpr27
	v_cmpx_eq_u16_e32 0x80, v103
; %bb.694:                              ;   in Loop: Header=BB2_143 Depth=2
	s_mov_b32 s27, 0x7f800001
	s_xor_b32 s12, exec_lo, -1
; %bb.695:                              ;   in Loop: Header=BB2_143 Depth=2
	s_or_b32 exec_lo, exec_lo, s29
	s_delay_alu instid0(SALU_CYCLE_1)
	s_and_b32 s12, s12, exec_lo
	s_or_saveexec_b32 s28, s28
	v_mov_b32_e32 v112, s27
	s_xor_b32 exec_lo, exec_lo, s28
	s_cbranch_execz .LBB2_302
.LBB2_696:                              ;   in Loop: Header=BB2_143 Depth=2
	v_cmp_ne_u16_e32 vcc_lo, 0, v103
	v_mov_b32_e32 v112, 0
	s_and_not1_b32 s12, s12, exec_lo
	s_and_b32 s27, vcc_lo, exec_lo
	s_delay_alu instid0(SALU_CYCLE_1)
	s_or_b32 s12, s12, s27
	s_or_b32 exec_lo, exec_lo, s28
	s_and_saveexec_b32 s27, s12
	s_cbranch_execnz .LBB2_303
	s_branch .LBB2_304
.LBB2_697:                              ;   in Loop: Header=BB2_143 Depth=2
	s_mov_b32 s12, -1
	s_mov_b32 s29, exec_lo
                                        ; implicit-def: $sgpr27
	v_cmpx_eq_u16_e32 0x80, v102
; %bb.698:                              ;   in Loop: Header=BB2_143 Depth=2
	s_mov_b32 s27, 0x7f800001
	s_xor_b32 s12, exec_lo, -1
; %bb.699:                              ;   in Loop: Header=BB2_143 Depth=2
	s_or_b32 exec_lo, exec_lo, s29
	s_delay_alu instid0(SALU_CYCLE_1)
	s_and_b32 s12, s12, exec_lo
	s_or_saveexec_b32 s28, s28
	v_mov_b32_e32 v103, s27
	s_xor_b32 exec_lo, exec_lo, s28
	s_cbranch_execz .LBB2_306
.LBB2_700:                              ;   in Loop: Header=BB2_143 Depth=2
	v_cmp_ne_u16_e32 vcc_lo, 0, v102
	v_mov_b32_e32 v103, 0
	s_and_not1_b32 s12, s12, exec_lo
	s_and_b32 s27, vcc_lo, exec_lo
	s_delay_alu instid0(SALU_CYCLE_1)
	s_or_b32 s12, s12, s27
	s_or_b32 exec_lo, exec_lo, s28
	s_and_saveexec_b32 s27, s12
	s_cbranch_execnz .LBB2_307
	s_branch .LBB2_308
.LBB2_701:                              ;   in Loop: Header=BB2_143 Depth=2
	s_mov_b32 s12, -1
	s_mov_b32 s29, exec_lo
                                        ; implicit-def: $sgpr27
	v_cmpx_eq_u16_e32 0x80, v114
; %bb.702:                              ;   in Loop: Header=BB2_143 Depth=2
	s_mov_b32 s27, 0x7f800001
	s_xor_b32 s12, exec_lo, -1
; %bb.703:                              ;   in Loop: Header=BB2_143 Depth=2
	s_or_b32 exec_lo, exec_lo, s29
	s_delay_alu instid0(SALU_CYCLE_1)
	s_and_b32 s12, s12, exec_lo
                                        ; implicit-def: $vgpr114
	s_or_saveexec_b32 s28, s28
	v_mov_b32_e32 v113, s27
	s_xor_b32 exec_lo, exec_lo, s28
	s_cbranch_execz .LBB2_320
.LBB2_704:                              ;   in Loop: Header=BB2_143 Depth=2
	v_cmp_ne_u16_e32 vcc_lo, 0, v114
	v_mov_b32_e32 v113, 0
	s_and_not1_b32 s12, s12, exec_lo
	s_and_b32 s27, vcc_lo, exec_lo
	s_delay_alu instid0(SALU_CYCLE_1)
	s_or_b32 s12, s12, s27
	s_or_b32 exec_lo, exec_lo, s28
	s_and_saveexec_b32 s27, s12
	s_cbranch_execnz .LBB2_321
	s_branch .LBB2_322
.LBB2_705:                              ;   in Loop: Header=BB2_143 Depth=2
	s_mov_b32 s12, -1
	s_mov_b32 s29, exec_lo
                                        ; implicit-def: $sgpr27
	v_cmpx_eq_u16_e32 0x80, v115
; %bb.706:                              ;   in Loop: Header=BB2_143 Depth=2
	s_mov_b32 s27, 0x7f800001
	s_xor_b32 s12, exec_lo, -1
; %bb.707:                              ;   in Loop: Header=BB2_143 Depth=2
	s_or_b32 exec_lo, exec_lo, s29
	s_delay_alu instid0(SALU_CYCLE_1)
	s_and_b32 s12, s12, exec_lo
                                        ; implicit-def: $vgpr115
	s_or_saveexec_b32 s28, s28
	v_mov_b32_e32 v114, s27
	s_xor_b32 exec_lo, exec_lo, s28
	s_cbranch_execz .LBB2_324
.LBB2_708:                              ;   in Loop: Header=BB2_143 Depth=2
	v_cmp_ne_u16_e32 vcc_lo, 0, v115
	v_mov_b32_e32 v114, 0
	s_and_not1_b32 s12, s12, exec_lo
	s_and_b32 s27, vcc_lo, exec_lo
	s_delay_alu instid0(SALU_CYCLE_1)
	s_or_b32 s12, s12, s27
	s_or_b32 exec_lo, exec_lo, s28
	s_and_saveexec_b32 s27, s12
	s_cbranch_execnz .LBB2_325
	s_branch .LBB2_326
.LBB2_709:                              ;   in Loop: Header=BB2_143 Depth=2
	s_mov_b32 s12, -1
	s_mov_b32 s29, exec_lo
                                        ; implicit-def: $sgpr27
	v_cmpx_eq_u16_e32 0x80, v114
; %bb.710:                              ;   in Loop: Header=BB2_143 Depth=2
	s_mov_b32 s27, 0x7f800001
	s_xor_b32 s12, exec_lo, -1
; %bb.711:                              ;   in Loop: Header=BB2_143 Depth=2
	s_or_b32 exec_lo, exec_lo, s29
	s_delay_alu instid0(SALU_CYCLE_1)
	s_and_b32 s12, s12, exec_lo
                                        ; implicit-def: $vgpr114
	s_or_saveexec_b32 s28, s28
	v_mov_b32_e32 v113, s27
	s_xor_b32 exec_lo, exec_lo, s28
	s_cbranch_execz .LBB2_331
.LBB2_712:                              ;   in Loop: Header=BB2_143 Depth=2
	v_cmp_ne_u16_e32 vcc_lo, 0, v114
	v_mov_b32_e32 v113, 0
	s_and_not1_b32 s12, s12, exec_lo
	s_and_b32 s27, vcc_lo, exec_lo
	s_delay_alu instid0(SALU_CYCLE_1)
	s_or_b32 s12, s12, s27
	s_or_b32 exec_lo, exec_lo, s28
	s_and_saveexec_b32 s27, s12
	s_cbranch_execnz .LBB2_332
	s_branch .LBB2_333
.LBB2_713:                              ;   in Loop: Header=BB2_143 Depth=2
	s_mov_b32 s12, -1
	s_mov_b32 s29, exec_lo
                                        ; implicit-def: $sgpr27
	v_cmpx_eq_u16_e32 0x80, v114
; %bb.714:                              ;   in Loop: Header=BB2_143 Depth=2
	s_mov_b32 s27, 0x7f800001
	s_xor_b32 s12, exec_lo, -1
; %bb.715:                              ;   in Loop: Header=BB2_143 Depth=2
	s_or_b32 exec_lo, exec_lo, s29
	s_delay_alu instid0(SALU_CYCLE_1)
	s_and_b32 s12, s12, exec_lo
                                        ; implicit-def: $vgpr114
	s_or_saveexec_b32 s28, s28
	v_mov_b32_e32 v112, s27
	s_xor_b32 exec_lo, exec_lo, s28
	s_cbranch_execz .LBB2_335
.LBB2_716:                              ;   in Loop: Header=BB2_143 Depth=2
	v_cmp_ne_u16_e32 vcc_lo, 0, v114
	v_mov_b32_e32 v112, 0
	s_and_not1_b32 s12, s12, exec_lo
	s_and_b32 s27, vcc_lo, exec_lo
	s_delay_alu instid0(SALU_CYCLE_1)
	s_or_b32 s12, s12, s27
	s_or_b32 exec_lo, exec_lo, s28
	s_and_saveexec_b32 s27, s12
	s_cbranch_execnz .LBB2_336
	s_branch .LBB2_337
.LBB2_717:                              ;   in Loop: Header=BB2_143 Depth=2
	s_mov_b32 s12, -1
	s_mov_b32 s29, exec_lo
                                        ; implicit-def: $sgpr27
	v_cmpx_eq_u16_e32 0x80, v113
; %bb.718:                              ;   in Loop: Header=BB2_143 Depth=2
	s_mov_b32 s27, 0x7f800001
	s_xor_b32 s12, exec_lo, -1
; %bb.719:                              ;   in Loop: Header=BB2_143 Depth=2
	s_or_b32 exec_lo, exec_lo, s29
	s_delay_alu instid0(SALU_CYCLE_1)
	s_and_b32 s12, s12, exec_lo
	s_or_saveexec_b32 s28, s28
	v_mov_b32_e32 v114, s27
	s_xor_b32 exec_lo, exec_lo, s28
	s_cbranch_execz .LBB2_349
.LBB2_720:                              ;   in Loop: Header=BB2_143 Depth=2
	v_cmp_ne_u16_e32 vcc_lo, 0, v113
	v_mov_b32_e32 v114, 0
	s_and_not1_b32 s12, s12, exec_lo
	s_and_b32 s27, vcc_lo, exec_lo
	s_delay_alu instid0(SALU_CYCLE_1)
	s_or_b32 s12, s12, s27
	s_or_b32 exec_lo, exec_lo, s28
	s_and_saveexec_b32 s27, s12
	s_cbranch_execnz .LBB2_350
	s_branch .LBB2_351
.LBB2_721:                              ;   in Loop: Header=BB2_143 Depth=2
	s_mov_b32 s12, -1
	s_mov_b32 s29, exec_lo
                                        ; implicit-def: $sgpr27
	v_cmpx_eq_u16_e32 0x80, v112
; %bb.722:                              ;   in Loop: Header=BB2_143 Depth=2
	s_mov_b32 s27, 0x7f800001
	s_xor_b32 s12, exec_lo, -1
; %bb.723:                              ;   in Loop: Header=BB2_143 Depth=2
	s_or_b32 exec_lo, exec_lo, s29
	s_delay_alu instid0(SALU_CYCLE_1)
	s_and_b32 s12, s12, exec_lo
	s_or_saveexec_b32 s28, s28
	v_mov_b32_e32 v115, s27
	s_xor_b32 exec_lo, exec_lo, s28
	s_cbranch_execz .LBB2_353
.LBB2_724:                              ;   in Loop: Header=BB2_143 Depth=2
	v_cmp_ne_u16_e32 vcc_lo, 0, v112
	v_mov_b32_e32 v115, 0
	s_and_not1_b32 s12, s12, exec_lo
	s_and_b32 s27, vcc_lo, exec_lo
	s_delay_alu instid0(SALU_CYCLE_1)
	s_or_b32 s12, s12, s27
	s_or_b32 exec_lo, exec_lo, s28
	s_and_saveexec_b32 s27, s12
	s_cbranch_execnz .LBB2_354
	s_branch .LBB2_355
.LBB2_725:                              ;   in Loop: Header=BB2_143 Depth=2
	s_mov_b32 s12, -1
	s_mov_b32 s29, exec_lo
                                        ; implicit-def: $sgpr27
	v_cmpx_eq_u16_e32 0x80, v113
; %bb.726:                              ;   in Loop: Header=BB2_143 Depth=2
	s_mov_b32 s27, 0x7f800001
	s_xor_b32 s12, exec_lo, -1
; %bb.727:                              ;   in Loop: Header=BB2_143 Depth=2
	s_or_b32 exec_lo, exec_lo, s29
	s_delay_alu instid0(SALU_CYCLE_1)
	s_and_b32 s12, s12, exec_lo
	s_or_saveexec_b32 s28, s28
	v_mov_b32_e32 v114, s27
	s_xor_b32 exec_lo, exec_lo, s28
	s_cbranch_execz .LBB2_360
.LBB2_728:                              ;   in Loop: Header=BB2_143 Depth=2
	v_cmp_ne_u16_e32 vcc_lo, 0, v113
	v_mov_b32_e32 v114, 0
	s_and_not1_b32 s12, s12, exec_lo
	s_and_b32 s27, vcc_lo, exec_lo
	s_delay_alu instid0(SALU_CYCLE_1)
	s_or_b32 s12, s12, s27
	s_or_b32 exec_lo, exec_lo, s28
	s_and_saveexec_b32 s27, s12
	s_cbranch_execnz .LBB2_361
	s_branch .LBB2_362
.LBB2_729:                              ;   in Loop: Header=BB2_143 Depth=2
	s_mov_b32 s12, -1
	s_mov_b32 s29, exec_lo
                                        ; implicit-def: $sgpr27
	v_cmpx_eq_u16_e32 0x80, v112
; %bb.730:                              ;   in Loop: Header=BB2_143 Depth=2
	s_mov_b32 s27, 0x7f800001
	s_xor_b32 s12, exec_lo, -1
; %bb.731:                              ;   in Loop: Header=BB2_143 Depth=2
	s_or_b32 exec_lo, exec_lo, s29
	s_delay_alu instid0(SALU_CYCLE_1)
	s_and_b32 s12, s12, exec_lo
	s_or_saveexec_b32 s28, s28
	v_mov_b32_e32 v15, s27
	s_xor_b32 exec_lo, exec_lo, s28
	s_cbranch_execz .LBB2_364
.LBB2_732:                              ;   in Loop: Header=BB2_143 Depth=2
	v_cmp_ne_u16_e32 vcc_lo, 0, v112
	v_mov_b32_e32 v15, 0
	s_and_not1_b32 s12, s12, exec_lo
	s_and_b32 s27, vcc_lo, exec_lo
	s_delay_alu instid0(SALU_CYCLE_1)
	s_or_b32 s12, s12, s27
	s_or_b32 exec_lo, exec_lo, s28
	s_and_saveexec_b32 s27, s12
	s_cbranch_execnz .LBB2_365
	s_branch .LBB2_366
.LBB2_733:                              ;   in Loop: Header=BB2_143 Depth=2
	s_mov_b32 s12, -1
	s_mov_b32 s29, exec_lo
                                        ; implicit-def: $sgpr27
	v_cmpx_eq_u16_e32 0x80, v112
; %bb.734:                              ;   in Loop: Header=BB2_143 Depth=2
	s_mov_b32 s27, 0x7f800001
	s_xor_b32 s12, exec_lo, -1
; %bb.735:                              ;   in Loop: Header=BB2_143 Depth=2
	s_or_b32 exec_lo, exec_lo, s29
	s_delay_alu instid0(SALU_CYCLE_1)
	s_and_b32 s12, s12, exec_lo
                                        ; implicit-def: $vgpr112
	s_or_saveexec_b32 s28, s28
	v_mov_b32_e32 v15, s27
	s_xor_b32 exec_lo, exec_lo, s28
	s_cbranch_execz .LBB2_378
.LBB2_736:                              ;   in Loop: Header=BB2_143 Depth=2
	v_cmp_ne_u16_e32 vcc_lo, 0, v112
	v_mov_b32_e32 v15, 0
	s_and_not1_b32 s12, s12, exec_lo
	s_and_b32 s27, vcc_lo, exec_lo
	s_delay_alu instid0(SALU_CYCLE_1)
	s_or_b32 s12, s12, s27
	s_or_b32 exec_lo, exec_lo, s28
	s_and_saveexec_b32 s27, s12
	s_cbranch_execnz .LBB2_379
	s_branch .LBB2_380
.LBB2_737:                              ;   in Loop: Header=BB2_143 Depth=2
	s_mov_b32 s12, -1
	s_mov_b32 s29, exec_lo
                                        ; implicit-def: $sgpr27
	v_cmpx_eq_u16_e32 0x80, v113
; %bb.738:                              ;   in Loop: Header=BB2_143 Depth=2
	s_mov_b32 s27, 0x7f800001
	s_xor_b32 s12, exec_lo, -1
; %bb.739:                              ;   in Loop: Header=BB2_143 Depth=2
	s_or_b32 exec_lo, exec_lo, s29
	s_delay_alu instid0(SALU_CYCLE_1)
	s_and_b32 s12, s12, exec_lo
                                        ; implicit-def: $vgpr113
	s_or_saveexec_b32 s28, s28
	v_mov_b32_e32 v112, s27
	s_xor_b32 exec_lo, exec_lo, s28
	s_cbranch_execz .LBB2_382
.LBB2_740:                              ;   in Loop: Header=BB2_143 Depth=2
	v_cmp_ne_u16_e32 vcc_lo, 0, v113
	v_mov_b32_e32 v112, 0
	s_and_not1_b32 s12, s12, exec_lo
	s_and_b32 s27, vcc_lo, exec_lo
	s_delay_alu instid0(SALU_CYCLE_1)
	s_or_b32 s12, s12, s27
	s_or_b32 exec_lo, exec_lo, s28
	s_and_saveexec_b32 s27, s12
	s_cbranch_execnz .LBB2_383
	s_branch .LBB2_384
.LBB2_741:                              ;   in Loop: Header=BB2_143 Depth=2
	s_mov_b32 s12, -1
	s_mov_b32 s29, exec_lo
                                        ; implicit-def: $sgpr27
	v_cmpx_eq_u16_e32 0x80, v112
; %bb.742:                              ;   in Loop: Header=BB2_143 Depth=2
	s_mov_b32 s27, 0x7f800001
	s_xor_b32 s12, exec_lo, -1
; %bb.743:                              ;   in Loop: Header=BB2_143 Depth=2
	s_or_b32 exec_lo, exec_lo, s29
	s_delay_alu instid0(SALU_CYCLE_1)
	s_and_b32 s12, s12, exec_lo
                                        ; implicit-def: $vgpr112
	s_or_saveexec_b32 s28, s28
	v_mov_b32_e32 v15, s27
	s_xor_b32 exec_lo, exec_lo, s28
	s_cbranch_execz .LBB2_389
.LBB2_744:                              ;   in Loop: Header=BB2_143 Depth=2
	v_cmp_ne_u16_e32 vcc_lo, 0, v112
	v_mov_b32_e32 v15, 0
	s_and_not1_b32 s12, s12, exec_lo
	s_and_b32 s27, vcc_lo, exec_lo
	s_delay_alu instid0(SALU_CYCLE_1)
	s_or_b32 s12, s12, s27
	s_or_b32 exec_lo, exec_lo, s28
	s_and_saveexec_b32 s27, s12
	s_cbranch_execnz .LBB2_390
	s_branch .LBB2_391
.LBB2_745:                              ;   in Loop: Header=BB2_143 Depth=2
	s_mov_b32 s12, -1
	s_mov_b32 s29, exec_lo
                                        ; implicit-def: $sgpr27
	v_cmpx_eq_u16_e32 0x80, v113
; %bb.746:                              ;   in Loop: Header=BB2_143 Depth=2
	s_mov_b32 s27, 0x7f800001
	s_xor_b32 s12, exec_lo, -1
; %bb.747:                              ;   in Loop: Header=BB2_143 Depth=2
	s_or_b32 exec_lo, exec_lo, s29
	s_delay_alu instid0(SALU_CYCLE_1)
	s_and_b32 s12, s12, exec_lo
                                        ; implicit-def: $vgpr113
	s_or_saveexec_b32 s28, s28
	v_mov_b32_e32 v112, s27
	s_xor_b32 exec_lo, exec_lo, s28
	s_cbranch_execz .LBB2_393
.LBB2_748:                              ;   in Loop: Header=BB2_143 Depth=2
	v_cmp_ne_u16_e32 vcc_lo, 0, v113
	v_mov_b32_e32 v112, 0
	s_and_not1_b32 s12, s12, exec_lo
	s_and_b32 s27, vcc_lo, exec_lo
	s_delay_alu instid0(SALU_CYCLE_1)
	s_or_b32 s12, s12, s27
	s_or_b32 exec_lo, exec_lo, s28
	s_and_saveexec_b32 s27, s12
	s_cbranch_execnz .LBB2_394
	s_branch .LBB2_395
.LBB2_749:                              ;   in Loop: Header=BB2_143 Depth=2
	s_mov_b32 s12, -1
	s_mov_b32 s29, exec_lo
                                        ; implicit-def: $sgpr27
	v_cmpx_eq_u16_e32 0x80, v113
; %bb.750:                              ;   in Loop: Header=BB2_143 Depth=2
	s_mov_b32 s27, 0x7f800001
	s_xor_b32 s12, exec_lo, -1
; %bb.751:                              ;   in Loop: Header=BB2_143 Depth=2
	s_or_b32 exec_lo, exec_lo, s29
	s_delay_alu instid0(SALU_CYCLE_1)
	s_and_b32 s12, s12, exec_lo
	s_or_saveexec_b32 s28, s28
	v_mov_b32_e32 v114, s27
	s_xor_b32 exec_lo, exec_lo, s28
	s_cbranch_execz .LBB2_407
.LBB2_752:                              ;   in Loop: Header=BB2_143 Depth=2
	v_cmp_ne_u16_e32 vcc_lo, 0, v113
	v_mov_b32_e32 v114, 0
	s_and_not1_b32 s12, s12, exec_lo
	s_and_b32 s27, vcc_lo, exec_lo
	s_delay_alu instid0(SALU_CYCLE_1)
	s_or_b32 s12, s12, s27
	s_or_b32 exec_lo, exec_lo, s28
	s_and_saveexec_b32 s27, s12
	s_cbranch_execnz .LBB2_408
	s_branch .LBB2_409
.LBB2_753:                              ;   in Loop: Header=BB2_143 Depth=2
	s_mov_b32 s12, -1
	s_mov_b32 s29, exec_lo
                                        ; implicit-def: $sgpr27
	v_cmpx_eq_u16_e32 0x80, v112
; %bb.754:                              ;   in Loop: Header=BB2_143 Depth=2
	s_mov_b32 s27, 0x7f800001
	s_xor_b32 s12, exec_lo, -1
; %bb.755:                              ;   in Loop: Header=BB2_143 Depth=2
	s_or_b32 exec_lo, exec_lo, s29
	s_delay_alu instid0(SALU_CYCLE_1)
	s_and_b32 s12, s12, exec_lo
	s_or_saveexec_b32 s28, s28
	v_mov_b32_e32 v115, s27
	s_xor_b32 exec_lo, exec_lo, s28
	s_cbranch_execz .LBB2_411
.LBB2_756:                              ;   in Loop: Header=BB2_143 Depth=2
	v_cmp_ne_u16_e32 vcc_lo, 0, v112
	v_mov_b32_e32 v115, 0
	s_and_not1_b32 s12, s12, exec_lo
	s_and_b32 s27, vcc_lo, exec_lo
	s_delay_alu instid0(SALU_CYCLE_1)
	s_or_b32 s12, s12, s27
	s_or_b32 exec_lo, exec_lo, s28
	s_and_saveexec_b32 s27, s12
	s_cbranch_execnz .LBB2_412
	s_branch .LBB2_413
.LBB2_757:                              ;   in Loop: Header=BB2_143 Depth=2
	s_mov_b32 s12, -1
	s_mov_b32 s29, exec_lo
                                        ; implicit-def: $sgpr27
	v_cmpx_eq_u16_e32 0x80, v113
; %bb.758:                              ;   in Loop: Header=BB2_143 Depth=2
	s_mov_b32 s27, 0x7f800001
	s_xor_b32 s12, exec_lo, -1
; %bb.759:                              ;   in Loop: Header=BB2_143 Depth=2
	s_or_b32 exec_lo, exec_lo, s29
	s_delay_alu instid0(SALU_CYCLE_1)
	s_and_b32 s12, s12, exec_lo
	s_or_saveexec_b32 s28, s28
	v_mov_b32_e32 v114, s27
	s_xor_b32 exec_lo, exec_lo, s28
	s_cbranch_execz .LBB2_418
.LBB2_760:                              ;   in Loop: Header=BB2_143 Depth=2
	v_cmp_ne_u16_e32 vcc_lo, 0, v113
	v_mov_b32_e32 v114, 0
	s_and_not1_b32 s12, s12, exec_lo
	s_and_b32 s27, vcc_lo, exec_lo
	s_delay_alu instid0(SALU_CYCLE_1)
	s_or_b32 s12, s12, s27
	s_or_b32 exec_lo, exec_lo, s28
	s_and_saveexec_b32 s27, s12
	s_cbranch_execnz .LBB2_419
	s_branch .LBB2_420
.LBB2_761:                              ;   in Loop: Header=BB2_143 Depth=2
	s_mov_b32 s12, -1
	s_mov_b32 s29, exec_lo
                                        ; implicit-def: $sgpr27
	v_cmpx_eq_u16_e32 0x80, v112
; %bb.762:                              ;   in Loop: Header=BB2_143 Depth=2
	s_mov_b32 s27, 0x7f800001
	s_xor_b32 s12, exec_lo, -1
; %bb.763:                              ;   in Loop: Header=BB2_143 Depth=2
	s_or_b32 exec_lo, exec_lo, s29
	s_delay_alu instid0(SALU_CYCLE_1)
	s_and_b32 s12, s12, exec_lo
	s_or_saveexec_b32 s28, s28
	v_mov_b32_e32 v113, s27
	s_xor_b32 exec_lo, exec_lo, s28
	s_cbranch_execz .LBB2_422
.LBB2_764:                              ;   in Loop: Header=BB2_143 Depth=2
	v_cmp_ne_u16_e32 vcc_lo, 0, v112
	v_mov_b32_e32 v113, 0
	s_and_not1_b32 s12, s12, exec_lo
	s_and_b32 s27, vcc_lo, exec_lo
	s_delay_alu instid0(SALU_CYCLE_1)
	s_or_b32 s12, s12, s27
	s_or_b32 exec_lo, exec_lo, s28
	s_and_saveexec_b32 s27, s12
	s_cbranch_execnz .LBB2_423
	s_branch .LBB2_424
.LBB2_765:                              ;   in Loop: Header=BB2_143 Depth=2
	s_mov_b32 s12, -1
	s_mov_b32 s29, exec_lo
                                        ; implicit-def: $sgpr27
	v_cmpx_eq_u16_e32 0x80, v116
; %bb.766:                              ;   in Loop: Header=BB2_143 Depth=2
	s_mov_b32 s27, 0x7f800001
	s_xor_b32 s12, exec_lo, -1
; %bb.767:                              ;   in Loop: Header=BB2_143 Depth=2
	s_or_b32 exec_lo, exec_lo, s29
	s_delay_alu instid0(SALU_CYCLE_1)
	s_and_b32 s12, s12, exec_lo
                                        ; implicit-def: $vgpr116
	s_or_saveexec_b32 s28, s28
	v_mov_b32_e32 v115, s27
	s_xor_b32 exec_lo, exec_lo, s28
	s_cbranch_execz .LBB2_436
.LBB2_768:                              ;   in Loop: Header=BB2_143 Depth=2
	v_cmp_ne_u16_e32 vcc_lo, 0, v116
	v_mov_b32_e32 v115, 0
	s_and_not1_b32 s12, s12, exec_lo
	s_and_b32 s27, vcc_lo, exec_lo
	s_delay_alu instid0(SALU_CYCLE_1)
	s_or_b32 s12, s12, s27
	s_or_b32 exec_lo, exec_lo, s28
	s_and_saveexec_b32 s27, s12
	s_cbranch_execnz .LBB2_437
	s_branch .LBB2_438
.LBB2_769:                              ;   in Loop: Header=BB2_143 Depth=2
	s_mov_b32 s12, -1
	s_mov_b32 s29, exec_lo
                                        ; implicit-def: $sgpr27
	v_cmpx_eq_u16_e32 0x80, v117
; %bb.770:                              ;   in Loop: Header=BB2_143 Depth=2
	s_mov_b32 s27, 0x7f800001
	s_xor_b32 s12, exec_lo, -1
; %bb.771:                              ;   in Loop: Header=BB2_143 Depth=2
	s_or_b32 exec_lo, exec_lo, s29
	s_delay_alu instid0(SALU_CYCLE_1)
	s_and_b32 s12, s12, exec_lo
                                        ; implicit-def: $vgpr117
	s_or_saveexec_b32 s28, s28
	v_mov_b32_e32 v116, s27
	s_xor_b32 exec_lo, exec_lo, s28
	s_cbranch_execz .LBB2_440
.LBB2_772:                              ;   in Loop: Header=BB2_143 Depth=2
	v_cmp_ne_u16_e32 vcc_lo, 0, v117
	v_mov_b32_e32 v116, 0
	s_and_not1_b32 s12, s12, exec_lo
	s_and_b32 s27, vcc_lo, exec_lo
	s_delay_alu instid0(SALU_CYCLE_1)
	s_or_b32 s12, s12, s27
	s_or_b32 exec_lo, exec_lo, s28
	s_and_saveexec_b32 s27, s12
	s_cbranch_execnz .LBB2_441
	s_branch .LBB2_442
.LBB2_773:                              ;   in Loop: Header=BB2_143 Depth=2
	s_mov_b32 s12, -1
	s_mov_b32 s29, exec_lo
                                        ; implicit-def: $sgpr27
	v_cmpx_eq_u16_e32 0x80, v116
; %bb.774:                              ;   in Loop: Header=BB2_143 Depth=2
	s_mov_b32 s27, 0x7f800001
	s_xor_b32 s12, exec_lo, -1
; %bb.775:                              ;   in Loop: Header=BB2_143 Depth=2
	s_or_b32 exec_lo, exec_lo, s29
	s_delay_alu instid0(SALU_CYCLE_1)
	s_and_b32 s12, s12, exec_lo
                                        ; implicit-def: $vgpr116
	s_or_saveexec_b32 s28, s28
	v_mov_b32_e32 v115, s27
	s_xor_b32 exec_lo, exec_lo, s28
	s_cbranch_execz .LBB2_447
.LBB2_776:                              ;   in Loop: Header=BB2_143 Depth=2
	v_cmp_ne_u16_e32 vcc_lo, 0, v116
	v_mov_b32_e32 v115, 0
	s_and_not1_b32 s12, s12, exec_lo
	s_and_b32 s27, vcc_lo, exec_lo
	s_delay_alu instid0(SALU_CYCLE_1)
	s_or_b32 s12, s12, s27
	s_or_b32 exec_lo, exec_lo, s28
	s_and_saveexec_b32 s27, s12
	s_cbranch_execnz .LBB2_448
	s_branch .LBB2_449
.LBB2_777:                              ;   in Loop: Header=BB2_143 Depth=2
	s_mov_b32 s12, -1
	s_mov_b32 s29, exec_lo
                                        ; implicit-def: $sgpr27
	v_cmpx_eq_u16_e32 0x80, v116
; %bb.778:                              ;   in Loop: Header=BB2_143 Depth=2
	s_mov_b32 s27, 0x7f800001
	s_xor_b32 s12, exec_lo, -1
; %bb.779:                              ;   in Loop: Header=BB2_143 Depth=2
	s_or_b32 exec_lo, exec_lo, s29
	s_delay_alu instid0(SALU_CYCLE_1)
	s_and_b32 s12, s12, exec_lo
                                        ; implicit-def: $vgpr116
	s_or_saveexec_b32 s28, s28
	v_mov_b32_e32 v114, s27
	s_xor_b32 exec_lo, exec_lo, s28
	s_cbranch_execz .LBB2_451
.LBB2_780:                              ;   in Loop: Header=BB2_143 Depth=2
	v_cmp_ne_u16_e32 vcc_lo, 0, v116
	v_mov_b32_e32 v114, 0
	s_and_not1_b32 s12, s12, exec_lo
	s_and_b32 s27, vcc_lo, exec_lo
	s_delay_alu instid0(SALU_CYCLE_1)
	s_or_b32 s12, s12, s27
	s_or_b32 exec_lo, exec_lo, s28
	s_and_saveexec_b32 s27, s12
	s_cbranch_execnz .LBB2_452
	s_branch .LBB2_453
.LBB2_781:                              ;   in Loop: Header=BB2_143 Depth=2
	s_mov_b32 s12, -1
	s_mov_b32 s29, exec_lo
                                        ; implicit-def: $sgpr27
	v_cmpx_eq_u16_e32 0x80, v115
; %bb.782:                              ;   in Loop: Header=BB2_143 Depth=2
	s_mov_b32 s27, 0x7f800001
	s_xor_b32 s12, exec_lo, -1
; %bb.783:                              ;   in Loop: Header=BB2_143 Depth=2
	s_or_b32 exec_lo, exec_lo, s29
	s_delay_alu instid0(SALU_CYCLE_1)
	s_and_b32 s12, s12, exec_lo
	s_or_saveexec_b32 s28, s28
	v_mov_b32_e32 v116, s27
	s_xor_b32 exec_lo, exec_lo, s28
	s_cbranch_execz .LBB2_465
.LBB2_784:                              ;   in Loop: Header=BB2_143 Depth=2
	v_cmp_ne_u16_e32 vcc_lo, 0, v115
	v_mov_b32_e32 v116, 0
	s_and_not1_b32 s12, s12, exec_lo
	s_and_b32 s27, vcc_lo, exec_lo
	s_delay_alu instid0(SALU_CYCLE_1)
	s_or_b32 s12, s12, s27
	s_or_b32 exec_lo, exec_lo, s28
	s_and_saveexec_b32 s27, s12
	s_cbranch_execnz .LBB2_466
	s_branch .LBB2_467
.LBB2_785:                              ;   in Loop: Header=BB2_143 Depth=2
	s_mov_b32 s12, -1
	s_mov_b32 s29, exec_lo
                                        ; implicit-def: $sgpr27
	v_cmpx_eq_u16_e32 0x80, v114
; %bb.786:                              ;   in Loop: Header=BB2_143 Depth=2
	s_mov_b32 s27, 0x7f800001
	s_xor_b32 s12, exec_lo, -1
; %bb.787:                              ;   in Loop: Header=BB2_143 Depth=2
	s_or_b32 exec_lo, exec_lo, s29
	s_delay_alu instid0(SALU_CYCLE_1)
	s_and_b32 s12, s12, exec_lo
	s_or_saveexec_b32 s28, s28
	v_mov_b32_e32 v117, s27
	s_xor_b32 exec_lo, exec_lo, s28
	s_cbranch_execz .LBB2_469
.LBB2_788:                              ;   in Loop: Header=BB2_143 Depth=2
	v_cmp_ne_u16_e32 vcc_lo, 0, v114
	v_mov_b32_e32 v117, 0
	s_and_not1_b32 s12, s12, exec_lo
	s_and_b32 s27, vcc_lo, exec_lo
	s_delay_alu instid0(SALU_CYCLE_1)
	s_or_b32 s12, s12, s27
	s_or_b32 exec_lo, exec_lo, s28
	s_and_saveexec_b32 s27, s12
	s_cbranch_execnz .LBB2_470
	s_branch .LBB2_471
.LBB2_789:                              ;   in Loop: Header=BB2_143 Depth=2
	s_mov_b32 s12, -1
	s_mov_b32 s29, exec_lo
                                        ; implicit-def: $sgpr27
	v_cmpx_eq_u16_e32 0x80, v115
; %bb.790:                              ;   in Loop: Header=BB2_143 Depth=2
	s_mov_b32 s27, 0x7f800001
	s_xor_b32 s12, exec_lo, -1
; %bb.791:                              ;   in Loop: Header=BB2_143 Depth=2
	s_or_b32 exec_lo, exec_lo, s29
	s_delay_alu instid0(SALU_CYCLE_1)
	s_and_b32 s12, s12, exec_lo
	s_or_saveexec_b32 s28, s28
	v_mov_b32_e32 v116, s27
	s_xor_b32 exec_lo, exec_lo, s28
	s_cbranch_execz .LBB2_476
.LBB2_792:                              ;   in Loop: Header=BB2_143 Depth=2
	v_cmp_ne_u16_e32 vcc_lo, 0, v115
	v_mov_b32_e32 v116, 0
	s_and_not1_b32 s12, s12, exec_lo
	s_and_b32 s27, vcc_lo, exec_lo
	s_delay_alu instid0(SALU_CYCLE_1)
	s_or_b32 s12, s12, s27
	s_or_b32 exec_lo, exec_lo, s28
	s_and_saveexec_b32 s27, s12
	s_cbranch_execnz .LBB2_477
	s_branch .LBB2_478
.LBB2_793:                              ;   in Loop: Header=BB2_143 Depth=2
	s_mov_b32 s12, -1
	s_mov_b32 s29, exec_lo
                                        ; implicit-def: $sgpr27
	v_cmpx_eq_u16_e32 0x80, v114
; %bb.794:                              ;   in Loop: Header=BB2_143 Depth=2
	s_mov_b32 s27, 0x7f800001
	s_xor_b32 s12, exec_lo, -1
; %bb.795:                              ;   in Loop: Header=BB2_143 Depth=2
	s_or_b32 exec_lo, exec_lo, s29
	s_delay_alu instid0(SALU_CYCLE_1)
	s_and_b32 s12, s12, exec_lo
	s_or_saveexec_b32 s28, s28
	v_mov_b32_e32 v16, s27
	s_xor_b32 exec_lo, exec_lo, s28
	s_cbranch_execz .LBB2_480
.LBB2_796:                              ;   in Loop: Header=BB2_143 Depth=2
	v_cmp_ne_u16_e32 vcc_lo, 0, v114
	v_mov_b32_e32 v16, 0
	s_and_not1_b32 s12, s12, exec_lo
	s_and_b32 s27, vcc_lo, exec_lo
	s_delay_alu instid0(SALU_CYCLE_1)
	s_or_b32 s12, s12, s27
	s_or_b32 exec_lo, exec_lo, s28
	s_and_saveexec_b32 s27, s12
	s_cbranch_execnz .LBB2_481
	s_branch .LBB2_482
.LBB2_797:                              ;   in Loop: Header=BB2_143 Depth=2
	s_mov_b32 s12, -1
	s_mov_b32 s29, exec_lo
                                        ; implicit-def: $sgpr27
	v_cmpx_eq_u16_e32 0x80, v114
; %bb.798:                              ;   in Loop: Header=BB2_143 Depth=2
	s_mov_b32 s27, 0x7f800001
	s_xor_b32 s12, exec_lo, -1
; %bb.799:                              ;   in Loop: Header=BB2_143 Depth=2
	s_or_b32 exec_lo, exec_lo, s29
	s_delay_alu instid0(SALU_CYCLE_1)
	s_and_b32 s12, s12, exec_lo
                                        ; implicit-def: $vgpr114
	s_or_saveexec_b32 s28, s28
	v_mov_b32_e32 v16, s27
	s_xor_b32 exec_lo, exec_lo, s28
	s_cbranch_execz .LBB2_494
.LBB2_800:                              ;   in Loop: Header=BB2_143 Depth=2
	v_cmp_ne_u16_e32 vcc_lo, 0, v114
	v_mov_b32_e32 v16, 0
	s_and_not1_b32 s12, s12, exec_lo
	s_and_b32 s27, vcc_lo, exec_lo
	s_delay_alu instid0(SALU_CYCLE_1)
	s_or_b32 s12, s12, s27
	s_or_b32 exec_lo, exec_lo, s28
	s_and_saveexec_b32 s27, s12
	s_cbranch_execnz .LBB2_495
	s_branch .LBB2_496
.LBB2_801:                              ;   in Loop: Header=BB2_143 Depth=2
	s_mov_b32 s12, -1
	s_mov_b32 s29, exec_lo
                                        ; implicit-def: $sgpr27
	v_cmpx_eq_u16_e32 0x80, v115
; %bb.802:                              ;   in Loop: Header=BB2_143 Depth=2
	s_mov_b32 s27, 0x7f800001
	s_xor_b32 s12, exec_lo, -1
; %bb.803:                              ;   in Loop: Header=BB2_143 Depth=2
	s_or_b32 exec_lo, exec_lo, s29
	s_delay_alu instid0(SALU_CYCLE_1)
	s_and_b32 s12, s12, exec_lo
                                        ; implicit-def: $vgpr115
	s_or_saveexec_b32 s28, s28
	v_mov_b32_e32 v114, s27
	s_xor_b32 exec_lo, exec_lo, s28
	s_cbranch_execz .LBB2_498
.LBB2_804:                              ;   in Loop: Header=BB2_143 Depth=2
	v_cmp_ne_u16_e32 vcc_lo, 0, v115
	v_mov_b32_e32 v114, 0
	s_and_not1_b32 s12, s12, exec_lo
	s_and_b32 s27, vcc_lo, exec_lo
	s_delay_alu instid0(SALU_CYCLE_1)
	s_or_b32 s12, s12, s27
	s_or_b32 exec_lo, exec_lo, s28
	s_and_saveexec_b32 s27, s12
	s_cbranch_execnz .LBB2_499
	s_branch .LBB2_500
.LBB2_805:                              ;   in Loop: Header=BB2_143 Depth=2
	s_mov_b32 s12, -1
	s_mov_b32 s29, exec_lo
                                        ; implicit-def: $sgpr27
	v_cmpx_eq_u16_e32 0x80, v114
; %bb.806:                              ;   in Loop: Header=BB2_143 Depth=2
	s_mov_b32 s27, 0x7f800001
	s_xor_b32 s12, exec_lo, -1
; %bb.807:                              ;   in Loop: Header=BB2_143 Depth=2
	s_or_b32 exec_lo, exec_lo, s29
	s_delay_alu instid0(SALU_CYCLE_1)
	s_and_b32 s12, s12, exec_lo
                                        ; implicit-def: $vgpr114
	s_or_saveexec_b32 s28, s28
	v_mov_b32_e32 v16, s27
	s_xor_b32 exec_lo, exec_lo, s28
	s_cbranch_execz .LBB2_505
.LBB2_808:                              ;   in Loop: Header=BB2_143 Depth=2
	v_cmp_ne_u16_e32 vcc_lo, 0, v114
	v_mov_b32_e32 v16, 0
	s_and_not1_b32 s12, s12, exec_lo
	s_and_b32 s27, vcc_lo, exec_lo
	s_delay_alu instid0(SALU_CYCLE_1)
	s_or_b32 s12, s12, s27
	s_or_b32 exec_lo, exec_lo, s28
	s_and_saveexec_b32 s27, s12
	s_cbranch_execnz .LBB2_506
	s_branch .LBB2_507
.LBB2_809:                              ;   in Loop: Header=BB2_143 Depth=2
	s_mov_b32 s12, -1
	s_mov_b32 s29, exec_lo
                                        ; implicit-def: $sgpr27
	v_cmpx_eq_u16_e32 0x80, v115
; %bb.810:                              ;   in Loop: Header=BB2_143 Depth=2
	s_mov_b32 s27, 0x7f800001
	s_xor_b32 s12, exec_lo, -1
; %bb.811:                              ;   in Loop: Header=BB2_143 Depth=2
	s_or_b32 exec_lo, exec_lo, s29
	s_delay_alu instid0(SALU_CYCLE_1)
	s_and_b32 s12, s12, exec_lo
                                        ; implicit-def: $vgpr115
	s_or_saveexec_b32 s28, s28
	v_mov_b32_e32 v114, s27
	s_xor_b32 exec_lo, exec_lo, s28
	s_cbranch_execz .LBB2_509
.LBB2_812:                              ;   in Loop: Header=BB2_143 Depth=2
	v_cmp_ne_u16_e32 vcc_lo, 0, v115
	v_mov_b32_e32 v114, 0
	s_and_not1_b32 s12, s12, exec_lo
	s_and_b32 s27, vcc_lo, exec_lo
	s_delay_alu instid0(SALU_CYCLE_1)
	s_or_b32 s12, s12, s27
	s_or_b32 exec_lo, exec_lo, s28
	s_and_saveexec_b32 s27, s12
	s_cbranch_execnz .LBB2_510
	s_branch .LBB2_511
.LBB2_813:                              ;   in Loop: Header=BB2_143 Depth=2
	s_mov_b32 s12, -1
	s_mov_b32 s29, exec_lo
                                        ; implicit-def: $sgpr27
	v_cmpx_eq_u16_e32 0x80, v115
; %bb.814:                              ;   in Loop: Header=BB2_143 Depth=2
	s_mov_b32 s27, 0x7f800001
	s_xor_b32 s12, exec_lo, -1
; %bb.815:                              ;   in Loop: Header=BB2_143 Depth=2
	s_or_b32 exec_lo, exec_lo, s29
	s_delay_alu instid0(SALU_CYCLE_1)
	s_and_b32 s12, s12, exec_lo
	s_or_saveexec_b32 s28, s28
	v_mov_b32_e32 v116, s27
	s_xor_b32 exec_lo, exec_lo, s28
	s_cbranch_execz .LBB2_523
.LBB2_816:                              ;   in Loop: Header=BB2_143 Depth=2
	v_cmp_ne_u16_e32 vcc_lo, 0, v115
	v_mov_b32_e32 v116, 0
	s_and_not1_b32 s12, s12, exec_lo
	s_and_b32 s27, vcc_lo, exec_lo
	s_delay_alu instid0(SALU_CYCLE_1)
	s_or_b32 s12, s12, s27
	s_or_b32 exec_lo, exec_lo, s28
	s_and_saveexec_b32 s27, s12
	s_cbranch_execnz .LBB2_524
	s_branch .LBB2_525
.LBB2_817:                              ;   in Loop: Header=BB2_143 Depth=2
	s_mov_b32 s12, -1
	s_mov_b32 s29, exec_lo
                                        ; implicit-def: $sgpr27
	v_cmpx_eq_u16_e32 0x80, v114
; %bb.818:                              ;   in Loop: Header=BB2_143 Depth=2
	s_mov_b32 s27, 0x7f800001
	s_xor_b32 s12, exec_lo, -1
; %bb.819:                              ;   in Loop: Header=BB2_143 Depth=2
	s_or_b32 exec_lo, exec_lo, s29
	s_delay_alu instid0(SALU_CYCLE_1)
	s_and_b32 s12, s12, exec_lo
	s_or_saveexec_b32 s28, s28
	v_mov_b32_e32 v117, s27
	s_xor_b32 exec_lo, exec_lo, s28
	s_cbranch_execz .LBB2_527
.LBB2_820:                              ;   in Loop: Header=BB2_143 Depth=2
	v_cmp_ne_u16_e32 vcc_lo, 0, v114
	v_mov_b32_e32 v117, 0
	s_and_not1_b32 s12, s12, exec_lo
	s_and_b32 s27, vcc_lo, exec_lo
	s_delay_alu instid0(SALU_CYCLE_1)
	s_or_b32 s12, s12, s27
	s_or_b32 exec_lo, exec_lo, s28
	s_and_saveexec_b32 s27, s12
	s_cbranch_execnz .LBB2_528
	s_branch .LBB2_529
.LBB2_821:                              ;   in Loop: Header=BB2_143 Depth=2
	s_mov_b32 s12, -1
	s_mov_b32 s29, exec_lo
                                        ; implicit-def: $sgpr27
	v_cmpx_eq_u16_e32 0x80, v115
; %bb.822:                              ;   in Loop: Header=BB2_143 Depth=2
	s_mov_b32 s27, 0x7f800001
	s_xor_b32 s12, exec_lo, -1
; %bb.823:                              ;   in Loop: Header=BB2_143 Depth=2
	s_or_b32 exec_lo, exec_lo, s29
	s_delay_alu instid0(SALU_CYCLE_1)
	s_and_b32 s12, s12, exec_lo
	s_or_saveexec_b32 s28, s28
	v_mov_b32_e32 v116, s27
	s_xor_b32 exec_lo, exec_lo, s28
	s_cbranch_execz .LBB2_534
.LBB2_824:                              ;   in Loop: Header=BB2_143 Depth=2
	v_cmp_ne_u16_e32 vcc_lo, 0, v115
	v_mov_b32_e32 v116, 0
	s_and_not1_b32 s12, s12, exec_lo
	s_and_b32 s27, vcc_lo, exec_lo
	s_delay_alu instid0(SALU_CYCLE_1)
	s_or_b32 s12, s12, s27
	s_or_b32 exec_lo, exec_lo, s28
	s_and_saveexec_b32 s27, s12
	s_cbranch_execnz .LBB2_535
	s_branch .LBB2_536
.LBB2_825:                              ;   in Loop: Header=BB2_143 Depth=2
	s_mov_b32 s12, -1
	s_mov_b32 s29, exec_lo
                                        ; implicit-def: $sgpr27
	v_cmpx_eq_u16_e32 0x80, v114
; %bb.826:                              ;   in Loop: Header=BB2_143 Depth=2
	s_mov_b32 s27, 0x7f800001
	s_xor_b32 s12, exec_lo, -1
; %bb.827:                              ;   in Loop: Header=BB2_143 Depth=2
	s_or_b32 exec_lo, exec_lo, s29
	s_delay_alu instid0(SALU_CYCLE_1)
	s_and_b32 s12, s12, exec_lo
	s_or_saveexec_b32 s28, s28
	v_mov_b32_e32 v115, s27
	s_xor_b32 exec_lo, exec_lo, s28
	s_cbranch_execz .LBB2_538
.LBB2_828:                              ;   in Loop: Header=BB2_143 Depth=2
	v_cmp_ne_u16_e32 vcc_lo, 0, v114
	v_mov_b32_e32 v115, 0
	s_and_not1_b32 s12, s12, exec_lo
	s_and_b32 s27, vcc_lo, exec_lo
	s_delay_alu instid0(SALU_CYCLE_1)
	s_or_b32 s12, s12, s27
	s_or_b32 exec_lo, exec_lo, s28
	s_and_saveexec_b32 s27, s12
	s_cbranch_execnz .LBB2_539
	s_branch .LBB2_540
.LBB2_829:                              ;   in Loop: Header=BB2_143 Depth=2
	s_mov_b32 s12, -1
	s_mov_b32 s29, exec_lo
                                        ; implicit-def: $sgpr27
	v_cmpx_eq_u16_e32 0x80, v118
; %bb.830:                              ;   in Loop: Header=BB2_143 Depth=2
	s_mov_b32 s27, 0x7f800001
	s_xor_b32 s12, exec_lo, -1
; %bb.831:                              ;   in Loop: Header=BB2_143 Depth=2
	s_or_b32 exec_lo, exec_lo, s29
	s_delay_alu instid0(SALU_CYCLE_1)
	s_and_b32 s12, s12, exec_lo
                                        ; implicit-def: $vgpr118
	s_or_saveexec_b32 s28, s28
	v_mov_b32_e32 v117, s27
	s_xor_b32 exec_lo, exec_lo, s28
	s_cbranch_execz .LBB2_552
.LBB2_832:                              ;   in Loop: Header=BB2_143 Depth=2
	v_cmp_ne_u16_e32 vcc_lo, 0, v118
	v_mov_b32_e32 v117, 0
	s_and_not1_b32 s12, s12, exec_lo
	s_and_b32 s27, vcc_lo, exec_lo
	s_delay_alu instid0(SALU_CYCLE_1)
	s_or_b32 s12, s12, s27
	s_or_b32 exec_lo, exec_lo, s28
	s_and_saveexec_b32 s27, s12
	s_cbranch_execnz .LBB2_553
	s_branch .LBB2_554
.LBB2_833:                              ;   in Loop: Header=BB2_143 Depth=2
	s_mov_b32 s12, -1
	s_mov_b32 s29, exec_lo
                                        ; implicit-def: $sgpr27
	v_cmpx_eq_u16_e32 0x80, v119
; %bb.834:                              ;   in Loop: Header=BB2_143 Depth=2
	s_mov_b32 s27, 0x7f800001
	s_xor_b32 s12, exec_lo, -1
; %bb.835:                              ;   in Loop: Header=BB2_143 Depth=2
	s_or_b32 exec_lo, exec_lo, s29
	s_delay_alu instid0(SALU_CYCLE_1)
	s_and_b32 s12, s12, exec_lo
                                        ; implicit-def: $vgpr119
	s_or_saveexec_b32 s28, s28
	v_mov_b32_e32 v118, s27
	s_xor_b32 exec_lo, exec_lo, s28
	s_cbranch_execz .LBB2_556
.LBB2_836:                              ;   in Loop: Header=BB2_143 Depth=2
	v_cmp_ne_u16_e32 vcc_lo, 0, v119
	v_mov_b32_e32 v118, 0
	s_and_not1_b32 s12, s12, exec_lo
	s_and_b32 s27, vcc_lo, exec_lo
	s_delay_alu instid0(SALU_CYCLE_1)
	s_or_b32 s12, s12, s27
	s_or_b32 exec_lo, exec_lo, s28
	s_and_saveexec_b32 s27, s12
	s_cbranch_execnz .LBB2_557
	s_branch .LBB2_558
.LBB2_837:                              ;   in Loop: Header=BB2_143 Depth=2
	s_mov_b32 s12, -1
	s_mov_b32 s29, exec_lo
                                        ; implicit-def: $sgpr27
	v_cmpx_eq_u16_e32 0x80, v118
; %bb.838:                              ;   in Loop: Header=BB2_143 Depth=2
	s_mov_b32 s27, 0x7f800001
	s_xor_b32 s12, exec_lo, -1
; %bb.839:                              ;   in Loop: Header=BB2_143 Depth=2
	s_or_b32 exec_lo, exec_lo, s29
	s_delay_alu instid0(SALU_CYCLE_1)
	s_and_b32 s12, s12, exec_lo
                                        ; implicit-def: $vgpr118
	s_or_saveexec_b32 s28, s28
	v_mov_b32_e32 v117, s27
	s_xor_b32 exec_lo, exec_lo, s28
	s_cbranch_execz .LBB2_563
.LBB2_840:                              ;   in Loop: Header=BB2_143 Depth=2
	v_cmp_ne_u16_e32 vcc_lo, 0, v118
	v_mov_b32_e32 v117, 0
	s_and_not1_b32 s12, s12, exec_lo
	s_and_b32 s27, vcc_lo, exec_lo
	s_delay_alu instid0(SALU_CYCLE_1)
	s_or_b32 s12, s12, s27
	s_or_b32 exec_lo, exec_lo, s28
	s_and_saveexec_b32 s27, s12
	s_cbranch_execnz .LBB2_564
	s_branch .LBB2_565
.LBB2_841:                              ;   in Loop: Header=BB2_143 Depth=2
	s_mov_b32 s12, -1
	s_mov_b32 s29, exec_lo
                                        ; implicit-def: $sgpr27
	v_cmpx_eq_u16_e32 0x80, v118
; %bb.842:                              ;   in Loop: Header=BB2_143 Depth=2
	s_mov_b32 s27, 0x7f800001
	s_xor_b32 s12, exec_lo, -1
; %bb.843:                              ;   in Loop: Header=BB2_143 Depth=2
	s_or_b32 exec_lo, exec_lo, s29
	s_delay_alu instid0(SALU_CYCLE_1)
	s_and_b32 s12, s12, exec_lo
                                        ; implicit-def: $vgpr118
	s_or_saveexec_b32 s28, s28
	v_mov_b32_e32 v116, s27
	s_xor_b32 exec_lo, exec_lo, s28
	s_cbranch_execz .LBB2_567
.LBB2_844:                              ;   in Loop: Header=BB2_143 Depth=2
	v_cmp_ne_u16_e32 vcc_lo, 0, v118
	v_mov_b32_e32 v116, 0
	s_and_not1_b32 s12, s12, exec_lo
	s_and_b32 s27, vcc_lo, exec_lo
	s_delay_alu instid0(SALU_CYCLE_1)
	s_or_b32 s12, s12, s27
	s_or_b32 exec_lo, exec_lo, s28
	s_and_saveexec_b32 s27, s12
	s_cbranch_execnz .LBB2_568
	s_branch .LBB2_569
.LBB2_845:                              ;   in Loop: Header=BB2_143 Depth=2
	s_mov_b32 s12, -1
	s_mov_b32 s29, exec_lo
                                        ; implicit-def: $sgpr27
	v_cmpx_eq_u16_e32 0x80, v117
; %bb.846:                              ;   in Loop: Header=BB2_143 Depth=2
	s_mov_b32 s27, 0x7f800001
	s_xor_b32 s12, exec_lo, -1
; %bb.847:                              ;   in Loop: Header=BB2_143 Depth=2
	s_or_b32 exec_lo, exec_lo, s29
	s_delay_alu instid0(SALU_CYCLE_1)
	s_and_b32 s12, s12, exec_lo
	s_or_saveexec_b32 s28, s28
	v_mov_b32_e32 v118, s27
	s_xor_b32 exec_lo, exec_lo, s28
	s_cbranch_execz .LBB2_581
.LBB2_848:                              ;   in Loop: Header=BB2_143 Depth=2
	v_cmp_ne_u16_e32 vcc_lo, 0, v117
	v_mov_b32_e32 v118, 0
	s_and_not1_b32 s12, s12, exec_lo
	s_and_b32 s27, vcc_lo, exec_lo
	s_delay_alu instid0(SALU_CYCLE_1)
	s_or_b32 s12, s12, s27
	s_or_b32 exec_lo, exec_lo, s28
	s_and_saveexec_b32 s27, s12
	s_cbranch_execnz .LBB2_582
	s_branch .LBB2_583
.LBB2_849:                              ;   in Loop: Header=BB2_143 Depth=2
	s_mov_b32 s12, -1
	s_mov_b32 s29, exec_lo
                                        ; implicit-def: $sgpr27
	v_cmpx_eq_u16_e32 0x80, v116
; %bb.850:                              ;   in Loop: Header=BB2_143 Depth=2
	s_mov_b32 s27, 0x7f800001
	s_xor_b32 s12, exec_lo, -1
; %bb.851:                              ;   in Loop: Header=BB2_143 Depth=2
	s_or_b32 exec_lo, exec_lo, s29
	s_delay_alu instid0(SALU_CYCLE_1)
	s_and_b32 s12, s12, exec_lo
	s_or_saveexec_b32 s28, s28
	v_mov_b32_e32 v119, s27
	s_xor_b32 exec_lo, exec_lo, s28
	s_cbranch_execz .LBB2_585
.LBB2_852:                              ;   in Loop: Header=BB2_143 Depth=2
	v_cmp_ne_u16_e32 vcc_lo, 0, v116
	v_mov_b32_e32 v119, 0
	s_and_not1_b32 s12, s12, exec_lo
	s_and_b32 s27, vcc_lo, exec_lo
	s_delay_alu instid0(SALU_CYCLE_1)
	s_or_b32 s12, s12, s27
	s_or_b32 exec_lo, exec_lo, s28
	s_and_saveexec_b32 s27, s12
	s_cbranch_execnz .LBB2_586
	s_branch .LBB2_587
.LBB2_853:                              ;   in Loop: Header=BB2_143 Depth=2
	s_mov_b32 s12, -1
	s_mov_b32 s29, exec_lo
                                        ; implicit-def: $sgpr27
	v_cmpx_eq_u16_e32 0x80, v117
; %bb.854:                              ;   in Loop: Header=BB2_143 Depth=2
	s_mov_b32 s27, 0x7f800001
	s_xor_b32 s12, exec_lo, -1
; %bb.855:                              ;   in Loop: Header=BB2_143 Depth=2
	s_or_b32 exec_lo, exec_lo, s29
	s_delay_alu instid0(SALU_CYCLE_1)
	s_and_b32 s12, s12, exec_lo
	s_or_saveexec_b32 s28, s28
	v_mov_b32_e32 v118, s27
	s_xor_b32 exec_lo, exec_lo, s28
	s_cbranch_execz .LBB2_592
.LBB2_856:                              ;   in Loop: Header=BB2_143 Depth=2
	v_cmp_ne_u16_e32 vcc_lo, 0, v117
	v_mov_b32_e32 v118, 0
	s_and_not1_b32 s12, s12, exec_lo
	s_and_b32 s27, vcc_lo, exec_lo
	s_delay_alu instid0(SALU_CYCLE_1)
	s_or_b32 s12, s12, s27
	s_or_b32 exec_lo, exec_lo, s28
	s_and_saveexec_b32 s27, s12
	s_cbranch_execnz .LBB2_593
	s_branch .LBB2_594
.LBB2_857:                              ;   in Loop: Header=BB2_143 Depth=2
	s_mov_b32 s12, -1
	s_mov_b32 s29, exec_lo
                                        ; implicit-def: $sgpr27
	v_cmpx_eq_u16_e32 0x80, v116
; %bb.858:                              ;   in Loop: Header=BB2_143 Depth=2
	s_mov_b32 s27, 0x7f800001
	s_xor_b32 s12, exec_lo, -1
; %bb.859:                              ;   in Loop: Header=BB2_143 Depth=2
	s_or_b32 exec_lo, exec_lo, s29
	s_delay_alu instid0(SALU_CYCLE_1)
	s_and_b32 s12, s12, exec_lo
	s_or_saveexec_b32 s28, s28
	v_mov_b32_e32 v17, s27
	s_xor_b32 exec_lo, exec_lo, s28
	s_cbranch_execz .LBB2_596
.LBB2_860:                              ;   in Loop: Header=BB2_143 Depth=2
	v_cmp_ne_u16_e32 vcc_lo, 0, v116
	v_mov_b32_e32 v17, 0
	s_and_not1_b32 s12, s12, exec_lo
	s_and_b32 s27, vcc_lo, exec_lo
	s_delay_alu instid0(SALU_CYCLE_1)
	s_or_b32 s12, s12, s27
	s_or_b32 exec_lo, exec_lo, s28
	s_and_saveexec_b32 s27, s12
	s_cbranch_execnz .LBB2_597
	s_branch .LBB2_598
.LBB2_861:                              ;   in Loop: Header=BB2_53 Depth=1
	s_or_b32 exec_lo, exec_lo, s25
.LBB2_862:                              ;   in Loop: Header=BB2_53 Depth=1
	s_delay_alu instid0(SALU_CYCLE_1) | instskip(SKIP_4) | instid1(VALU_DEP_2)
	s_or_b32 exec_lo, exec_lo, s24
	v_and_b32_e32 v10, 15, v36
	v_mov_b32_e32 v96, 0
	s_mov_b32 s24, 0
	s_mov_b32 s12, exec_lo
                                        ; implicit-def: $vgpr16
	v_cndmask_b32_e64 v97, v98, v10, s11
	s_delay_alu instid0(VALU_DEP_1)
	v_cmpx_ne_u32_e32 0, v97
	s_cbranch_execz .LBB2_1589
; %bb.863:                              ;   in Loop: Header=BB2_53 Depth=1
	v_cmp_lt_i32_e32 vcc_lo, 0, v99
	s_mov_b32 s24, exec_lo
	v_cndmask_b32_e32 v11, 0, v67, vcc_lo
	s_delay_alu instid0(VALU_DEP_1) | instskip(NEXT) | instid1(VALU_DEP_1)
	v_sub_nc_u32_e32 v11, v11, v99
	v_lshl_add_u32 v11, v11, 5, v70
	s_delay_alu instid0(VALU_DEP_1) | instskip(NEXT) | instid1(VALU_DEP_1)
	v_ashrrev_i32_e32 v12, 31, v11
	v_lshrrev_b32_e32 v12, 27, v12
	s_delay_alu instid0(VALU_DEP_1) | instskip(NEXT) | instid1(VALU_DEP_1)
	v_add_nc_u32_e32 v12, v11, v12
	v_and_b32_e32 v13, 0xffffffe0, v12
	s_delay_alu instid0(VALU_DEP_1) | instskip(SKIP_2) | instid1(VALU_DEP_3)
	v_sub_nc_u32_e32 v99, v11, v13
	v_ashrrev_i32_e32 v11, 5, v12
	v_sub_nc_u32_e32 v13, v98, v10
	v_lshlrev_b32_e32 v12, 4, v99
	s_delay_alu instid0(VALU_DEP_3) | instskip(NEXT) | instid1(VALU_DEP_2)
	v_sub_nc_u32_e32 v98, 0, v11
	v_lshl_add_u32 v10, v11, 9, v12
	s_delay_alu instid0(VALU_DEP_4) | instskip(NEXT) | instid1(VALU_DEP_2)
	v_cndmask_b32_e64 v12, 0, v13, s11
	v_sub_nc_u32_e32 v100, v97, v10
	s_delay_alu instid0(VALU_DEP_2) | instskip(NEXT) | instid1(VALU_DEP_2)
	v_and_or_b32 v96, 0x3ffffe00, v36, v12
	v_cmpx_lt_i32_e32 15, v100
	s_cbranch_execz .LBB2_1588
; %bb.864:                              ;   in Loop: Header=BB2_53 Depth=1
	s_cbranch_execnz .LBB2_4599
; %bb.865:                              ;   in Loop: Header=BB2_53 Depth=1
	ds_load_b128 v[11:14], v0
	ds_load_b64 v[15:16], v0
	v_add_nc_u32_e32 v10, v10, v96
	s_bitcmp1_b32 s23, 0
	s_mov_b32 s25, 0
	s_cselect_b32 s26, -1, 0
	s_delay_alu instid0(VALU_DEP_1) | instskip(SKIP_3) | instid1(VALU_DEP_2)
	v_ashrrev_i32_e32 v17, 31, v10
	s_waitcnt lgkmcnt(1)
	v_add_co_u32 v50, vcc_lo, v11, v10
	s_waitcnt vmcnt(0)
	v_add_co_ci_u32_e32 v51, vcc_lo, v12, v17, vcc_lo
	v_add_co_u32 v52, vcc_lo, v13, v10
	v_add_co_ci_u32_e32 v53, vcc_lo, v14, v17, vcc_lo
	s_waitcnt lgkmcnt(0)
	v_add_co_u32 v54, vcc_lo, v15, v10
	v_add_co_ci_u32_e32 v55, vcc_lo, v16, v17, vcc_lo
	s_branch .LBB2_869
.LBB2_866:                              ;   in Loop: Header=BB2_869 Depth=2
	s_or_b32 exec_lo, exec_lo, s11
	s_delay_alu instid0(VALU_DEP_1) | instskip(NEXT) | instid1(VALU_DEP_2)
	v_lshrrev_b32_e32 v17, 20, v17
	v_cmp_gt_i32_e32 vcc_lo, 16, v13
	v_min_i32_e32 v118, 15, v13
	v_lshrrev_b32_e32 v119, 24, v128
	s_delay_alu instid0(VALU_DEP_2) | instskip(NEXT) | instid1(VALU_DEP_2)
	v_dual_cndmask_b32 v17, 7, v17 :: v_dual_lshlrev_b32 v118, 3, v118
	v_and_b32_e32 v119, 0x80, v119
	s_delay_alu instid0(VALU_DEP_2) | instskip(SKIP_1) | instid1(VALU_DEP_2)
	v_or_b32_e32 v13, v13, v17
	v_and_b32_e32 v128, 7, v17
	v_cmp_ne_u32_e32 vcc_lo, 0, v13
	v_and_b32_e32 v118, 0xf8, v118
	s_delay_alu instid0(VALU_DEP_1) | instskip(NEXT) | instid1(VALU_DEP_1)
	v_or3_b32 v118, v119, v118, v128
	v_lshlrev_b32_e32 v17, 8, v118
	s_delay_alu instid0(VALU_DEP_1)
	v_cndmask_b32_e32 v13, 0, v17, vcc_lo
.LBB2_867:                              ;   in Loop: Header=BB2_869 Depth=2
	s_or_b32 exec_lo, exec_lo, s28
.LBB2_868:                              ;   in Loop: Header=BB2_869 Depth=2
	s_delay_alu instid0(SALU_CYCLE_1)
	s_or_b32 exec_lo, exec_lo, s27
	v_lshlrev_b32_e32 v17, 8, v112
	v_and_b32_e32 v103, 0xff, v103
	v_or_b32_e32 v11, v11, v113
	v_lshlrev_b32_e32 v102, 8, v102
	v_lshlrev_b32_e32 v112, 8, v114
	v_perm_b32 v14, v17, v14, 0xc0c0500
	v_lshlrev_b32_e32 v17, 16, v103
	v_and_b32_e32 v103, 0xff, v115
	v_lshlrev_b32_e32 v113, 8, v116
	v_lshlrev_b32_e32 v10, 24, v10
	v_perm_b32 v101, v102, v101, 0xc0c0500
	v_lshlrev_b32_e32 v12, 24, v12
	v_lshlrev_b32_e32 v102, 16, v103
	v_perm_b32 v15, v112, v15, 0xc0c0500
	v_perm_b32 v16, v113, v16, 0xc0c0500
	v_or_b32_e32 v13, v13, v117
	v_add_co_u32 v50, vcc_lo, v50, v81
	v_lshl_or_b32 v11, v11, 16, v14
	v_or3_b32 v10, v10, v17, v101
	v_or3_b32 v12, v12, v102, v15
	v_lshl_or_b32 v13, v13, 16, v16
	v_sub_nc_u32_e32 v100, v100, v69
	v_add_co_ci_u32_e32 v51, vcc_lo, v51, v82, vcc_lo
	v_add_co_u32 v52, vcc_lo, v52, v81
	v_add_co_ci_u32_e32 v53, vcc_lo, v53, v82, vcc_lo
	global_store_b128 v[54:55], v[10:13], off glc slc dlc
	v_cmp_gt_i32_e32 vcc_lo, 16, v100
	v_add_co_u32 v54, s11, v54, v81
	s_delay_alu instid0(VALU_DEP_1) | instskip(SKIP_2) | instid1(SALU_CYCLE_1)
	v_add_co_ci_u32_e64 v55, s11, v55, v82, s11
	v_sub_nc_u32_e32 v98, v98, v67
	s_or_b32 s25, vcc_lo, s25
	s_and_not1_b32 exec_lo, exec_lo, s25
	s_cbranch_execz .LBB2_1587
.LBB2_869:                              ;   Parent Loop BB2_53 Depth=1
                                        ; =>  This Inner Loop Header: Depth=2
	global_load_b128 v[14:17], v[50:51], off slc dlc
	global_load_b128 v[10:13], v[52:53], off slc dlc
	s_and_b32 vcc_lo, exec_lo, s26
	s_waitcnt vmcnt(1)
	v_and_b32_e32 v101, 0xff, v14
	s_delay_alu instid0(VALU_DEP_1)
	v_cmp_lt_i16_e64 s11, 0x7f, v101
	s_cbranch_vccz .LBB2_879
; %bb.870:                              ;   in Loop: Header=BB2_869 Depth=2
	s_mov_b32 s27, 0
                                        ; implicit-def: $sgpr28
	s_delay_alu instid0(VALU_DEP_1) | instskip(NEXT) | instid1(SALU_CYCLE_1)
	s_and_saveexec_b32 s29, s11
	s_xor_b32 s11, exec_lo, s29
	s_cbranch_execnz .LBB2_1331
; %bb.871:                              ;   in Loop: Header=BB2_869 Depth=2
	s_or_saveexec_b32 s11, s11
	v_mov_b32_e32 v102, s28
	s_xor_b32 exec_lo, exec_lo, s11
	s_cbranch_execnz .LBB2_1334
.LBB2_872:                              ;   in Loop: Header=BB2_869 Depth=2
	s_or_b32 exec_lo, exec_lo, s11
	s_and_saveexec_b32 s11, s27
	s_cbranch_execz .LBB2_874
.LBB2_873:                              ;   in Loop: Header=BB2_869 Depth=2
	v_bfe_u32 v113, v14, 3, 4
	v_lshlrev_b32_e32 v114, 24, v14
	s_delay_alu instid0(VALU_DEP_2) | instskip(SKIP_1) | instid1(VALU_DEP_1)
	v_cmp_eq_u32_e32 vcc_lo, 0, v113
	v_and_b32_e32 v102, 7, v14
	v_clz_i32_u32_e32 v103, v102
	s_delay_alu instid0(VALU_DEP_1) | instskip(NEXT) | instid1(VALU_DEP_1)
	v_min_u32_e32 v103, 32, v103
	v_subrev_nc_u32_e32 v112, 28, v103
	v_sub_nc_u32_e32 v103, 29, v103
	s_delay_alu instid0(VALU_DEP_1) | instskip(NEXT) | instid1(VALU_DEP_1)
	v_dual_cndmask_b32 v103, v113, v103 :: v_dual_lshlrev_b32 v112, v112, v14
	v_and_b32_e32 v112, 7, v112
	s_delay_alu instid0(VALU_DEP_2) | instskip(NEXT) | instid1(VALU_DEP_2)
	v_lshl_add_u32 v103, v103, 23, 0x3b800000
	v_cndmask_b32_e32 v102, v102, v112, vcc_lo
	v_and_b32_e32 v112, 0x80000000, v114
	s_delay_alu instid0(VALU_DEP_2) | instskip(NEXT) | instid1(VALU_DEP_1)
	v_lshlrev_b32_e32 v102, 20, v102
	v_or3_b32 v102, v112, v103, v102
.LBB2_874:                              ;   in Loop: Header=BB2_869 Depth=2
	s_or_b32 exec_lo, exec_lo, s11
	s_waitcnt vmcnt(0)
	v_and_b32_e32 v112, 0xff, v10
	s_mov_b32 s11, 0
	s_mov_b32 s28, exec_lo
                                        ; implicit-def: $sgpr27
	s_delay_alu instid0(VALU_DEP_1)
	v_cmpx_lt_i16_e32 0x7f, v112
	s_xor_b32 s28, exec_lo, s28
	s_cbranch_execnz .LBB2_1335
; %bb.875:                              ;   in Loop: Header=BB2_869 Depth=2
	s_or_saveexec_b32 s28, s28
	v_mov_b32_e32 v103, s27
	s_xor_b32 exec_lo, exec_lo, s28
	s_cbranch_execnz .LBB2_1338
.LBB2_876:                              ;   in Loop: Header=BB2_869 Depth=2
	s_or_b32 exec_lo, exec_lo, s28
	s_and_saveexec_b32 s27, s11
	s_cbranch_execz .LBB2_878
.LBB2_877:                              ;   in Loop: Header=BB2_869 Depth=2
	v_bfe_u32 v114, v10, 3, 4
	v_lshlrev_b32_e32 v115, 24, v10
	s_delay_alu instid0(VALU_DEP_2) | instskip(SKIP_1) | instid1(VALU_DEP_1)
	v_cmp_eq_u32_e32 vcc_lo, 0, v114
	v_and_b32_e32 v103, 7, v10
	v_clz_i32_u32_e32 v112, v103
	s_delay_alu instid0(VALU_DEP_1) | instskip(NEXT) | instid1(VALU_DEP_1)
	v_min_u32_e32 v112, 32, v112
	v_subrev_nc_u32_e32 v113, 28, v112
	v_sub_nc_u32_e32 v112, 29, v112
	s_delay_alu instid0(VALU_DEP_1) | instskip(NEXT) | instid1(VALU_DEP_1)
	v_dual_cndmask_b32 v112, v114, v112 :: v_dual_lshlrev_b32 v113, v113, v10
	v_and_b32_e32 v113, 7, v113
	s_delay_alu instid0(VALU_DEP_2) | instskip(NEXT) | instid1(VALU_DEP_2)
	v_lshl_add_u32 v112, v112, 23, 0x3b800000
	v_cndmask_b32_e32 v103, v103, v113, vcc_lo
	v_and_b32_e32 v113, 0x80000000, v115
	s_delay_alu instid0(VALU_DEP_2) | instskip(NEXT) | instid1(VALU_DEP_1)
	v_lshlrev_b32_e32 v103, 20, v103
	v_or3_b32 v103, v113, v112, v103
.LBB2_878:                              ;   in Loop: Header=BB2_869 Depth=2
	s_or_b32 exec_lo, exec_lo, s27
	s_delay_alu instid0(VALU_DEP_1) | instskip(SKIP_1) | instid1(VALU_DEP_1)
	v_dual_max_f32 v103, v103, v103 :: v_dual_max_f32 v102, v102, v102
	s_mov_b32 s11, 0
	v_max_f32_e32 v102, v102, v103
	s_branch .LBB2_880
.LBB2_879:                              ;   in Loop: Header=BB2_869 Depth=2
	s_mov_b32 s11, -1
                                        ; implicit-def: $vgpr102
.LBB2_880:                              ;   in Loop: Header=BB2_869 Depth=2
	s_delay_alu instid0(SALU_CYCLE_1)
	s_and_b32 vcc_lo, exec_lo, s11
	s_cbranch_vccz .LBB2_890
; %bb.881:                              ;   in Loop: Header=BB2_869 Depth=2
	s_mov_b32 s11, 0
	s_mov_b32 s28, exec_lo
                                        ; implicit-def: $sgpr27
	v_cmpx_lt_i16_e32 0x7f, v101
	s_xor_b32 s28, exec_lo, s28
	s_cbranch_execnz .LBB2_1339
; %bb.882:                              ;   in Loop: Header=BB2_869 Depth=2
	s_or_saveexec_b32 s28, s28
	v_mov_b32_e32 v102, s27
	s_xor_b32 exec_lo, exec_lo, s28
	s_cbranch_execnz .LBB2_1342
.LBB2_883:                              ;   in Loop: Header=BB2_869 Depth=2
	s_or_b32 exec_lo, exec_lo, s28
	s_and_saveexec_b32 s27, s11
	s_cbranch_execz .LBB2_885
.LBB2_884:                              ;   in Loop: Header=BB2_869 Depth=2
	v_and_b32_e32 v101, 7, v14
	v_bfe_u32 v112, v14, 3, 4
	v_lshlrev_b32_e32 v113, 24, v14
	s_delay_alu instid0(VALU_DEP_3) | instskip(NEXT) | instid1(VALU_DEP_3)
	v_clz_i32_u32_e32 v102, v101
	v_cmp_eq_u32_e32 vcc_lo, 0, v112
	s_delay_alu instid0(VALU_DEP_2) | instskip(NEXT) | instid1(VALU_DEP_1)
	v_min_u32_e32 v102, 32, v102
	v_subrev_nc_u32_e32 v103, 28, v102
	v_sub_nc_u32_e32 v102, 29, v102
	s_delay_alu instid0(VALU_DEP_2) | instskip(NEXT) | instid1(VALU_DEP_1)
	v_lshlrev_b32_e32 v103, v103, v14
	v_dual_cndmask_b32 v102, v112, v102 :: v_dual_and_b32 v103, 7, v103
	s_delay_alu instid0(VALU_DEP_1) | instskip(NEXT) | instid1(VALU_DEP_2)
	v_lshl_add_u32 v102, v102, 23, 0x3b800000
	v_cndmask_b32_e32 v101, v101, v103, vcc_lo
	v_and_b32_e32 v103, 0x80000000, v113
	s_delay_alu instid0(VALU_DEP_2) | instskip(NEXT) | instid1(VALU_DEP_1)
	v_lshlrev_b32_e32 v101, 20, v101
	v_or3_b32 v102, v103, v102, v101
.LBB2_885:                              ;   in Loop: Header=BB2_869 Depth=2
	s_or_b32 exec_lo, exec_lo, s27
	s_waitcnt vmcnt(0)
	v_and_b32_e32 v103, 0xff, v10
	s_mov_b32 s11, 0
	s_mov_b32 s28, exec_lo
                                        ; implicit-def: $sgpr27
	s_delay_alu instid0(VALU_DEP_1)
	v_cmpx_lt_i16_e32 0x7f, v103
	s_xor_b32 s28, exec_lo, s28
	s_cbranch_execnz .LBB2_1343
; %bb.886:                              ;   in Loop: Header=BB2_869 Depth=2
	s_or_saveexec_b32 s28, s28
	v_mov_b32_e32 v101, s27
	s_xor_b32 exec_lo, exec_lo, s28
	s_cbranch_execnz .LBB2_1346
.LBB2_887:                              ;   in Loop: Header=BB2_869 Depth=2
	s_or_b32 exec_lo, exec_lo, s28
	s_and_saveexec_b32 s27, s11
	s_cbranch_execz .LBB2_889
.LBB2_888:                              ;   in Loop: Header=BB2_869 Depth=2
	v_and_b32_e32 v101, 7, v10
	v_bfe_u32 v113, v10, 3, 4
	s_delay_alu instid0(VALU_DEP_2) | instskip(NEXT) | instid1(VALU_DEP_2)
	v_clz_i32_u32_e32 v103, v101
	v_cmp_eq_u32_e32 vcc_lo, 0, v113
	s_delay_alu instid0(VALU_DEP_2) | instskip(NEXT) | instid1(VALU_DEP_1)
	v_min_u32_e32 v103, 32, v103
	v_subrev_nc_u32_e32 v112, 28, v103
	v_sub_nc_u32_e32 v103, 29, v103
	s_delay_alu instid0(VALU_DEP_1) | instskip(NEXT) | instid1(VALU_DEP_1)
	v_dual_cndmask_b32 v103, v113, v103 :: v_dual_lshlrev_b32 v112, v112, v10
	v_and_b32_e32 v112, 7, v112
	v_lshlrev_b32_e32 v114, 24, v10
	s_delay_alu instid0(VALU_DEP_3) | instskip(NEXT) | instid1(VALU_DEP_2)
	v_lshl_add_u32 v103, v103, 23, 0x3b800000
	v_dual_cndmask_b32 v101, v101, v112 :: v_dual_and_b32 v112, 0x80000000, v114
	s_delay_alu instid0(VALU_DEP_1) | instskip(NEXT) | instid1(VALU_DEP_1)
	v_lshlrev_b32_e32 v101, 20, v101
	v_or3_b32 v101, v112, v103, v101
.LBB2_889:                              ;   in Loop: Header=BB2_869 Depth=2
	s_or_b32 exec_lo, exec_lo, s27
	s_delay_alu instid0(VALU_DEP_1) | instskip(NEXT) | instid1(VALU_DEP_1)
	v_dual_max_f32 v101, v101, v101 :: v_dual_max_f32 v102, v102, v102
	v_min_f32_e32 v102, v102, v101
.LBB2_890:                              ;   in Loop: Header=BB2_869 Depth=2
	s_delay_alu instid0(VALU_DEP_1) | instskip(NEXT) | instid1(VALU_DEP_1)
	v_and_b32_e32 v101, 0x7f800000, v102
	v_cmp_ne_u32_e32 vcc_lo, 0x7f800000, v101
	v_mov_b32_e32 v101, 0x80
	s_and_saveexec_b32 s27, vcc_lo
	s_cbranch_execz .LBB2_898
; %bb.891:                              ;   in Loop: Header=BB2_869 Depth=2
	v_mov_b32_e32 v101, 0
	s_mov_b32 s28, exec_lo
	v_cmpx_ne_u32_e32 0, v102
	s_cbranch_execz .LBB2_897
; %bb.892:                              ;   in Loop: Header=BB2_869 Depth=2
	v_bfe_u32 v101, v102, 23, 8
	s_delay_alu instid0(VALU_DEP_1) | instskip(SKIP_1) | instid1(VALU_DEP_2)
	v_sub_nc_u32_e32 v112, 0x78, v101
	v_cmp_gt_u32_e32 vcc_lo, 0x79, v101
	v_dual_cndmask_b32 v112, 0, v112 :: v_dual_and_b32 v103, 0x7fffff, v102
	s_delay_alu instid0(VALU_DEP_1) | instskip(SKIP_2) | instid1(VALU_DEP_4)
	v_or_b32_e32 v113, 0x800000, v103
	v_cmp_eq_u32_e32 vcc_lo, 0, v101
	v_add_nc_u32_e32 v101, 0xffffff89, v101
	v_cndmask_b32_e64 v112, v112, 0x77, vcc_lo
	s_delay_alu instid0(VALU_DEP_2) | instskip(SKIP_1) | instid1(VALU_DEP_3)
	v_cndmask_b32_e64 v101, v101, 0xffffff8a, vcc_lo
	v_cndmask_b32_e32 v103, v113, v103, vcc_lo
	v_lshl_add_u32 v113, 0x100000, v112, -1
	v_lshlrev_b32_e64 v116, v112, 0x80000
	s_delay_alu instid0(VALU_DEP_3) | instskip(SKIP_1) | instid1(VALU_DEP_4)
	v_lshrrev_b32_e32 v114, v112, v103
	v_add_nc_u32_e32 v112, v112, v101
	v_and_b32_e32 v103, v113, v103
	s_delay_alu instid0(VALU_DEP_3) | instskip(NEXT) | instid1(VALU_DEP_2)
	v_bfe_u32 v115, v114, 20, 1
	v_cmp_eq_u32_e64 s11, v103, v116
	s_delay_alu instid0(VALU_DEP_2) | instskip(NEXT) | instid1(VALU_DEP_1)
	v_add_nc_u32_e32 v113, -1, v115
	v_cndmask_b32_e64 v103, 0, v113, s11
	v_lshrrev_b32_e32 v113, 23, v114
	s_mov_b32 s11, exec_lo
	s_delay_alu instid0(VALU_DEP_2) | instskip(NEXT) | instid1(VALU_DEP_2)
	v_add_nc_u32_e32 v103, v103, v114
	v_xor_b32_e32 v113, 1, v113
	s_delay_alu instid0(VALU_DEP_2) | instskip(NEXT) | instid1(VALU_DEP_1)
	v_and_b32_e32 v101, 0xfffff, v103
	v_add_nc_u32_e32 v103, v101, v114
                                        ; implicit-def: $vgpr101
	s_delay_alu instid0(VALU_DEP_3)
	v_cmpx_ne_u32_e64 v112, v113
	s_xor_b32 s11, exec_lo, s11
; %bb.893:                              ;   in Loop: Header=BB2_869 Depth=2
	s_delay_alu instid0(VALU_DEP_2) | instskip(SKIP_2) | instid1(VALU_DEP_2)
	v_cmp_lt_u32_e32 vcc_lo, 0xffffff, v103
	v_sub_nc_u32_e32 v101, v112, v113
	v_cndmask_b32_e64 v112, 0, 1, vcc_lo
	v_add_co_ci_u32_e32 v101, vcc_lo, 0, v101, vcc_lo
	s_delay_alu instid0(VALU_DEP_2)
	v_lshrrev_b32_e32 v103, v112, v103
; %bb.894:                              ;   in Loop: Header=BB2_869 Depth=2
	s_and_not1_saveexec_b32 s11, s11
; %bb.895:                              ;   in Loop: Header=BB2_869 Depth=2
	s_delay_alu instid0(VALU_DEP_1)
	v_bfe_u32 v101, v103, 23, 1
; %bb.896:                              ;   in Loop: Header=BB2_869 Depth=2
	s_or_b32 exec_lo, exec_lo, s11
	v_lshrrev_b32_e32 v103, 20, v103
	s_delay_alu instid0(VALU_DEP_2) | instskip(SKIP_2) | instid1(VALU_DEP_2)
	v_cmp_gt_i32_e32 vcc_lo, 16, v101
	v_lshrrev_b32_e32 v102, 24, v102
	v_min_i32_e32 v112, 15, v101
	v_dual_cndmask_b32 v103, 7, v103 :: v_dual_and_b32 v102, 0x80, v102
	s_delay_alu instid0(VALU_DEP_1) | instskip(SKIP_1) | instid1(VALU_DEP_2)
	v_or_b32_e32 v101, v101, v103
	v_and_b32_e32 v113, 7, v103
	v_cmp_ne_u32_e32 vcc_lo, 0, v101
	v_lshlrev_b32_e32 v112, 3, v112
	s_delay_alu instid0(VALU_DEP_1) | instskip(NEXT) | instid1(VALU_DEP_1)
	v_or3_b32 v102, v112, v102, v113
	v_cndmask_b32_e32 v101, 0, v102, vcc_lo
.LBB2_897:                              ;   in Loop: Header=BB2_869 Depth=2
	s_or_b32 exec_lo, exec_lo, s28
.LBB2_898:                              ;   in Loop: Header=BB2_869 Depth=2
	s_delay_alu instid0(SALU_CYCLE_1) | instskip(SKIP_4) | instid1(VALU_DEP_2)
	s_or_b32 exec_lo, exec_lo, s27
	v_lshrrev_b16 v103, 8, v14
	s_waitcnt vmcnt(0)
	v_lshrrev_b16 v102, 8, v10
	s_and_b32 vcc_lo, exec_lo, s26
	v_cmp_lt_i16_e64 s11, 0x7f, v103
	s_cbranch_vccz .LBB2_908
; %bb.899:                              ;   in Loop: Header=BB2_869 Depth=2
	s_mov_b32 s27, 0
                                        ; implicit-def: $sgpr28
	s_delay_alu instid0(VALU_DEP_1) | instskip(NEXT) | instid1(SALU_CYCLE_1)
	s_and_saveexec_b32 s29, s11
	s_xor_b32 s11, exec_lo, s29
	s_cbranch_execnz .LBB2_1347
; %bb.900:                              ;   in Loop: Header=BB2_869 Depth=2
	s_or_saveexec_b32 s11, s11
	v_mov_b32_e32 v112, s28
	s_xor_b32 exec_lo, exec_lo, s11
	s_cbranch_execnz .LBB2_1350
.LBB2_901:                              ;   in Loop: Header=BB2_869 Depth=2
	s_or_b32 exec_lo, exec_lo, s11
	s_and_saveexec_b32 s11, s27
	s_cbranch_execz .LBB2_903
.LBB2_902:                              ;   in Loop: Header=BB2_869 Depth=2
	v_and_b32_e32 v112, 0xffff, v103
	s_delay_alu instid0(VALU_DEP_1) | instskip(NEXT) | instid1(VALU_DEP_1)
	v_and_b32_e32 v113, 7, v112
	v_clz_i32_u32_e32 v114, v113
	s_delay_alu instid0(VALU_DEP_1) | instskip(NEXT) | instid1(VALU_DEP_1)
	v_min_u32_e32 v114, 32, v114
	v_subrev_nc_u32_e32 v115, 28, v114
	v_sub_nc_u32_e32 v114, 29, v114
	s_delay_alu instid0(VALU_DEP_2) | instskip(SKIP_1) | instid1(VALU_DEP_2)
	v_lshlrev_b32_e32 v115, v115, v112
	v_bfe_u32 v112, v112, 3, 4
	v_and_b32_e32 v115, 7, v115
	s_delay_alu instid0(VALU_DEP_2) | instskip(SKIP_1) | instid1(VALU_DEP_3)
	v_cmp_eq_u32_e32 vcc_lo, 0, v112
	v_cndmask_b32_e32 v112, v112, v114, vcc_lo
	v_dual_cndmask_b32 v113, v113, v115 :: v_dual_lshlrev_b32 v116, 16, v14
	s_delay_alu instid0(VALU_DEP_2) | instskip(NEXT) | instid1(VALU_DEP_2)
	v_lshl_add_u32 v112, v112, 23, 0x3b800000
	v_and_b32_e32 v114, 0x80000000, v116
	s_delay_alu instid0(VALU_DEP_3) | instskip(NEXT) | instid1(VALU_DEP_1)
	v_lshlrev_b32_e32 v113, 20, v113
	v_or3_b32 v112, v114, v112, v113
.LBB2_903:                              ;   in Loop: Header=BB2_869 Depth=2
	s_or_b32 exec_lo, exec_lo, s11
	s_mov_b32 s11, 0
	s_mov_b32 s28, exec_lo
                                        ; implicit-def: $sgpr27
	v_cmpx_lt_i16_e32 0x7f, v102
	s_xor_b32 s28, exec_lo, s28
	s_cbranch_execnz .LBB2_1351
; %bb.904:                              ;   in Loop: Header=BB2_869 Depth=2
	s_or_saveexec_b32 s28, s28
	v_mov_b32_e32 v113, s27
	s_xor_b32 exec_lo, exec_lo, s28
	s_cbranch_execnz .LBB2_1354
.LBB2_905:                              ;   in Loop: Header=BB2_869 Depth=2
	s_or_b32 exec_lo, exec_lo, s28
	s_and_saveexec_b32 s27, s11
	s_cbranch_execz .LBB2_907
.LBB2_906:                              ;   in Loop: Header=BB2_869 Depth=2
	v_and_b32_e32 v113, 0xffff, v102
	v_lshlrev_b32_e32 v117, 16, v10
	s_delay_alu instid0(VALU_DEP_2) | instskip(NEXT) | instid1(VALU_DEP_1)
	v_and_b32_e32 v114, 7, v113
	v_clz_i32_u32_e32 v115, v114
	s_delay_alu instid0(VALU_DEP_1) | instskip(NEXT) | instid1(VALU_DEP_1)
	v_min_u32_e32 v115, 32, v115
	v_subrev_nc_u32_e32 v116, 28, v115
	v_sub_nc_u32_e32 v115, 29, v115
	s_delay_alu instid0(VALU_DEP_2) | instskip(SKIP_1) | instid1(VALU_DEP_2)
	v_lshlrev_b32_e32 v116, v116, v113
	v_bfe_u32 v113, v113, 3, 4
	v_and_b32_e32 v116, 7, v116
	s_delay_alu instid0(VALU_DEP_2) | instskip(NEXT) | instid1(VALU_DEP_2)
	v_cmp_eq_u32_e32 vcc_lo, 0, v113
	v_dual_cndmask_b32 v113, v113, v115 :: v_dual_cndmask_b32 v114, v114, v116
	v_and_b32_e32 v115, 0x80000000, v117
	s_delay_alu instid0(VALU_DEP_2) | instskip(NEXT) | instid1(VALU_DEP_3)
	v_lshl_add_u32 v113, v113, 23, 0x3b800000
	v_lshlrev_b32_e32 v114, 20, v114
	s_delay_alu instid0(VALU_DEP_1)
	v_or3_b32 v113, v115, v113, v114
.LBB2_907:                              ;   in Loop: Header=BB2_869 Depth=2
	s_or_b32 exec_lo, exec_lo, s27
	s_delay_alu instid0(VALU_DEP_1) | instskip(SKIP_1) | instid1(VALU_DEP_1)
	v_dual_max_f32 v113, v113, v113 :: v_dual_max_f32 v112, v112, v112
	s_mov_b32 s11, 0
	v_max_f32_e32 v112, v112, v113
	s_branch .LBB2_909
.LBB2_908:                              ;   in Loop: Header=BB2_869 Depth=2
	s_mov_b32 s11, -1
                                        ; implicit-def: $vgpr112
.LBB2_909:                              ;   in Loop: Header=BB2_869 Depth=2
	s_delay_alu instid0(SALU_CYCLE_1)
	s_and_b32 vcc_lo, exec_lo, s11
	s_cbranch_vccz .LBB2_919
; %bb.910:                              ;   in Loop: Header=BB2_869 Depth=2
	s_mov_b32 s11, 0
	s_mov_b32 s28, exec_lo
                                        ; implicit-def: $sgpr27
	v_cmpx_lt_i16_e32 0x7f, v103
	s_xor_b32 s28, exec_lo, s28
	s_cbranch_execnz .LBB2_1355
; %bb.911:                              ;   in Loop: Header=BB2_869 Depth=2
	s_or_saveexec_b32 s28, s28
	v_mov_b32_e32 v112, s27
	s_xor_b32 exec_lo, exec_lo, s28
	s_cbranch_execnz .LBB2_1358
.LBB2_912:                              ;   in Loop: Header=BB2_869 Depth=2
	s_or_b32 exec_lo, exec_lo, s28
	s_and_saveexec_b32 s27, s11
	s_cbranch_execz .LBB2_914
.LBB2_913:                              ;   in Loop: Header=BB2_869 Depth=2
	v_and_b32_e32 v103, 0xffff, v103
	v_lshlrev_b32_e32 v115, 16, v14
	s_delay_alu instid0(VALU_DEP_2) | instskip(NEXT) | instid1(VALU_DEP_1)
	v_and_b32_e32 v112, 7, v103
	v_clz_i32_u32_e32 v113, v112
	s_delay_alu instid0(VALU_DEP_1) | instskip(NEXT) | instid1(VALU_DEP_1)
	v_min_u32_e32 v113, 32, v113
	v_subrev_nc_u32_e32 v114, 28, v113
	v_sub_nc_u32_e32 v113, 29, v113
	s_delay_alu instid0(VALU_DEP_2) | instskip(SKIP_1) | instid1(VALU_DEP_2)
	v_lshlrev_b32_e32 v114, v114, v103
	v_bfe_u32 v103, v103, 3, 4
	v_and_b32_e32 v114, 7, v114
	s_delay_alu instid0(VALU_DEP_2) | instskip(NEXT) | instid1(VALU_DEP_2)
	v_cmp_eq_u32_e32 vcc_lo, 0, v103
	v_dual_cndmask_b32 v103, v103, v113 :: v_dual_cndmask_b32 v112, v112, v114
	v_and_b32_e32 v113, 0x80000000, v115
	s_delay_alu instid0(VALU_DEP_2) | instskip(NEXT) | instid1(VALU_DEP_3)
	v_lshl_add_u32 v103, v103, 23, 0x3b800000
	v_lshlrev_b32_e32 v112, 20, v112
	s_delay_alu instid0(VALU_DEP_1)
	v_or3_b32 v112, v113, v103, v112
.LBB2_914:                              ;   in Loop: Header=BB2_869 Depth=2
	s_or_b32 exec_lo, exec_lo, s27
	s_mov_b32 s11, 0
	s_mov_b32 s28, exec_lo
                                        ; implicit-def: $sgpr27
	v_cmpx_lt_i16_e32 0x7f, v102
	s_xor_b32 s28, exec_lo, s28
	s_cbranch_execnz .LBB2_1359
; %bb.915:                              ;   in Loop: Header=BB2_869 Depth=2
	s_or_saveexec_b32 s28, s28
	v_mov_b32_e32 v103, s27
	s_xor_b32 exec_lo, exec_lo, s28
	s_cbranch_execnz .LBB2_1362
.LBB2_916:                              ;   in Loop: Header=BB2_869 Depth=2
	s_or_b32 exec_lo, exec_lo, s28
	s_and_saveexec_b32 s27, s11
	s_cbranch_execz .LBB2_918
.LBB2_917:                              ;   in Loop: Header=BB2_869 Depth=2
	v_and_b32_e32 v102, 0xffff, v102
	v_lshlrev_b32_e32 v115, 16, v10
	s_delay_alu instid0(VALU_DEP_2) | instskip(NEXT) | instid1(VALU_DEP_1)
	v_and_b32_e32 v103, 7, v102
	v_clz_i32_u32_e32 v113, v103
	s_delay_alu instid0(VALU_DEP_1) | instskip(NEXT) | instid1(VALU_DEP_1)
	v_min_u32_e32 v113, 32, v113
	v_subrev_nc_u32_e32 v114, 28, v113
	v_sub_nc_u32_e32 v113, 29, v113
	s_delay_alu instid0(VALU_DEP_2) | instskip(SKIP_1) | instid1(VALU_DEP_2)
	v_lshlrev_b32_e32 v114, v114, v102
	v_bfe_u32 v102, v102, 3, 4
	v_and_b32_e32 v114, 7, v114
	s_delay_alu instid0(VALU_DEP_2) | instskip(NEXT) | instid1(VALU_DEP_2)
	v_cmp_eq_u32_e32 vcc_lo, 0, v102
	v_dual_cndmask_b32 v102, v102, v113 :: v_dual_cndmask_b32 v103, v103, v114
	v_and_b32_e32 v113, 0x80000000, v115
	s_delay_alu instid0(VALU_DEP_2) | instskip(NEXT) | instid1(VALU_DEP_3)
	v_lshl_add_u32 v102, v102, 23, 0x3b800000
	v_lshlrev_b32_e32 v103, 20, v103
	s_delay_alu instid0(VALU_DEP_1)
	v_or3_b32 v103, v113, v102, v103
.LBB2_918:                              ;   in Loop: Header=BB2_869 Depth=2
	s_or_b32 exec_lo, exec_lo, s27
	s_delay_alu instid0(VALU_DEP_1) | instskip(NEXT) | instid1(VALU_DEP_1)
	v_dual_max_f32 v102, v103, v103 :: v_dual_max_f32 v103, v112, v112
	v_min_f32_e32 v112, v103, v102
.LBB2_919:                              ;   in Loop: Header=BB2_869 Depth=2
	s_delay_alu instid0(VALU_DEP_1) | instskip(NEXT) | instid1(VALU_DEP_1)
	v_and_b32_e32 v102, 0x7f800000, v112
	v_cmp_ne_u32_e32 vcc_lo, 0x7f800000, v102
	v_mov_b32_e32 v102, 0x80
	s_and_saveexec_b32 s27, vcc_lo
	s_cbranch_execz .LBB2_927
; %bb.920:                              ;   in Loop: Header=BB2_869 Depth=2
	v_mov_b32_e32 v102, 0
	s_mov_b32 s28, exec_lo
	v_cmpx_ne_u32_e32 0, v112
	s_cbranch_execz .LBB2_926
; %bb.921:                              ;   in Loop: Header=BB2_869 Depth=2
	v_bfe_u32 v102, v112, 23, 8
	v_and_b32_e32 v103, 0x7fffff, v112
	s_delay_alu instid0(VALU_DEP_2) | instskip(SKIP_1) | instid1(VALU_DEP_3)
	v_sub_nc_u32_e32 v113, 0x78, v102
	v_cmp_gt_u32_e32 vcc_lo, 0x79, v102
	v_or_b32_e32 v114, 0x800000, v103
	s_delay_alu instid0(VALU_DEP_3) | instskip(SKIP_2) | instid1(VALU_DEP_3)
	v_cndmask_b32_e32 v113, 0, v113, vcc_lo
	v_cmp_eq_u32_e32 vcc_lo, 0, v102
	v_add_nc_u32_e32 v102, 0xffffff89, v102
	v_cndmask_b32_e64 v113, v113, 0x77, vcc_lo
	v_cndmask_b32_e32 v103, v114, v103, vcc_lo
	s_delay_alu instid0(VALU_DEP_3) | instskip(NEXT) | instid1(VALU_DEP_3)
	v_cndmask_b32_e64 v102, v102, 0xffffff8a, vcc_lo
	v_lshl_add_u32 v114, 0x100000, v113, -1
	s_delay_alu instid0(VALU_DEP_3) | instskip(SKIP_1) | instid1(VALU_DEP_4)
	v_lshrrev_b32_e32 v115, v113, v103
	v_lshlrev_b32_e64 v117, v113, 0x80000
	v_add_nc_u32_e32 v113, v113, v102
	s_delay_alu instid0(VALU_DEP_4) | instskip(NEXT) | instid1(VALU_DEP_4)
	v_and_b32_e32 v103, v114, v103
	v_bfe_u32 v116, v115, 20, 1
	s_delay_alu instid0(VALU_DEP_2) | instskip(NEXT) | instid1(VALU_DEP_2)
	v_cmp_eq_u32_e64 s11, v103, v117
	v_add_nc_u32_e32 v114, -1, v116
	s_delay_alu instid0(VALU_DEP_1) | instskip(SKIP_2) | instid1(VALU_DEP_2)
	v_cndmask_b32_e64 v103, 0, v114, s11
	v_lshrrev_b32_e32 v114, 23, v115
	s_mov_b32 s11, exec_lo
	v_add_nc_u32_e32 v103, v103, v115
	s_delay_alu instid0(VALU_DEP_2) | instskip(NEXT) | instid1(VALU_DEP_2)
	v_xor_b32_e32 v114, 1, v114
	v_and_b32_e32 v102, 0xfffff, v103
	s_delay_alu instid0(VALU_DEP_1) | instskip(NEXT) | instid1(VALU_DEP_3)
	v_add_nc_u32_e32 v103, v102, v115
                                        ; implicit-def: $vgpr102
	v_cmpx_ne_u32_e64 v113, v114
	s_xor_b32 s11, exec_lo, s11
; %bb.922:                              ;   in Loop: Header=BB2_869 Depth=2
	s_delay_alu instid0(VALU_DEP_2) | instskip(SKIP_2) | instid1(VALU_DEP_2)
	v_cmp_lt_u32_e32 vcc_lo, 0xffffff, v103
	v_sub_nc_u32_e32 v102, v113, v114
	v_cndmask_b32_e64 v113, 0, 1, vcc_lo
	v_add_co_ci_u32_e32 v102, vcc_lo, 0, v102, vcc_lo
	s_delay_alu instid0(VALU_DEP_2)
	v_lshrrev_b32_e32 v103, v113, v103
; %bb.923:                              ;   in Loop: Header=BB2_869 Depth=2
	s_and_not1_saveexec_b32 s11, s11
; %bb.924:                              ;   in Loop: Header=BB2_869 Depth=2
	s_delay_alu instid0(VALU_DEP_1)
	v_bfe_u32 v102, v103, 23, 1
; %bb.925:                              ;   in Loop: Header=BB2_869 Depth=2
	s_or_b32 exec_lo, exec_lo, s11
	v_lshrrev_b32_e32 v103, 20, v103
	s_delay_alu instid0(VALU_DEP_2) | instskip(SKIP_2) | instid1(VALU_DEP_2)
	v_cmp_gt_i32_e32 vcc_lo, 16, v102
	v_lshrrev_b32_e32 v112, 24, v112
	v_min_i32_e32 v113, 15, v102
	v_dual_cndmask_b32 v103, 7, v103 :: v_dual_and_b32 v112, 0x80, v112
	s_delay_alu instid0(VALU_DEP_1) | instskip(SKIP_1) | instid1(VALU_DEP_2)
	v_or_b32_e32 v102, v102, v103
	v_and_b32_e32 v114, 7, v103
	v_cmp_ne_u32_e32 vcc_lo, 0, v102
	v_lshlrev_b32_e32 v113, 3, v113
	s_delay_alu instid0(VALU_DEP_1) | instskip(NEXT) | instid1(VALU_DEP_1)
	v_or3_b32 v103, v113, v112, v114
	v_cndmask_b32_e32 v102, 0, v103, vcc_lo
.LBB2_926:                              ;   in Loop: Header=BB2_869 Depth=2
	s_or_b32 exec_lo, exec_lo, s28
.LBB2_927:                              ;   in Loop: Header=BB2_869 Depth=2
	s_delay_alu instid0(SALU_CYCLE_1) | instskip(SKIP_3) | instid1(VALU_DEP_2)
	s_or_b32 exec_lo, exec_lo, s27
	v_lshrrev_b32_e32 v112, 16, v14
	v_lshrrev_b32_e32 v103, 16, v10
	s_and_b32 vcc_lo, exec_lo, s26
	v_and_b32_e32 v113, 0xff, v112
	s_delay_alu instid0(VALU_DEP_1)
	v_cmp_lt_i16_e64 s11, 0x7f, v113
	s_cbranch_vccz .LBB2_937
; %bb.928:                              ;   in Loop: Header=BB2_869 Depth=2
	s_mov_b32 s27, 0
                                        ; implicit-def: $sgpr28
	s_delay_alu instid0(VALU_DEP_1) | instskip(NEXT) | instid1(SALU_CYCLE_1)
	s_and_saveexec_b32 s29, s11
	s_xor_b32 s11, exec_lo, s29
	s_cbranch_execnz .LBB2_1363
; %bb.929:                              ;   in Loop: Header=BB2_869 Depth=2
	s_or_saveexec_b32 s11, s11
	v_mov_b32_e32 v114, s28
	s_xor_b32 exec_lo, exec_lo, s11
	s_cbranch_execnz .LBB2_1366
.LBB2_930:                              ;   in Loop: Header=BB2_869 Depth=2
	s_or_b32 exec_lo, exec_lo, s11
	s_and_saveexec_b32 s11, s27
	s_cbranch_execz .LBB2_932
.LBB2_931:                              ;   in Loop: Header=BB2_869 Depth=2
	v_bfe_u32 v114, v14, 16, 3
	v_bfe_u32 v117, v14, 19, 4
	v_lshlrev_b32_e32 v118, 24, v112
	s_delay_alu instid0(VALU_DEP_3) | instskip(NEXT) | instid1(VALU_DEP_3)
	v_clz_i32_u32_e32 v115, v114
	v_cmp_eq_u32_e32 vcc_lo, 0, v117
	s_delay_alu instid0(VALU_DEP_2) | instskip(NEXT) | instid1(VALU_DEP_1)
	v_min_u32_e32 v115, 32, v115
	v_subrev_nc_u32_e32 v116, 28, v115
	v_sub_nc_u32_e32 v115, 29, v115
	s_delay_alu instid0(VALU_DEP_1) | instskip(NEXT) | instid1(VALU_DEP_1)
	v_dual_cndmask_b32 v115, v117, v115 :: v_dual_lshlrev_b32 v116, v116, v112
	v_and_b32_e32 v116, 7, v116
	s_delay_alu instid0(VALU_DEP_2) | instskip(NEXT) | instid1(VALU_DEP_2)
	v_lshl_add_u32 v115, v115, 23, 0x3b800000
	v_cndmask_b32_e32 v114, v114, v116, vcc_lo
	v_and_b32_e32 v116, 0x80000000, v118
	s_delay_alu instid0(VALU_DEP_2) | instskip(NEXT) | instid1(VALU_DEP_1)
	v_lshlrev_b32_e32 v114, 20, v114
	v_or3_b32 v114, v116, v115, v114
.LBB2_932:                              ;   in Loop: Header=BB2_869 Depth=2
	s_or_b32 exec_lo, exec_lo, s11
	v_and_b32_e32 v116, 0xff, v103
	s_mov_b32 s11, 0
	s_mov_b32 s28, exec_lo
                                        ; implicit-def: $sgpr27
	s_delay_alu instid0(VALU_DEP_1)
	v_cmpx_lt_i16_e32 0x7f, v116
	s_xor_b32 s28, exec_lo, s28
	s_cbranch_execnz .LBB2_1367
; %bb.933:                              ;   in Loop: Header=BB2_869 Depth=2
	s_or_saveexec_b32 s28, s28
	v_mov_b32_e32 v115, s27
	s_xor_b32 exec_lo, exec_lo, s28
	s_cbranch_execnz .LBB2_1370
.LBB2_934:                              ;   in Loop: Header=BB2_869 Depth=2
	s_or_b32 exec_lo, exec_lo, s28
	s_and_saveexec_b32 s27, s11
	s_cbranch_execz .LBB2_936
.LBB2_935:                              ;   in Loop: Header=BB2_869 Depth=2
	v_bfe_u32 v115, v10, 16, 3
	v_bfe_u32 v118, v10, 19, 4
	v_lshlrev_b32_e32 v119, 24, v103
	s_delay_alu instid0(VALU_DEP_3) | instskip(NEXT) | instid1(VALU_DEP_3)
	v_clz_i32_u32_e32 v116, v115
	v_cmp_eq_u32_e32 vcc_lo, 0, v118
	s_delay_alu instid0(VALU_DEP_2) | instskip(NEXT) | instid1(VALU_DEP_1)
	v_min_u32_e32 v116, 32, v116
	v_subrev_nc_u32_e32 v117, 28, v116
	v_sub_nc_u32_e32 v116, 29, v116
	s_delay_alu instid0(VALU_DEP_1) | instskip(NEXT) | instid1(VALU_DEP_1)
	v_dual_cndmask_b32 v116, v118, v116 :: v_dual_lshlrev_b32 v117, v117, v103
	v_and_b32_e32 v117, 7, v117
	s_delay_alu instid0(VALU_DEP_2) | instskip(NEXT) | instid1(VALU_DEP_2)
	v_lshl_add_u32 v116, v116, 23, 0x3b800000
	v_cndmask_b32_e32 v115, v115, v117, vcc_lo
	v_and_b32_e32 v117, 0x80000000, v119
	s_delay_alu instid0(VALU_DEP_2) | instskip(NEXT) | instid1(VALU_DEP_1)
	v_lshlrev_b32_e32 v115, 20, v115
	v_or3_b32 v115, v117, v116, v115
.LBB2_936:                              ;   in Loop: Header=BB2_869 Depth=2
	s_or_b32 exec_lo, exec_lo, s27
	s_delay_alu instid0(VALU_DEP_1) | instskip(SKIP_1) | instid1(VALU_DEP_1)
	v_dual_max_f32 v115, v115, v115 :: v_dual_max_f32 v114, v114, v114
	s_mov_b32 s11, 0
	v_max_f32_e32 v114, v114, v115
	s_branch .LBB2_938
.LBB2_937:                              ;   in Loop: Header=BB2_869 Depth=2
	s_mov_b32 s11, -1
                                        ; implicit-def: $vgpr114
.LBB2_938:                              ;   in Loop: Header=BB2_869 Depth=2
	s_delay_alu instid0(SALU_CYCLE_1)
	s_and_b32 vcc_lo, exec_lo, s11
	s_cbranch_vccz .LBB2_948
; %bb.939:                              ;   in Loop: Header=BB2_869 Depth=2
	s_mov_b32 s11, 0
	s_mov_b32 s28, exec_lo
                                        ; implicit-def: $sgpr27
	v_cmpx_lt_i16_e32 0x7f, v113
	s_xor_b32 s28, exec_lo, s28
	s_cbranch_execnz .LBB2_1371
; %bb.940:                              ;   in Loop: Header=BB2_869 Depth=2
	s_or_saveexec_b32 s28, s28
	v_mov_b32_e32 v114, s27
	s_xor_b32 exec_lo, exec_lo, s28
	s_cbranch_execnz .LBB2_1374
.LBB2_941:                              ;   in Loop: Header=BB2_869 Depth=2
	s_or_b32 exec_lo, exec_lo, s28
	s_and_saveexec_b32 s27, s11
	s_cbranch_execz .LBB2_943
.LBB2_942:                              ;   in Loop: Header=BB2_869 Depth=2
	v_bfe_u32 v113, v14, 16, 3
	v_bfe_u32 v116, v14, 19, 4
	s_delay_alu instid0(VALU_DEP_2) | instskip(NEXT) | instid1(VALU_DEP_2)
	v_clz_i32_u32_e32 v114, v113
	v_cmp_eq_u32_e32 vcc_lo, 0, v116
	s_delay_alu instid0(VALU_DEP_2) | instskip(NEXT) | instid1(VALU_DEP_1)
	v_min_u32_e32 v114, 32, v114
	v_subrev_nc_u32_e32 v115, 28, v114
	v_sub_nc_u32_e32 v114, 29, v114
	s_delay_alu instid0(VALU_DEP_1) | instskip(NEXT) | instid1(VALU_DEP_1)
	v_dual_cndmask_b32 v114, v116, v114 :: v_dual_lshlrev_b32 v115, v115, v112
	v_and_b32_e32 v115, 7, v115
	v_lshlrev_b32_e32 v112, 24, v112
	s_delay_alu instid0(VALU_DEP_3) | instskip(NEXT) | instid1(VALU_DEP_2)
	v_lshl_add_u32 v114, v114, 23, 0x3b800000
	v_dual_cndmask_b32 v113, v113, v115 :: v_dual_and_b32 v112, 0x80000000, v112
	s_delay_alu instid0(VALU_DEP_1) | instskip(NEXT) | instid1(VALU_DEP_1)
	v_lshlrev_b32_e32 v113, 20, v113
	v_or3_b32 v114, v112, v114, v113
.LBB2_943:                              ;   in Loop: Header=BB2_869 Depth=2
	s_or_b32 exec_lo, exec_lo, s27
	v_and_b32_e32 v113, 0xff, v103
	s_mov_b32 s11, 0
	s_mov_b32 s28, exec_lo
                                        ; implicit-def: $sgpr27
	s_delay_alu instid0(VALU_DEP_1)
	v_cmpx_lt_i16_e32 0x7f, v113
	s_xor_b32 s28, exec_lo, s28
	s_cbranch_execnz .LBB2_1375
; %bb.944:                              ;   in Loop: Header=BB2_869 Depth=2
	s_or_saveexec_b32 s28, s28
	v_mov_b32_e32 v112, s27
	s_xor_b32 exec_lo, exec_lo, s28
	s_cbranch_execnz .LBB2_1378
.LBB2_945:                              ;   in Loop: Header=BB2_869 Depth=2
	s_or_b32 exec_lo, exec_lo, s28
	s_and_saveexec_b32 s27, s11
	s_cbranch_execz .LBB2_947
.LBB2_946:                              ;   in Loop: Header=BB2_869 Depth=2
	v_bfe_u32 v112, v10, 16, 3
	v_bfe_u32 v116, v10, 19, 4
	s_delay_alu instid0(VALU_DEP_2) | instskip(NEXT) | instid1(VALU_DEP_2)
	v_clz_i32_u32_e32 v113, v112
	v_cmp_eq_u32_e32 vcc_lo, 0, v116
	s_delay_alu instid0(VALU_DEP_2) | instskip(NEXT) | instid1(VALU_DEP_1)
	v_min_u32_e32 v113, 32, v113
	v_subrev_nc_u32_e32 v115, 28, v113
	v_sub_nc_u32_e32 v113, 29, v113
	s_delay_alu instid0(VALU_DEP_2) | instskip(SKIP_1) | instid1(VALU_DEP_2)
	v_lshlrev_b32_e32 v115, v115, v103
	v_lshlrev_b32_e32 v103, 24, v103
	v_and_b32_e32 v115, 7, v115
	s_delay_alu instid0(VALU_DEP_2) | instskip(NEXT) | instid1(VALU_DEP_2)
	v_and_b32_e32 v103, 0x80000000, v103
	v_cndmask_b32_e32 v112, v112, v115, vcc_lo
	s_delay_alu instid0(VALU_DEP_1) | instskip(NEXT) | instid1(VALU_DEP_1)
	v_dual_cndmask_b32 v113, v116, v113 :: v_dual_lshlrev_b32 v112, 20, v112
	v_lshl_add_u32 v113, v113, 23, 0x3b800000
	s_delay_alu instid0(VALU_DEP_1)
	v_or3_b32 v112, v103, v113, v112
.LBB2_947:                              ;   in Loop: Header=BB2_869 Depth=2
	s_or_b32 exec_lo, exec_lo, s27
	s_delay_alu instid0(VALU_DEP_1) | instskip(NEXT) | instid1(VALU_DEP_1)
	v_dual_max_f32 v103, v112, v112 :: v_dual_max_f32 v112, v114, v114
	v_min_f32_e32 v114, v112, v103
.LBB2_948:                              ;   in Loop: Header=BB2_869 Depth=2
	s_delay_alu instid0(VALU_DEP_1) | instskip(NEXT) | instid1(VALU_DEP_1)
	v_and_b32_e32 v103, 0x7f800000, v114
	v_cmp_ne_u32_e32 vcc_lo, 0x7f800000, v103
	v_mov_b32_e32 v103, 0x80
	s_and_saveexec_b32 s27, vcc_lo
	s_cbranch_execz .LBB2_956
; %bb.949:                              ;   in Loop: Header=BB2_869 Depth=2
	v_mov_b32_e32 v103, 0
	s_mov_b32 s28, exec_lo
	v_cmpx_ne_u32_e32 0, v114
	s_cbranch_execz .LBB2_955
; %bb.950:                              ;   in Loop: Header=BB2_869 Depth=2
	v_bfe_u32 v103, v114, 23, 8
	s_delay_alu instid0(VALU_DEP_1) | instskip(SKIP_1) | instid1(VALU_DEP_2)
	v_sub_nc_u32_e32 v113, 0x78, v103
	v_cmp_gt_u32_e32 vcc_lo, 0x79, v103
	v_dual_cndmask_b32 v113, 0, v113 :: v_dual_and_b32 v112, 0x7fffff, v114
	s_delay_alu instid0(VALU_DEP_1) | instskip(SKIP_2) | instid1(VALU_DEP_4)
	v_or_b32_e32 v115, 0x800000, v112
	v_cmp_eq_u32_e32 vcc_lo, 0, v103
	v_add_nc_u32_e32 v103, 0xffffff89, v103
	v_cndmask_b32_e64 v113, v113, 0x77, vcc_lo
	s_delay_alu instid0(VALU_DEP_4) | instskip(NEXT) | instid1(VALU_DEP_3)
	v_cndmask_b32_e32 v112, v115, v112, vcc_lo
	v_cndmask_b32_e64 v103, v103, 0xffffff8a, vcc_lo
	s_delay_alu instid0(VALU_DEP_3) | instskip(NEXT) | instid1(VALU_DEP_3)
	v_lshl_add_u32 v115, 0x100000, v113, -1
	v_lshrrev_b32_e32 v116, v113, v112
	v_lshlrev_b32_e64 v118, v113, 0x80000
	s_delay_alu instid0(VALU_DEP_4) | instskip(NEXT) | instid1(VALU_DEP_4)
	v_add_nc_u32_e32 v113, v113, v103
	v_and_b32_e32 v112, v115, v112
	s_delay_alu instid0(VALU_DEP_4) | instskip(NEXT) | instid1(VALU_DEP_2)
	v_bfe_u32 v117, v116, 20, 1
	v_cmp_eq_u32_e64 s11, v112, v118
	s_delay_alu instid0(VALU_DEP_2) | instskip(NEXT) | instid1(VALU_DEP_1)
	v_add_nc_u32_e32 v115, -1, v117
	v_cndmask_b32_e64 v112, 0, v115, s11
	v_lshrrev_b32_e32 v115, 23, v116
	s_mov_b32 s11, exec_lo
	s_delay_alu instid0(VALU_DEP_2) | instskip(NEXT) | instid1(VALU_DEP_2)
	v_add_nc_u32_e32 v112, v112, v116
	v_xor_b32_e32 v115, 1, v115
	s_delay_alu instid0(VALU_DEP_2) | instskip(NEXT) | instid1(VALU_DEP_1)
	v_and_b32_e32 v103, 0xfffff, v112
	v_add_nc_u32_e32 v112, v103, v116
                                        ; implicit-def: $vgpr103
	s_delay_alu instid0(VALU_DEP_3)
	v_cmpx_ne_u32_e64 v113, v115
	s_xor_b32 s11, exec_lo, s11
; %bb.951:                              ;   in Loop: Header=BB2_869 Depth=2
	s_delay_alu instid0(VALU_DEP_2) | instskip(SKIP_2) | instid1(VALU_DEP_2)
	v_cmp_lt_u32_e32 vcc_lo, 0xffffff, v112
	v_sub_nc_u32_e32 v103, v113, v115
	v_cndmask_b32_e64 v113, 0, 1, vcc_lo
	v_add_co_ci_u32_e32 v103, vcc_lo, 0, v103, vcc_lo
	s_delay_alu instid0(VALU_DEP_2)
	v_lshrrev_b32_e32 v112, v113, v112
; %bb.952:                              ;   in Loop: Header=BB2_869 Depth=2
	s_and_not1_saveexec_b32 s11, s11
; %bb.953:                              ;   in Loop: Header=BB2_869 Depth=2
	s_delay_alu instid0(VALU_DEP_1)
	v_bfe_u32 v103, v112, 23, 1
; %bb.954:                              ;   in Loop: Header=BB2_869 Depth=2
	s_or_b32 exec_lo, exec_lo, s11
	v_lshrrev_b32_e32 v112, 20, v112
	s_delay_alu instid0(VALU_DEP_2) | instskip(SKIP_2) | instid1(VALU_DEP_2)
	v_cmp_gt_i32_e32 vcc_lo, 16, v103
	v_lshrrev_b32_e32 v113, 24, v114
	v_min_i32_e32 v114, 15, v103
	v_dual_cndmask_b32 v112, 7, v112 :: v_dual_and_b32 v113, 0x80, v113
	s_delay_alu instid0(VALU_DEP_1) | instskip(SKIP_1) | instid1(VALU_DEP_2)
	v_or_b32_e32 v103, v103, v112
	v_and_b32_e32 v115, 7, v112
	v_cmp_ne_u32_e32 vcc_lo, 0, v103
	v_lshlrev_b32_e32 v114, 3, v114
	s_delay_alu instid0(VALU_DEP_1) | instskip(NEXT) | instid1(VALU_DEP_1)
	v_or3_b32 v112, v114, v113, v115
	v_cndmask_b32_e32 v103, 0, v112, vcc_lo
.LBB2_955:                              ;   in Loop: Header=BB2_869 Depth=2
	s_or_b32 exec_lo, exec_lo, s28
.LBB2_956:                              ;   in Loop: Header=BB2_869 Depth=2
	s_delay_alu instid0(SALU_CYCLE_1) | instskip(SKIP_3) | instid1(VALU_DEP_2)
	s_or_b32 exec_lo, exec_lo, s27
	v_lshrrev_b32_e32 v113, 24, v14
	v_lshrrev_b32_e32 v112, 24, v10
	s_and_b32 vcc_lo, exec_lo, s26
	v_cmp_lt_i16_e64 s11, 0x7f, v113
	s_cbranch_vccz .LBB2_966
; %bb.957:                              ;   in Loop: Header=BB2_869 Depth=2
	s_mov_b32 s27, 0
                                        ; implicit-def: $sgpr28
	s_delay_alu instid0(VALU_DEP_1) | instskip(NEXT) | instid1(SALU_CYCLE_1)
	s_and_saveexec_b32 s29, s11
	s_xor_b32 s11, exec_lo, s29
	s_cbranch_execnz .LBB2_1379
; %bb.958:                              ;   in Loop: Header=BB2_869 Depth=2
	s_or_saveexec_b32 s11, s11
	v_mov_b32_e32 v114, s28
	s_xor_b32 exec_lo, exec_lo, s11
	s_cbranch_execnz .LBB2_1382
.LBB2_959:                              ;   in Loop: Header=BB2_869 Depth=2
	s_or_b32 exec_lo, exec_lo, s11
	s_and_saveexec_b32 s11, s27
	s_cbranch_execz .LBB2_961
.LBB2_960:                              ;   in Loop: Header=BB2_869 Depth=2
	v_bfe_u32 v114, v14, 24, 3
	v_bfe_u32 v117, v14, 27, 4
	s_delay_alu instid0(VALU_DEP_2) | instskip(NEXT) | instid1(VALU_DEP_2)
	v_clz_i32_u32_e32 v115, v114
	v_cmp_eq_u32_e32 vcc_lo, 0, v117
	s_delay_alu instid0(VALU_DEP_2) | instskip(NEXT) | instid1(VALU_DEP_1)
	v_min_u32_e32 v115, 32, v115
	v_subrev_nc_u32_e32 v116, 28, v115
	v_sub_nc_u32_e32 v115, 29, v115
	s_delay_alu instid0(VALU_DEP_1) | instskip(NEXT) | instid1(VALU_DEP_1)
	v_dual_cndmask_b32 v115, v117, v115 :: v_dual_lshlrev_b32 v116, v116, v113
	v_and_b32_e32 v116, 7, v116
	s_delay_alu instid0(VALU_DEP_2) | instskip(NEXT) | instid1(VALU_DEP_2)
	v_lshl_add_u32 v115, v115, 23, 0x3b800000
	v_cndmask_b32_e32 v114, v114, v116, vcc_lo
	v_and_b32_e32 v116, 0x80000000, v14
	s_delay_alu instid0(VALU_DEP_2) | instskip(NEXT) | instid1(VALU_DEP_1)
	v_lshlrev_b32_e32 v114, 20, v114
	v_or3_b32 v114, v116, v115, v114
.LBB2_961:                              ;   in Loop: Header=BB2_869 Depth=2
	s_or_b32 exec_lo, exec_lo, s11
	s_mov_b32 s11, 0
	s_mov_b32 s28, exec_lo
                                        ; implicit-def: $sgpr27
	v_cmpx_lt_i16_e32 0x7f, v112
	s_xor_b32 s28, exec_lo, s28
	s_cbranch_execnz .LBB2_1383
; %bb.962:                              ;   in Loop: Header=BB2_869 Depth=2
	s_or_saveexec_b32 s28, s28
	v_mov_b32_e32 v115, s27
	s_xor_b32 exec_lo, exec_lo, s28
	s_cbranch_execnz .LBB2_1386
.LBB2_963:                              ;   in Loop: Header=BB2_869 Depth=2
	s_or_b32 exec_lo, exec_lo, s28
	s_and_saveexec_b32 s27, s11
	s_cbranch_execz .LBB2_965
.LBB2_964:                              ;   in Loop: Header=BB2_869 Depth=2
	v_bfe_u32 v115, v10, 24, 3
	v_bfe_u32 v118, v10, 27, 4
	s_delay_alu instid0(VALU_DEP_2) | instskip(NEXT) | instid1(VALU_DEP_2)
	v_clz_i32_u32_e32 v116, v115
	v_cmp_eq_u32_e32 vcc_lo, 0, v118
	s_delay_alu instid0(VALU_DEP_2) | instskip(NEXT) | instid1(VALU_DEP_1)
	v_min_u32_e32 v116, 32, v116
	v_subrev_nc_u32_e32 v117, 28, v116
	v_sub_nc_u32_e32 v116, 29, v116
	s_delay_alu instid0(VALU_DEP_2) | instskip(NEXT) | instid1(VALU_DEP_1)
	v_lshlrev_b32_e32 v117, v117, v112
	v_dual_cndmask_b32 v116, v118, v116 :: v_dual_and_b32 v117, 7, v117
	s_delay_alu instid0(VALU_DEP_1) | instskip(NEXT) | instid1(VALU_DEP_2)
	v_lshl_add_u32 v116, v116, 23, 0x3b800000
	v_cndmask_b32_e32 v115, v115, v117, vcc_lo
	v_and_b32_e32 v117, 0x80000000, v10
	s_delay_alu instid0(VALU_DEP_2) | instskip(NEXT) | instid1(VALU_DEP_1)
	v_lshlrev_b32_e32 v115, 20, v115
	v_or3_b32 v115, v117, v116, v115
.LBB2_965:                              ;   in Loop: Header=BB2_869 Depth=2
	s_or_b32 exec_lo, exec_lo, s27
	s_delay_alu instid0(VALU_DEP_1) | instskip(SKIP_1) | instid1(VALU_DEP_1)
	v_dual_max_f32 v115, v115, v115 :: v_dual_max_f32 v114, v114, v114
	s_mov_b32 s11, 0
	v_max_f32_e32 v114, v114, v115
	s_branch .LBB2_967
.LBB2_966:                              ;   in Loop: Header=BB2_869 Depth=2
	s_mov_b32 s11, -1
                                        ; implicit-def: $vgpr114
.LBB2_967:                              ;   in Loop: Header=BB2_869 Depth=2
	s_delay_alu instid0(SALU_CYCLE_1)
	s_and_b32 vcc_lo, exec_lo, s11
	s_cbranch_vccz .LBB2_977
; %bb.968:                              ;   in Loop: Header=BB2_869 Depth=2
	s_mov_b32 s11, 0
	s_mov_b32 s28, exec_lo
                                        ; implicit-def: $sgpr27
	v_cmpx_lt_i16_e32 0x7f, v113
	s_xor_b32 s28, exec_lo, s28
	s_cbranch_execnz .LBB2_1387
; %bb.969:                              ;   in Loop: Header=BB2_869 Depth=2
	s_or_saveexec_b32 s28, s28
	v_mov_b32_e32 v114, s27
	s_xor_b32 exec_lo, exec_lo, s28
	s_cbranch_execnz .LBB2_1390
.LBB2_970:                              ;   in Loop: Header=BB2_869 Depth=2
	s_or_b32 exec_lo, exec_lo, s28
	s_and_saveexec_b32 s27, s11
	s_cbranch_execz .LBB2_972
.LBB2_971:                              ;   in Loop: Header=BB2_869 Depth=2
	v_bfe_u32 v114, v14, 24, 3
	s_delay_alu instid0(VALU_DEP_1) | instskip(NEXT) | instid1(VALU_DEP_1)
	v_clz_i32_u32_e32 v115, v114
	v_min_u32_e32 v115, 32, v115
	s_delay_alu instid0(VALU_DEP_1) | instskip(SKIP_1) | instid1(VALU_DEP_2)
	v_subrev_nc_u32_e32 v116, 28, v115
	v_sub_nc_u32_e32 v115, 29, v115
	v_lshlrev_b32_e32 v113, v116, v113
	v_bfe_u32 v116, v14, 27, 4
	v_and_b32_e32 v14, 0x80000000, v14
	s_delay_alu instid0(VALU_DEP_3) | instskip(NEXT) | instid1(VALU_DEP_3)
	v_and_b32_e32 v113, 7, v113
	v_cmp_eq_u32_e32 vcc_lo, 0, v116
	v_cndmask_b32_e32 v115, v116, v115, vcc_lo
	s_delay_alu instid0(VALU_DEP_3) | instskip(NEXT) | instid1(VALU_DEP_2)
	v_cndmask_b32_e32 v113, v114, v113, vcc_lo
	v_lshl_add_u32 v114, v115, 23, 0x3b800000
	s_delay_alu instid0(VALU_DEP_2) | instskip(NEXT) | instid1(VALU_DEP_1)
	v_lshlrev_b32_e32 v113, 20, v113
	v_or3_b32 v114, v14, v114, v113
.LBB2_972:                              ;   in Loop: Header=BB2_869 Depth=2
	s_or_b32 exec_lo, exec_lo, s27
	s_mov_b32 s11, 0
	s_mov_b32 s28, exec_lo
                                        ; implicit-def: $sgpr27
	v_cmpx_lt_i16_e32 0x7f, v112
	s_xor_b32 s28, exec_lo, s28
	s_cbranch_execnz .LBB2_1391
; %bb.973:                              ;   in Loop: Header=BB2_869 Depth=2
	s_or_saveexec_b32 s28, s28
	v_mov_b32_e32 v14, s27
	s_xor_b32 exec_lo, exec_lo, s28
	s_cbranch_execnz .LBB2_1394
.LBB2_974:                              ;   in Loop: Header=BB2_869 Depth=2
	s_or_b32 exec_lo, exec_lo, s28
	s_and_saveexec_b32 s27, s11
	s_cbranch_execz .LBB2_976
.LBB2_975:                              ;   in Loop: Header=BB2_869 Depth=2
	v_bfe_u32 v14, v10, 24, 3
	s_delay_alu instid0(VALU_DEP_1) | instskip(NEXT) | instid1(VALU_DEP_1)
	v_clz_i32_u32_e32 v113, v14
	v_min_u32_e32 v113, 32, v113
	s_delay_alu instid0(VALU_DEP_1) | instskip(SKIP_1) | instid1(VALU_DEP_2)
	v_subrev_nc_u32_e32 v115, 28, v113
	v_sub_nc_u32_e32 v113, 29, v113
	v_lshlrev_b32_e32 v112, v115, v112
	v_bfe_u32 v115, v10, 27, 4
	v_and_b32_e32 v10, 0x80000000, v10
	s_delay_alu instid0(VALU_DEP_2) | instskip(NEXT) | instid1(VALU_DEP_4)
	v_cmp_eq_u32_e32 vcc_lo, 0, v115
	v_dual_cndmask_b32 v113, v115, v113 :: v_dual_and_b32 v112, 7, v112
	s_delay_alu instid0(VALU_DEP_1) | instskip(NEXT) | instid1(VALU_DEP_2)
	v_cndmask_b32_e32 v14, v14, v112, vcc_lo
	v_lshl_add_u32 v112, v113, 23, 0x3b800000
	s_delay_alu instid0(VALU_DEP_2) | instskip(NEXT) | instid1(VALU_DEP_1)
	v_lshlrev_b32_e32 v14, 20, v14
	v_or3_b32 v14, v10, v112, v14
.LBB2_976:                              ;   in Loop: Header=BB2_869 Depth=2
	s_or_b32 exec_lo, exec_lo, s27
	s_delay_alu instid0(VALU_DEP_1) | instskip(SKIP_1) | instid1(VALU_DEP_1)
	v_max_f32_e32 v10, v14, v14
	v_max_f32_e32 v14, v114, v114
	v_min_f32_e32 v114, v14, v10
.LBB2_977:                              ;   in Loop: Header=BB2_869 Depth=2
	s_delay_alu instid0(VALU_DEP_1) | instskip(NEXT) | instid1(VALU_DEP_1)
	v_and_b32_e32 v10, 0x7f800000, v114
	v_cmp_ne_u32_e32 vcc_lo, 0x7f800000, v10
	v_mov_b32_e32 v10, 0x80
	s_and_saveexec_b32 s27, vcc_lo
	s_cbranch_execz .LBB2_985
; %bb.978:                              ;   in Loop: Header=BB2_869 Depth=2
	v_mov_b32_e32 v10, 0
	s_mov_b32 s28, exec_lo
	v_cmpx_ne_u32_e32 0, v114
	s_cbranch_execz .LBB2_984
; %bb.979:                              ;   in Loop: Header=BB2_869 Depth=2
	v_bfe_u32 v10, v114, 23, 8
	v_and_b32_e32 v14, 0x7fffff, v114
	s_delay_alu instid0(VALU_DEP_2) | instskip(SKIP_1) | instid1(VALU_DEP_3)
	v_sub_nc_u32_e32 v112, 0x78, v10
	v_cmp_gt_u32_e32 vcc_lo, 0x79, v10
	v_or_b32_e32 v113, 0x800000, v14
	s_delay_alu instid0(VALU_DEP_3) | instskip(SKIP_2) | instid1(VALU_DEP_3)
	v_cndmask_b32_e32 v112, 0, v112, vcc_lo
	v_cmp_eq_u32_e32 vcc_lo, 0, v10
	v_add_nc_u32_e32 v10, 0xffffff89, v10
	v_cndmask_b32_e64 v112, v112, 0x77, vcc_lo
	v_cndmask_b32_e32 v14, v113, v14, vcc_lo
	s_delay_alu instid0(VALU_DEP_3) | instskip(NEXT) | instid1(VALU_DEP_3)
	v_cndmask_b32_e64 v10, v10, 0xffffff8a, vcc_lo
	v_lshl_add_u32 v113, 0x100000, v112, -1
	s_delay_alu instid0(VALU_DEP_3) | instskip(SKIP_1) | instid1(VALU_DEP_4)
	v_lshrrev_b32_e32 v115, v112, v14
	v_lshlrev_b32_e64 v117, v112, 0x80000
	v_add_nc_u32_e32 v112, v112, v10
	s_delay_alu instid0(VALU_DEP_4) | instskip(NEXT) | instid1(VALU_DEP_4)
	v_and_b32_e32 v14, v113, v14
	v_bfe_u32 v116, v115, 20, 1
	s_delay_alu instid0(VALU_DEP_2) | instskip(NEXT) | instid1(VALU_DEP_2)
	v_cmp_eq_u32_e64 s11, v14, v117
	v_add_nc_u32_e32 v113, -1, v116
	s_delay_alu instid0(VALU_DEP_1) | instskip(SKIP_2) | instid1(VALU_DEP_2)
	v_cndmask_b32_e64 v14, 0, v113, s11
	v_lshrrev_b32_e32 v113, 23, v115
	s_mov_b32 s11, exec_lo
	v_add_nc_u32_e32 v14, v14, v115
	s_delay_alu instid0(VALU_DEP_2) | instskip(NEXT) | instid1(VALU_DEP_2)
	v_xor_b32_e32 v113, 1, v113
	v_and_b32_e32 v10, 0xfffff, v14
	s_delay_alu instid0(VALU_DEP_1) | instskip(NEXT) | instid1(VALU_DEP_3)
	v_add_nc_u32_e32 v14, v10, v115
                                        ; implicit-def: $vgpr10
	v_cmpx_ne_u32_e64 v112, v113
	s_xor_b32 s11, exec_lo, s11
; %bb.980:                              ;   in Loop: Header=BB2_869 Depth=2
	s_delay_alu instid0(VALU_DEP_2) | instskip(SKIP_2) | instid1(VALU_DEP_2)
	v_cmp_lt_u32_e32 vcc_lo, 0xffffff, v14
	v_sub_nc_u32_e32 v10, v112, v113
	v_cndmask_b32_e64 v112, 0, 1, vcc_lo
	v_add_co_ci_u32_e32 v10, vcc_lo, 0, v10, vcc_lo
	s_delay_alu instid0(VALU_DEP_2)
	v_lshrrev_b32_e32 v14, v112, v14
; %bb.981:                              ;   in Loop: Header=BB2_869 Depth=2
	s_and_not1_saveexec_b32 s11, s11
; %bb.982:                              ;   in Loop: Header=BB2_869 Depth=2
	s_delay_alu instid0(VALU_DEP_1)
	v_bfe_u32 v10, v14, 23, 1
; %bb.983:                              ;   in Loop: Header=BB2_869 Depth=2
	s_or_b32 exec_lo, exec_lo, s11
	v_lshrrev_b32_e32 v14, 20, v14
	s_delay_alu instid0(VALU_DEP_2) | instskip(SKIP_2) | instid1(VALU_DEP_4)
	v_cmp_gt_i32_e32 vcc_lo, 16, v10
	v_lshrrev_b32_e32 v112, 24, v114
	v_min_i32_e32 v113, 15, v10
	v_cndmask_b32_e32 v14, 7, v14, vcc_lo
	s_delay_alu instid0(VALU_DEP_3) | instskip(NEXT) | instid1(VALU_DEP_3)
	v_and_b32_e32 v112, 0x80, v112
	v_lshlrev_b32_e32 v113, 3, v113
	s_delay_alu instid0(VALU_DEP_3) | instskip(SKIP_1) | instid1(VALU_DEP_2)
	v_and_b32_e32 v114, 7, v14
	v_or_b32_e32 v10, v10, v14
	v_or3_b32 v14, v113, v112, v114
	s_delay_alu instid0(VALU_DEP_2) | instskip(NEXT) | instid1(VALU_DEP_2)
	v_cmp_ne_u32_e32 vcc_lo, 0, v10
	v_cndmask_b32_e32 v10, 0, v14, vcc_lo
.LBB2_984:                              ;   in Loop: Header=BB2_869 Depth=2
	s_or_b32 exec_lo, exec_lo, s28
.LBB2_985:                              ;   in Loop: Header=BB2_869 Depth=2
	s_delay_alu instid0(SALU_CYCLE_1) | instskip(SKIP_2) | instid1(VALU_DEP_1)
	s_or_b32 exec_lo, exec_lo, s27
	v_and_b32_e32 v14, 0xff, v15
	s_and_b32 vcc_lo, exec_lo, s26
	v_cmp_lt_i16_e64 s11, 0x7f, v14
	s_cbranch_vccz .LBB2_995
; %bb.986:                              ;   in Loop: Header=BB2_869 Depth=2
	s_mov_b32 s27, 0
                                        ; implicit-def: $sgpr28
	s_delay_alu instid0(VALU_DEP_1) | instskip(NEXT) | instid1(SALU_CYCLE_1)
	s_and_saveexec_b32 s29, s11
	s_xor_b32 s11, exec_lo, s29
	s_cbranch_execnz .LBB2_1395
; %bb.987:                              ;   in Loop: Header=BB2_869 Depth=2
	s_or_saveexec_b32 s11, s11
	v_mov_b32_e32 v112, s28
	s_xor_b32 exec_lo, exec_lo, s11
	s_cbranch_execnz .LBB2_1398
.LBB2_988:                              ;   in Loop: Header=BB2_869 Depth=2
	s_or_b32 exec_lo, exec_lo, s11
	s_and_saveexec_b32 s11, s27
	s_cbranch_execz .LBB2_990
.LBB2_989:                              ;   in Loop: Header=BB2_869 Depth=2
	v_bfe_u32 v115, v15, 3, 4
	v_lshlrev_b32_e32 v116, 24, v15
	s_delay_alu instid0(VALU_DEP_2) | instskip(SKIP_1) | instid1(VALU_DEP_1)
	v_cmp_eq_u32_e32 vcc_lo, 0, v115
	v_and_b32_e32 v112, 7, v15
	v_clz_i32_u32_e32 v113, v112
	s_delay_alu instid0(VALU_DEP_1) | instskip(NEXT) | instid1(VALU_DEP_1)
	v_min_u32_e32 v113, 32, v113
	v_subrev_nc_u32_e32 v114, 28, v113
	v_sub_nc_u32_e32 v113, 29, v113
	s_delay_alu instid0(VALU_DEP_1) | instskip(NEXT) | instid1(VALU_DEP_1)
	v_dual_cndmask_b32 v113, v115, v113 :: v_dual_lshlrev_b32 v114, v114, v15
	v_and_b32_e32 v114, 7, v114
	s_delay_alu instid0(VALU_DEP_2) | instskip(NEXT) | instid1(VALU_DEP_2)
	v_lshl_add_u32 v113, v113, 23, 0x3b800000
	v_cndmask_b32_e32 v112, v112, v114, vcc_lo
	v_and_b32_e32 v114, 0x80000000, v116
	s_delay_alu instid0(VALU_DEP_2) | instskip(NEXT) | instid1(VALU_DEP_1)
	v_lshlrev_b32_e32 v112, 20, v112
	v_or3_b32 v112, v114, v113, v112
.LBB2_990:                              ;   in Loop: Header=BB2_869 Depth=2
	s_or_b32 exec_lo, exec_lo, s11
	v_and_b32_e32 v114, 0xff, v11
	s_mov_b32 s11, 0
	s_mov_b32 s28, exec_lo
                                        ; implicit-def: $sgpr27
	s_delay_alu instid0(VALU_DEP_1)
	v_cmpx_lt_i16_e32 0x7f, v114
	s_xor_b32 s28, exec_lo, s28
	s_cbranch_execnz .LBB2_1399
; %bb.991:                              ;   in Loop: Header=BB2_869 Depth=2
	s_or_saveexec_b32 s28, s28
	v_mov_b32_e32 v113, s27
	s_xor_b32 exec_lo, exec_lo, s28
	s_cbranch_execnz .LBB2_1402
.LBB2_992:                              ;   in Loop: Header=BB2_869 Depth=2
	s_or_b32 exec_lo, exec_lo, s28
	s_and_saveexec_b32 s27, s11
	s_cbranch_execz .LBB2_994
.LBB2_993:                              ;   in Loop: Header=BB2_869 Depth=2
	v_bfe_u32 v116, v11, 3, 4
	v_lshlrev_b32_e32 v117, 24, v11
	s_delay_alu instid0(VALU_DEP_2) | instskip(SKIP_1) | instid1(VALU_DEP_1)
	v_cmp_eq_u32_e32 vcc_lo, 0, v116
	v_and_b32_e32 v113, 7, v11
	v_clz_i32_u32_e32 v114, v113
	s_delay_alu instid0(VALU_DEP_1) | instskip(NEXT) | instid1(VALU_DEP_1)
	v_min_u32_e32 v114, 32, v114
	v_subrev_nc_u32_e32 v115, 28, v114
	v_sub_nc_u32_e32 v114, 29, v114
	s_delay_alu instid0(VALU_DEP_1) | instskip(NEXT) | instid1(VALU_DEP_1)
	v_dual_cndmask_b32 v114, v116, v114 :: v_dual_lshlrev_b32 v115, v115, v11
	v_and_b32_e32 v115, 7, v115
	s_delay_alu instid0(VALU_DEP_2) | instskip(NEXT) | instid1(VALU_DEP_2)
	v_lshl_add_u32 v114, v114, 23, 0x3b800000
	v_cndmask_b32_e32 v113, v113, v115, vcc_lo
	v_and_b32_e32 v115, 0x80000000, v117
	s_delay_alu instid0(VALU_DEP_2) | instskip(NEXT) | instid1(VALU_DEP_1)
	v_lshlrev_b32_e32 v113, 20, v113
	v_or3_b32 v113, v115, v114, v113
.LBB2_994:                              ;   in Loop: Header=BB2_869 Depth=2
	s_or_b32 exec_lo, exec_lo, s27
	s_delay_alu instid0(VALU_DEP_1) | instskip(SKIP_1) | instid1(VALU_DEP_1)
	v_dual_max_f32 v113, v113, v113 :: v_dual_max_f32 v112, v112, v112
	s_mov_b32 s11, 0
	v_max_f32_e32 v112, v112, v113
	s_branch .LBB2_996
.LBB2_995:                              ;   in Loop: Header=BB2_869 Depth=2
	s_mov_b32 s11, -1
                                        ; implicit-def: $vgpr112
.LBB2_996:                              ;   in Loop: Header=BB2_869 Depth=2
	s_delay_alu instid0(SALU_CYCLE_1)
	s_and_b32 vcc_lo, exec_lo, s11
	s_cbranch_vccz .LBB2_1006
; %bb.997:                              ;   in Loop: Header=BB2_869 Depth=2
	s_mov_b32 s11, 0
	s_mov_b32 s28, exec_lo
                                        ; implicit-def: $sgpr27
	v_cmpx_lt_i16_e32 0x7f, v14
	s_xor_b32 s28, exec_lo, s28
	s_cbranch_execnz .LBB2_1403
; %bb.998:                              ;   in Loop: Header=BB2_869 Depth=2
	s_or_saveexec_b32 s28, s28
	v_mov_b32_e32 v112, s27
	s_xor_b32 exec_lo, exec_lo, s28
	s_cbranch_execnz .LBB2_1406
.LBB2_999:                              ;   in Loop: Header=BB2_869 Depth=2
	s_or_b32 exec_lo, exec_lo, s28
	s_and_saveexec_b32 s27, s11
	s_cbranch_execz .LBB2_1001
.LBB2_1000:                             ;   in Loop: Header=BB2_869 Depth=2
	v_and_b32_e32 v14, 7, v15
	v_bfe_u32 v114, v15, 3, 4
	s_delay_alu instid0(VALU_DEP_2) | instskip(NEXT) | instid1(VALU_DEP_2)
	v_clz_i32_u32_e32 v112, v14
	v_cmp_eq_u32_e32 vcc_lo, 0, v114
	s_delay_alu instid0(VALU_DEP_2) | instskip(NEXT) | instid1(VALU_DEP_1)
	v_min_u32_e32 v112, 32, v112
	v_subrev_nc_u32_e32 v113, 28, v112
	v_sub_nc_u32_e32 v112, 29, v112
	s_delay_alu instid0(VALU_DEP_1) | instskip(NEXT) | instid1(VALU_DEP_1)
	v_dual_cndmask_b32 v112, v114, v112 :: v_dual_lshlrev_b32 v113, v113, v15
	v_and_b32_e32 v113, 7, v113
	v_lshlrev_b32_e32 v115, 24, v15
	s_delay_alu instid0(VALU_DEP_3) | instskip(NEXT) | instid1(VALU_DEP_2)
	v_lshl_add_u32 v112, v112, 23, 0x3b800000
	v_dual_cndmask_b32 v14, v14, v113 :: v_dual_and_b32 v113, 0x80000000, v115
	s_delay_alu instid0(VALU_DEP_1) | instskip(NEXT) | instid1(VALU_DEP_1)
	v_lshlrev_b32_e32 v14, 20, v14
	v_or3_b32 v112, v113, v112, v14
.LBB2_1001:                             ;   in Loop: Header=BB2_869 Depth=2
	s_or_b32 exec_lo, exec_lo, s27
	v_and_b32_e32 v113, 0xff, v11
	s_mov_b32 s11, 0
	s_mov_b32 s28, exec_lo
                                        ; implicit-def: $sgpr27
	s_delay_alu instid0(VALU_DEP_1)
	v_cmpx_lt_i16_e32 0x7f, v113
	s_xor_b32 s28, exec_lo, s28
	s_cbranch_execnz .LBB2_1407
; %bb.1002:                             ;   in Loop: Header=BB2_869 Depth=2
	s_or_saveexec_b32 s28, s28
	v_mov_b32_e32 v14, s27
	s_xor_b32 exec_lo, exec_lo, s28
	s_cbranch_execnz .LBB2_1410
.LBB2_1003:                             ;   in Loop: Header=BB2_869 Depth=2
	s_or_b32 exec_lo, exec_lo, s28
	s_and_saveexec_b32 s27, s11
	s_cbranch_execz .LBB2_1005
.LBB2_1004:                             ;   in Loop: Header=BB2_869 Depth=2
	v_bfe_u32 v115, v11, 3, 4
	v_lshlrev_b32_e32 v116, 24, v11
	s_delay_alu instid0(VALU_DEP_2) | instskip(SKIP_1) | instid1(VALU_DEP_1)
	v_cmp_eq_u32_e32 vcc_lo, 0, v115
	v_and_b32_e32 v14, 7, v11
	v_clz_i32_u32_e32 v113, v14
	s_delay_alu instid0(VALU_DEP_1) | instskip(NEXT) | instid1(VALU_DEP_1)
	v_min_u32_e32 v113, 32, v113
	v_subrev_nc_u32_e32 v114, 28, v113
	v_sub_nc_u32_e32 v113, 29, v113
	s_delay_alu instid0(VALU_DEP_1) | instskip(NEXT) | instid1(VALU_DEP_1)
	v_dual_cndmask_b32 v113, v115, v113 :: v_dual_lshlrev_b32 v114, v114, v11
	v_and_b32_e32 v114, 7, v114
	s_delay_alu instid0(VALU_DEP_2) | instskip(NEXT) | instid1(VALU_DEP_2)
	v_lshl_add_u32 v113, v113, 23, 0x3b800000
	v_cndmask_b32_e32 v14, v14, v114, vcc_lo
	v_and_b32_e32 v114, 0x80000000, v116
	s_delay_alu instid0(VALU_DEP_2) | instskip(NEXT) | instid1(VALU_DEP_1)
	v_lshlrev_b32_e32 v14, 20, v14
	v_or3_b32 v14, v114, v113, v14
.LBB2_1005:                             ;   in Loop: Header=BB2_869 Depth=2
	s_or_b32 exec_lo, exec_lo, s27
	s_delay_alu instid0(VALU_DEP_1) | instskip(SKIP_1) | instid1(VALU_DEP_1)
	v_max_f32_e32 v14, v14, v14
	v_max_f32_e32 v112, v112, v112
	v_min_f32_e32 v112, v112, v14
.LBB2_1006:                             ;   in Loop: Header=BB2_869 Depth=2
	s_delay_alu instid0(VALU_DEP_1) | instskip(NEXT) | instid1(VALU_DEP_1)
	v_and_b32_e32 v14, 0x7f800000, v112
	v_cmp_ne_u32_e32 vcc_lo, 0x7f800000, v14
	v_mov_b32_e32 v14, 0x80
	s_and_saveexec_b32 s27, vcc_lo
	s_cbranch_execz .LBB2_1014
; %bb.1007:                             ;   in Loop: Header=BB2_869 Depth=2
	v_mov_b32_e32 v14, 0
	s_mov_b32 s28, exec_lo
	v_cmpx_ne_u32_e32 0, v112
	s_cbranch_execz .LBB2_1013
; %bb.1008:                             ;   in Loop: Header=BB2_869 Depth=2
	v_bfe_u32 v14, v112, 23, 8
	s_delay_alu instid0(VALU_DEP_1) | instskip(SKIP_1) | instid1(VALU_DEP_2)
	v_sub_nc_u32_e32 v114, 0x78, v14
	v_cmp_gt_u32_e32 vcc_lo, 0x79, v14
	v_dual_cndmask_b32 v114, 0, v114 :: v_dual_and_b32 v113, 0x7fffff, v112
	s_delay_alu instid0(VALU_DEP_1) | instskip(SKIP_2) | instid1(VALU_DEP_4)
	v_or_b32_e32 v115, 0x800000, v113
	v_cmp_eq_u32_e32 vcc_lo, 0, v14
	v_add_nc_u32_e32 v14, 0xffffff89, v14
	v_cndmask_b32_e64 v114, v114, 0x77, vcc_lo
	s_delay_alu instid0(VALU_DEP_4) | instskip(NEXT) | instid1(VALU_DEP_3)
	v_cndmask_b32_e32 v113, v115, v113, vcc_lo
	v_cndmask_b32_e64 v14, v14, 0xffffff8a, vcc_lo
	s_delay_alu instid0(VALU_DEP_3) | instskip(NEXT) | instid1(VALU_DEP_3)
	v_lshl_add_u32 v115, 0x100000, v114, -1
	v_lshrrev_b32_e32 v116, v114, v113
	v_lshlrev_b32_e64 v118, v114, 0x80000
	s_delay_alu instid0(VALU_DEP_4) | instskip(NEXT) | instid1(VALU_DEP_4)
	v_add_nc_u32_e32 v114, v114, v14
	v_and_b32_e32 v113, v115, v113
	s_delay_alu instid0(VALU_DEP_4) | instskip(NEXT) | instid1(VALU_DEP_2)
	v_bfe_u32 v117, v116, 20, 1
	v_cmp_eq_u32_e64 s11, v113, v118
	s_delay_alu instid0(VALU_DEP_2) | instskip(NEXT) | instid1(VALU_DEP_1)
	v_add_nc_u32_e32 v115, -1, v117
	v_cndmask_b32_e64 v113, 0, v115, s11
	v_lshrrev_b32_e32 v115, 23, v116
	s_mov_b32 s11, exec_lo
	s_delay_alu instid0(VALU_DEP_2) | instskip(NEXT) | instid1(VALU_DEP_2)
	v_add_nc_u32_e32 v113, v113, v116
	v_xor_b32_e32 v115, 1, v115
	s_delay_alu instid0(VALU_DEP_2) | instskip(NEXT) | instid1(VALU_DEP_1)
	v_and_b32_e32 v14, 0xfffff, v113
	v_add_nc_u32_e32 v113, v14, v116
                                        ; implicit-def: $vgpr14
	s_delay_alu instid0(VALU_DEP_3)
	v_cmpx_ne_u32_e64 v114, v115
	s_xor_b32 s11, exec_lo, s11
; %bb.1009:                             ;   in Loop: Header=BB2_869 Depth=2
	s_delay_alu instid0(VALU_DEP_2) | instskip(SKIP_2) | instid1(VALU_DEP_2)
	v_cmp_lt_u32_e32 vcc_lo, 0xffffff, v113
	v_sub_nc_u32_e32 v14, v114, v115
	v_cndmask_b32_e64 v114, 0, 1, vcc_lo
	v_add_co_ci_u32_e32 v14, vcc_lo, 0, v14, vcc_lo
	s_delay_alu instid0(VALU_DEP_2)
	v_lshrrev_b32_e32 v113, v114, v113
; %bb.1010:                             ;   in Loop: Header=BB2_869 Depth=2
	s_and_not1_saveexec_b32 s11, s11
; %bb.1011:                             ;   in Loop: Header=BB2_869 Depth=2
	s_delay_alu instid0(VALU_DEP_1)
	v_bfe_u32 v14, v113, 23, 1
; %bb.1012:                             ;   in Loop: Header=BB2_869 Depth=2
	s_or_b32 exec_lo, exec_lo, s11
	v_lshrrev_b32_e32 v113, 20, v113
	s_delay_alu instid0(VALU_DEP_2) | instskip(SKIP_2) | instid1(VALU_DEP_2)
	v_cmp_gt_i32_e32 vcc_lo, 16, v14
	v_lshrrev_b32_e32 v112, 24, v112
	v_min_i32_e32 v114, 15, v14
	v_dual_cndmask_b32 v113, 7, v113 :: v_dual_and_b32 v112, 0x80, v112
	s_delay_alu instid0(VALU_DEP_2) | instskip(NEXT) | instid1(VALU_DEP_2)
	v_lshlrev_b32_e32 v114, 3, v114
	v_or_b32_e32 v14, v14, v113
	s_delay_alu instid0(VALU_DEP_1) | instskip(SKIP_1) | instid1(VALU_DEP_1)
	v_cmp_ne_u32_e32 vcc_lo, 0, v14
	v_and_b32_e32 v115, 7, v113
	v_or3_b32 v112, v114, v112, v115
	s_delay_alu instid0(VALU_DEP_1)
	v_cndmask_b32_e32 v14, 0, v112, vcc_lo
.LBB2_1013:                             ;   in Loop: Header=BB2_869 Depth=2
	s_or_b32 exec_lo, exec_lo, s28
.LBB2_1014:                             ;   in Loop: Header=BB2_869 Depth=2
	s_delay_alu instid0(SALU_CYCLE_1) | instskip(SKIP_3) | instid1(VALU_DEP_2)
	s_or_b32 exec_lo, exec_lo, s27
	v_lshrrev_b16 v113, 8, v15
	v_lshrrev_b16 v112, 8, v11
	s_and_b32 vcc_lo, exec_lo, s26
	v_cmp_lt_i16_e64 s11, 0x7f, v113
	s_cbranch_vccz .LBB2_1024
; %bb.1015:                             ;   in Loop: Header=BB2_869 Depth=2
	s_mov_b32 s27, 0
                                        ; implicit-def: $sgpr28
	s_delay_alu instid0(VALU_DEP_1) | instskip(NEXT) | instid1(SALU_CYCLE_1)
	s_and_saveexec_b32 s29, s11
	s_xor_b32 s11, exec_lo, s29
	s_cbranch_execnz .LBB2_1411
; %bb.1016:                             ;   in Loop: Header=BB2_869 Depth=2
	s_or_saveexec_b32 s11, s11
	v_mov_b32_e32 v114, s28
	s_xor_b32 exec_lo, exec_lo, s11
	s_cbranch_execnz .LBB2_1414
.LBB2_1017:                             ;   in Loop: Header=BB2_869 Depth=2
	s_or_b32 exec_lo, exec_lo, s11
	s_and_saveexec_b32 s11, s27
	s_cbranch_execz .LBB2_1019
.LBB2_1018:                             ;   in Loop: Header=BB2_869 Depth=2
	v_and_b32_e32 v114, 0xffff, v113
	s_delay_alu instid0(VALU_DEP_1) | instskip(NEXT) | instid1(VALU_DEP_1)
	v_and_b32_e32 v115, 7, v114
	v_clz_i32_u32_e32 v116, v115
	s_delay_alu instid0(VALU_DEP_1) | instskip(NEXT) | instid1(VALU_DEP_1)
	v_min_u32_e32 v116, 32, v116
	v_subrev_nc_u32_e32 v117, 28, v116
	v_sub_nc_u32_e32 v116, 29, v116
	s_delay_alu instid0(VALU_DEP_2) | instskip(SKIP_1) | instid1(VALU_DEP_2)
	v_lshlrev_b32_e32 v117, v117, v114
	v_bfe_u32 v114, v114, 3, 4
	v_and_b32_e32 v117, 7, v117
	s_delay_alu instid0(VALU_DEP_2) | instskip(SKIP_1) | instid1(VALU_DEP_3)
	v_cmp_eq_u32_e32 vcc_lo, 0, v114
	v_cndmask_b32_e32 v114, v114, v116, vcc_lo
	v_dual_cndmask_b32 v115, v115, v117 :: v_dual_lshlrev_b32 v118, 16, v15
	s_delay_alu instid0(VALU_DEP_2) | instskip(NEXT) | instid1(VALU_DEP_2)
	v_lshl_add_u32 v114, v114, 23, 0x3b800000
	v_and_b32_e32 v116, 0x80000000, v118
	s_delay_alu instid0(VALU_DEP_3) | instskip(NEXT) | instid1(VALU_DEP_1)
	v_lshlrev_b32_e32 v115, 20, v115
	v_or3_b32 v114, v116, v114, v115
.LBB2_1019:                             ;   in Loop: Header=BB2_869 Depth=2
	s_or_b32 exec_lo, exec_lo, s11
	s_mov_b32 s11, 0
	s_mov_b32 s28, exec_lo
                                        ; implicit-def: $sgpr27
	v_cmpx_lt_i16_e32 0x7f, v112
	s_xor_b32 s28, exec_lo, s28
	s_cbranch_execnz .LBB2_1415
; %bb.1020:                             ;   in Loop: Header=BB2_869 Depth=2
	s_or_saveexec_b32 s28, s28
	v_mov_b32_e32 v115, s27
	s_xor_b32 exec_lo, exec_lo, s28
	s_cbranch_execnz .LBB2_1418
.LBB2_1021:                             ;   in Loop: Header=BB2_869 Depth=2
	s_or_b32 exec_lo, exec_lo, s28
	s_and_saveexec_b32 s27, s11
	s_cbranch_execz .LBB2_1023
.LBB2_1022:                             ;   in Loop: Header=BB2_869 Depth=2
	v_and_b32_e32 v115, 0xffff, v112
	v_lshlrev_b32_e32 v119, 16, v11
	s_delay_alu instid0(VALU_DEP_2) | instskip(NEXT) | instid1(VALU_DEP_1)
	v_and_b32_e32 v116, 7, v115
	v_clz_i32_u32_e32 v117, v116
	s_delay_alu instid0(VALU_DEP_1) | instskip(NEXT) | instid1(VALU_DEP_1)
	v_min_u32_e32 v117, 32, v117
	v_subrev_nc_u32_e32 v118, 28, v117
	v_sub_nc_u32_e32 v117, 29, v117
	s_delay_alu instid0(VALU_DEP_2) | instskip(SKIP_1) | instid1(VALU_DEP_2)
	v_lshlrev_b32_e32 v118, v118, v115
	v_bfe_u32 v115, v115, 3, 4
	v_and_b32_e32 v118, 7, v118
	s_delay_alu instid0(VALU_DEP_2) | instskip(NEXT) | instid1(VALU_DEP_2)
	v_cmp_eq_u32_e32 vcc_lo, 0, v115
	v_dual_cndmask_b32 v115, v115, v117 :: v_dual_cndmask_b32 v116, v116, v118
	v_and_b32_e32 v117, 0x80000000, v119
	s_delay_alu instid0(VALU_DEP_2) | instskip(NEXT) | instid1(VALU_DEP_3)
	v_lshl_add_u32 v115, v115, 23, 0x3b800000
	v_lshlrev_b32_e32 v116, 20, v116
	s_delay_alu instid0(VALU_DEP_1)
	v_or3_b32 v115, v117, v115, v116
.LBB2_1023:                             ;   in Loop: Header=BB2_869 Depth=2
	s_or_b32 exec_lo, exec_lo, s27
	s_delay_alu instid0(VALU_DEP_1) | instskip(SKIP_1) | instid1(VALU_DEP_1)
	v_dual_max_f32 v115, v115, v115 :: v_dual_max_f32 v114, v114, v114
	s_mov_b32 s11, 0
	v_max_f32_e32 v114, v114, v115
	s_branch .LBB2_1025
.LBB2_1024:                             ;   in Loop: Header=BB2_869 Depth=2
	s_mov_b32 s11, -1
                                        ; implicit-def: $vgpr114
.LBB2_1025:                             ;   in Loop: Header=BB2_869 Depth=2
	s_delay_alu instid0(SALU_CYCLE_1)
	s_and_b32 vcc_lo, exec_lo, s11
	s_cbranch_vccz .LBB2_1035
; %bb.1026:                             ;   in Loop: Header=BB2_869 Depth=2
	s_mov_b32 s11, 0
	s_mov_b32 s28, exec_lo
                                        ; implicit-def: $sgpr27
	v_cmpx_lt_i16_e32 0x7f, v113
	s_xor_b32 s28, exec_lo, s28
	s_cbranch_execnz .LBB2_1419
; %bb.1027:                             ;   in Loop: Header=BB2_869 Depth=2
	s_or_saveexec_b32 s28, s28
	v_mov_b32_e32 v114, s27
	s_xor_b32 exec_lo, exec_lo, s28
	s_cbranch_execnz .LBB2_1422
.LBB2_1028:                             ;   in Loop: Header=BB2_869 Depth=2
	s_or_b32 exec_lo, exec_lo, s28
	s_and_saveexec_b32 s27, s11
	s_cbranch_execz .LBB2_1030
.LBB2_1029:                             ;   in Loop: Header=BB2_869 Depth=2
	v_and_b32_e32 v113, 0xffff, v113
	v_lshlrev_b32_e32 v117, 16, v15
	s_delay_alu instid0(VALU_DEP_2) | instskip(NEXT) | instid1(VALU_DEP_1)
	v_and_b32_e32 v114, 7, v113
	v_clz_i32_u32_e32 v115, v114
	s_delay_alu instid0(VALU_DEP_1) | instskip(NEXT) | instid1(VALU_DEP_1)
	v_min_u32_e32 v115, 32, v115
	v_subrev_nc_u32_e32 v116, 28, v115
	v_sub_nc_u32_e32 v115, 29, v115
	s_delay_alu instid0(VALU_DEP_2) | instskip(SKIP_1) | instid1(VALU_DEP_2)
	v_lshlrev_b32_e32 v116, v116, v113
	v_bfe_u32 v113, v113, 3, 4
	v_and_b32_e32 v116, 7, v116
	s_delay_alu instid0(VALU_DEP_2) | instskip(NEXT) | instid1(VALU_DEP_2)
	v_cmp_eq_u32_e32 vcc_lo, 0, v113
	v_dual_cndmask_b32 v113, v113, v115 :: v_dual_cndmask_b32 v114, v114, v116
	v_and_b32_e32 v115, 0x80000000, v117
	s_delay_alu instid0(VALU_DEP_2) | instskip(NEXT) | instid1(VALU_DEP_3)
	v_lshl_add_u32 v113, v113, 23, 0x3b800000
	v_lshlrev_b32_e32 v114, 20, v114
	s_delay_alu instid0(VALU_DEP_1)
	v_or3_b32 v114, v115, v113, v114
.LBB2_1030:                             ;   in Loop: Header=BB2_869 Depth=2
	s_or_b32 exec_lo, exec_lo, s27
	s_mov_b32 s11, 0
	s_mov_b32 s28, exec_lo
                                        ; implicit-def: $sgpr27
	v_cmpx_lt_i16_e32 0x7f, v112
	s_xor_b32 s28, exec_lo, s28
	s_cbranch_execnz .LBB2_1423
; %bb.1031:                             ;   in Loop: Header=BB2_869 Depth=2
	s_or_saveexec_b32 s28, s28
	v_mov_b32_e32 v113, s27
	s_xor_b32 exec_lo, exec_lo, s28
	s_cbranch_execnz .LBB2_1426
.LBB2_1032:                             ;   in Loop: Header=BB2_869 Depth=2
	s_or_b32 exec_lo, exec_lo, s28
	s_and_saveexec_b32 s27, s11
	s_cbranch_execz .LBB2_1034
.LBB2_1033:                             ;   in Loop: Header=BB2_869 Depth=2
	v_and_b32_e32 v112, 0xffff, v112
	v_lshlrev_b32_e32 v117, 16, v11
	s_delay_alu instid0(VALU_DEP_2) | instskip(NEXT) | instid1(VALU_DEP_1)
	v_and_b32_e32 v113, 7, v112
	v_clz_i32_u32_e32 v115, v113
	s_delay_alu instid0(VALU_DEP_1) | instskip(NEXT) | instid1(VALU_DEP_1)
	v_min_u32_e32 v115, 32, v115
	v_subrev_nc_u32_e32 v116, 28, v115
	v_sub_nc_u32_e32 v115, 29, v115
	s_delay_alu instid0(VALU_DEP_2) | instskip(SKIP_1) | instid1(VALU_DEP_2)
	v_lshlrev_b32_e32 v116, v116, v112
	v_bfe_u32 v112, v112, 3, 4
	v_and_b32_e32 v116, 7, v116
	s_delay_alu instid0(VALU_DEP_2) | instskip(NEXT) | instid1(VALU_DEP_2)
	v_cmp_eq_u32_e32 vcc_lo, 0, v112
	v_dual_cndmask_b32 v112, v112, v115 :: v_dual_cndmask_b32 v113, v113, v116
	v_and_b32_e32 v115, 0x80000000, v117
	s_delay_alu instid0(VALU_DEP_2) | instskip(NEXT) | instid1(VALU_DEP_3)
	v_lshl_add_u32 v112, v112, 23, 0x3b800000
	v_lshlrev_b32_e32 v113, 20, v113
	s_delay_alu instid0(VALU_DEP_1)
	v_or3_b32 v113, v115, v112, v113
.LBB2_1034:                             ;   in Loop: Header=BB2_869 Depth=2
	s_or_b32 exec_lo, exec_lo, s27
	s_delay_alu instid0(VALU_DEP_1) | instskip(NEXT) | instid1(VALU_DEP_1)
	v_dual_max_f32 v112, v113, v113 :: v_dual_max_f32 v113, v114, v114
	v_min_f32_e32 v114, v113, v112
.LBB2_1035:                             ;   in Loop: Header=BB2_869 Depth=2
	s_delay_alu instid0(VALU_DEP_1) | instskip(NEXT) | instid1(VALU_DEP_1)
	v_and_b32_e32 v112, 0x7f800000, v114
	v_cmp_ne_u32_e32 vcc_lo, 0x7f800000, v112
	v_mov_b32_e32 v112, 0x80
	s_and_saveexec_b32 s27, vcc_lo
	s_cbranch_execz .LBB2_1043
; %bb.1036:                             ;   in Loop: Header=BB2_869 Depth=2
	v_mov_b32_e32 v112, 0
	s_mov_b32 s28, exec_lo
	v_cmpx_ne_u32_e32 0, v114
	s_cbranch_execz .LBB2_1042
; %bb.1037:                             ;   in Loop: Header=BB2_869 Depth=2
	v_bfe_u32 v112, v114, 23, 8
	v_and_b32_e32 v113, 0x7fffff, v114
	s_delay_alu instid0(VALU_DEP_2) | instskip(SKIP_1) | instid1(VALU_DEP_3)
	v_sub_nc_u32_e32 v115, 0x78, v112
	v_cmp_gt_u32_e32 vcc_lo, 0x79, v112
	v_or_b32_e32 v116, 0x800000, v113
	s_delay_alu instid0(VALU_DEP_3) | instskip(SKIP_2) | instid1(VALU_DEP_3)
	v_cndmask_b32_e32 v115, 0, v115, vcc_lo
	v_cmp_eq_u32_e32 vcc_lo, 0, v112
	v_add_nc_u32_e32 v112, 0xffffff89, v112
	v_cndmask_b32_e64 v115, v115, 0x77, vcc_lo
	v_cndmask_b32_e32 v113, v116, v113, vcc_lo
	s_delay_alu instid0(VALU_DEP_3) | instskip(NEXT) | instid1(VALU_DEP_3)
	v_cndmask_b32_e64 v112, v112, 0xffffff8a, vcc_lo
	v_lshl_add_u32 v116, 0x100000, v115, -1
	s_delay_alu instid0(VALU_DEP_3) | instskip(SKIP_1) | instid1(VALU_DEP_4)
	v_lshrrev_b32_e32 v117, v115, v113
	v_lshlrev_b32_e64 v119, v115, 0x80000
	v_add_nc_u32_e32 v115, v115, v112
	s_delay_alu instid0(VALU_DEP_4) | instskip(NEXT) | instid1(VALU_DEP_4)
	v_and_b32_e32 v113, v116, v113
	v_bfe_u32 v118, v117, 20, 1
	s_delay_alu instid0(VALU_DEP_2) | instskip(NEXT) | instid1(VALU_DEP_2)
	v_cmp_eq_u32_e64 s11, v113, v119
	v_add_nc_u32_e32 v116, -1, v118
	s_delay_alu instid0(VALU_DEP_1) | instskip(SKIP_2) | instid1(VALU_DEP_2)
	v_cndmask_b32_e64 v113, 0, v116, s11
	v_lshrrev_b32_e32 v116, 23, v117
	s_mov_b32 s11, exec_lo
	v_add_nc_u32_e32 v113, v113, v117
	s_delay_alu instid0(VALU_DEP_2) | instskip(NEXT) | instid1(VALU_DEP_2)
	v_xor_b32_e32 v116, 1, v116
	v_and_b32_e32 v112, 0xfffff, v113
	s_delay_alu instid0(VALU_DEP_1) | instskip(NEXT) | instid1(VALU_DEP_3)
	v_add_nc_u32_e32 v113, v112, v117
                                        ; implicit-def: $vgpr112
	v_cmpx_ne_u32_e64 v115, v116
	s_xor_b32 s11, exec_lo, s11
; %bb.1038:                             ;   in Loop: Header=BB2_869 Depth=2
	s_delay_alu instid0(VALU_DEP_2) | instskip(SKIP_2) | instid1(VALU_DEP_2)
	v_cmp_lt_u32_e32 vcc_lo, 0xffffff, v113
	v_sub_nc_u32_e32 v112, v115, v116
	v_cndmask_b32_e64 v115, 0, 1, vcc_lo
	v_add_co_ci_u32_e32 v112, vcc_lo, 0, v112, vcc_lo
	s_delay_alu instid0(VALU_DEP_2)
	v_lshrrev_b32_e32 v113, v115, v113
; %bb.1039:                             ;   in Loop: Header=BB2_869 Depth=2
	s_and_not1_saveexec_b32 s11, s11
; %bb.1040:                             ;   in Loop: Header=BB2_869 Depth=2
	s_delay_alu instid0(VALU_DEP_1)
	v_bfe_u32 v112, v113, 23, 1
; %bb.1041:                             ;   in Loop: Header=BB2_869 Depth=2
	s_or_b32 exec_lo, exec_lo, s11
	v_lshrrev_b32_e32 v113, 20, v113
	s_delay_alu instid0(VALU_DEP_2) | instskip(SKIP_2) | instid1(VALU_DEP_2)
	v_cmp_gt_i32_e32 vcc_lo, 16, v112
	v_lshrrev_b32_e32 v114, 24, v114
	v_min_i32_e32 v115, 15, v112
	v_dual_cndmask_b32 v113, 7, v113 :: v_dual_and_b32 v114, 0x80, v114
	s_delay_alu instid0(VALU_DEP_1) | instskip(SKIP_1) | instid1(VALU_DEP_2)
	v_or_b32_e32 v112, v112, v113
	v_and_b32_e32 v116, 7, v113
	v_cmp_ne_u32_e32 vcc_lo, 0, v112
	v_lshlrev_b32_e32 v115, 3, v115
	s_delay_alu instid0(VALU_DEP_1) | instskip(NEXT) | instid1(VALU_DEP_1)
	v_or3_b32 v113, v115, v114, v116
	v_cndmask_b32_e32 v112, 0, v113, vcc_lo
.LBB2_1042:                             ;   in Loop: Header=BB2_869 Depth=2
	s_or_b32 exec_lo, exec_lo, s28
.LBB2_1043:                             ;   in Loop: Header=BB2_869 Depth=2
	s_delay_alu instid0(SALU_CYCLE_1) | instskip(SKIP_3) | instid1(VALU_DEP_2)
	s_or_b32 exec_lo, exec_lo, s27
	v_lshrrev_b32_e32 v114, 16, v15
	v_lshrrev_b32_e32 v113, 16, v11
	s_and_b32 vcc_lo, exec_lo, s26
	v_and_b32_e32 v115, 0xff, v114
	s_delay_alu instid0(VALU_DEP_1)
	v_cmp_lt_i16_e64 s11, 0x7f, v115
	s_cbranch_vccz .LBB2_1053
; %bb.1044:                             ;   in Loop: Header=BB2_869 Depth=2
	s_mov_b32 s27, 0
                                        ; implicit-def: $sgpr28
	s_delay_alu instid0(VALU_DEP_1) | instskip(NEXT) | instid1(SALU_CYCLE_1)
	s_and_saveexec_b32 s29, s11
	s_xor_b32 s11, exec_lo, s29
	s_cbranch_execnz .LBB2_1427
; %bb.1045:                             ;   in Loop: Header=BB2_869 Depth=2
	s_or_saveexec_b32 s11, s11
	v_mov_b32_e32 v116, s28
	s_xor_b32 exec_lo, exec_lo, s11
	s_cbranch_execnz .LBB2_1430
.LBB2_1046:                             ;   in Loop: Header=BB2_869 Depth=2
	s_or_b32 exec_lo, exec_lo, s11
	s_and_saveexec_b32 s11, s27
	s_cbranch_execz .LBB2_1048
.LBB2_1047:                             ;   in Loop: Header=BB2_869 Depth=2
	v_bfe_u32 v116, v15, 16, 3
	v_bfe_u32 v119, v15, 19, 4
	v_lshlrev_b32_e32 v128, 24, v114
	s_delay_alu instid0(VALU_DEP_3) | instskip(NEXT) | instid1(VALU_DEP_3)
	v_clz_i32_u32_e32 v117, v116
	v_cmp_eq_u32_e32 vcc_lo, 0, v119
	s_delay_alu instid0(VALU_DEP_2) | instskip(NEXT) | instid1(VALU_DEP_1)
	v_min_u32_e32 v117, 32, v117
	v_subrev_nc_u32_e32 v118, 28, v117
	v_sub_nc_u32_e32 v117, 29, v117
	s_delay_alu instid0(VALU_DEP_1) | instskip(NEXT) | instid1(VALU_DEP_1)
	v_dual_cndmask_b32 v117, v119, v117 :: v_dual_lshlrev_b32 v118, v118, v114
	v_and_b32_e32 v118, 7, v118
	s_delay_alu instid0(VALU_DEP_2) | instskip(NEXT) | instid1(VALU_DEP_2)
	v_lshl_add_u32 v117, v117, 23, 0x3b800000
	v_cndmask_b32_e32 v116, v116, v118, vcc_lo
	v_and_b32_e32 v118, 0x80000000, v128
	s_delay_alu instid0(VALU_DEP_2) | instskip(NEXT) | instid1(VALU_DEP_1)
	v_lshlrev_b32_e32 v116, 20, v116
	v_or3_b32 v116, v118, v117, v116
.LBB2_1048:                             ;   in Loop: Header=BB2_869 Depth=2
	s_or_b32 exec_lo, exec_lo, s11
	v_and_b32_e32 v118, 0xff, v113
	s_mov_b32 s11, 0
	s_mov_b32 s28, exec_lo
                                        ; implicit-def: $sgpr27
	s_delay_alu instid0(VALU_DEP_1)
	v_cmpx_lt_i16_e32 0x7f, v118
	s_xor_b32 s28, exec_lo, s28
	s_cbranch_execnz .LBB2_1431
; %bb.1049:                             ;   in Loop: Header=BB2_869 Depth=2
	s_or_saveexec_b32 s28, s28
	v_mov_b32_e32 v117, s27
	s_xor_b32 exec_lo, exec_lo, s28
	s_cbranch_execnz .LBB2_1434
.LBB2_1050:                             ;   in Loop: Header=BB2_869 Depth=2
	s_or_b32 exec_lo, exec_lo, s28
	s_and_saveexec_b32 s27, s11
	s_cbranch_execz .LBB2_1052
.LBB2_1051:                             ;   in Loop: Header=BB2_869 Depth=2
	v_bfe_u32 v117, v11, 16, 3
	v_bfe_u32 v128, v11, 19, 4
	v_lshlrev_b32_e32 v129, 24, v113
	s_delay_alu instid0(VALU_DEP_3) | instskip(NEXT) | instid1(VALU_DEP_3)
	v_clz_i32_u32_e32 v118, v117
	v_cmp_eq_u32_e32 vcc_lo, 0, v128
	s_delay_alu instid0(VALU_DEP_2) | instskip(NEXT) | instid1(VALU_DEP_1)
	v_min_u32_e32 v118, 32, v118
	v_subrev_nc_u32_e32 v119, 28, v118
	v_sub_nc_u32_e32 v118, 29, v118
	s_delay_alu instid0(VALU_DEP_1) | instskip(NEXT) | instid1(VALU_DEP_1)
	v_dual_cndmask_b32 v118, v128, v118 :: v_dual_lshlrev_b32 v119, v119, v113
	v_and_b32_e32 v119, 7, v119
	s_delay_alu instid0(VALU_DEP_2) | instskip(NEXT) | instid1(VALU_DEP_2)
	v_lshl_add_u32 v118, v118, 23, 0x3b800000
	v_cndmask_b32_e32 v117, v117, v119, vcc_lo
	v_and_b32_e32 v119, 0x80000000, v129
	s_delay_alu instid0(VALU_DEP_2) | instskip(NEXT) | instid1(VALU_DEP_1)
	v_lshlrev_b32_e32 v117, 20, v117
	v_or3_b32 v117, v119, v118, v117
.LBB2_1052:                             ;   in Loop: Header=BB2_869 Depth=2
	s_or_b32 exec_lo, exec_lo, s27
	s_delay_alu instid0(VALU_DEP_1) | instskip(SKIP_1) | instid1(VALU_DEP_1)
	v_dual_max_f32 v117, v117, v117 :: v_dual_max_f32 v116, v116, v116
	s_mov_b32 s11, 0
	v_max_f32_e32 v116, v116, v117
	s_branch .LBB2_1054
.LBB2_1053:                             ;   in Loop: Header=BB2_869 Depth=2
	s_mov_b32 s11, -1
                                        ; implicit-def: $vgpr116
.LBB2_1054:                             ;   in Loop: Header=BB2_869 Depth=2
	s_delay_alu instid0(SALU_CYCLE_1)
	s_and_b32 vcc_lo, exec_lo, s11
	s_cbranch_vccz .LBB2_1064
; %bb.1055:                             ;   in Loop: Header=BB2_869 Depth=2
	s_mov_b32 s11, 0
	s_mov_b32 s28, exec_lo
                                        ; implicit-def: $sgpr27
	v_cmpx_lt_i16_e32 0x7f, v115
	s_xor_b32 s28, exec_lo, s28
	s_cbranch_execnz .LBB2_1435
; %bb.1056:                             ;   in Loop: Header=BB2_869 Depth=2
	s_or_saveexec_b32 s28, s28
	v_mov_b32_e32 v116, s27
	s_xor_b32 exec_lo, exec_lo, s28
	s_cbranch_execnz .LBB2_1438
.LBB2_1057:                             ;   in Loop: Header=BB2_869 Depth=2
	s_or_b32 exec_lo, exec_lo, s28
	s_and_saveexec_b32 s27, s11
	s_cbranch_execz .LBB2_1059
.LBB2_1058:                             ;   in Loop: Header=BB2_869 Depth=2
	v_bfe_u32 v115, v15, 16, 3
	v_bfe_u32 v118, v15, 19, 4
	s_delay_alu instid0(VALU_DEP_2) | instskip(NEXT) | instid1(VALU_DEP_2)
	v_clz_i32_u32_e32 v116, v115
	v_cmp_eq_u32_e32 vcc_lo, 0, v118
	s_delay_alu instid0(VALU_DEP_2) | instskip(NEXT) | instid1(VALU_DEP_1)
	v_min_u32_e32 v116, 32, v116
	v_subrev_nc_u32_e32 v117, 28, v116
	v_sub_nc_u32_e32 v116, 29, v116
	s_delay_alu instid0(VALU_DEP_1) | instskip(NEXT) | instid1(VALU_DEP_1)
	v_dual_cndmask_b32 v116, v118, v116 :: v_dual_lshlrev_b32 v117, v117, v114
	v_and_b32_e32 v117, 7, v117
	v_lshlrev_b32_e32 v114, 24, v114
	s_delay_alu instid0(VALU_DEP_3) | instskip(NEXT) | instid1(VALU_DEP_2)
	v_lshl_add_u32 v116, v116, 23, 0x3b800000
	v_dual_cndmask_b32 v115, v115, v117 :: v_dual_and_b32 v114, 0x80000000, v114
	s_delay_alu instid0(VALU_DEP_1) | instskip(NEXT) | instid1(VALU_DEP_1)
	v_lshlrev_b32_e32 v115, 20, v115
	v_or3_b32 v116, v114, v116, v115
.LBB2_1059:                             ;   in Loop: Header=BB2_869 Depth=2
	s_or_b32 exec_lo, exec_lo, s27
	v_and_b32_e32 v115, 0xff, v113
	s_mov_b32 s11, 0
	s_mov_b32 s28, exec_lo
                                        ; implicit-def: $sgpr27
	s_delay_alu instid0(VALU_DEP_1)
	v_cmpx_lt_i16_e32 0x7f, v115
	s_xor_b32 s28, exec_lo, s28
	s_cbranch_execnz .LBB2_1439
; %bb.1060:                             ;   in Loop: Header=BB2_869 Depth=2
	s_or_saveexec_b32 s28, s28
	v_mov_b32_e32 v114, s27
	s_xor_b32 exec_lo, exec_lo, s28
	s_cbranch_execnz .LBB2_1442
.LBB2_1061:                             ;   in Loop: Header=BB2_869 Depth=2
	s_or_b32 exec_lo, exec_lo, s28
	s_and_saveexec_b32 s27, s11
	s_cbranch_execz .LBB2_1063
.LBB2_1062:                             ;   in Loop: Header=BB2_869 Depth=2
	v_bfe_u32 v114, v11, 16, 3
	v_bfe_u32 v118, v11, 19, 4
	s_delay_alu instid0(VALU_DEP_2) | instskip(NEXT) | instid1(VALU_DEP_2)
	v_clz_i32_u32_e32 v115, v114
	v_cmp_eq_u32_e32 vcc_lo, 0, v118
	s_delay_alu instid0(VALU_DEP_2) | instskip(NEXT) | instid1(VALU_DEP_1)
	v_min_u32_e32 v115, 32, v115
	v_subrev_nc_u32_e32 v117, 28, v115
	v_sub_nc_u32_e32 v115, 29, v115
	s_delay_alu instid0(VALU_DEP_2) | instskip(SKIP_1) | instid1(VALU_DEP_2)
	v_lshlrev_b32_e32 v117, v117, v113
	v_lshlrev_b32_e32 v113, 24, v113
	v_and_b32_e32 v117, 7, v117
	s_delay_alu instid0(VALU_DEP_2) | instskip(NEXT) | instid1(VALU_DEP_2)
	v_and_b32_e32 v113, 0x80000000, v113
	v_cndmask_b32_e32 v114, v114, v117, vcc_lo
	s_delay_alu instid0(VALU_DEP_1) | instskip(NEXT) | instid1(VALU_DEP_1)
	v_dual_cndmask_b32 v115, v118, v115 :: v_dual_lshlrev_b32 v114, 20, v114
	v_lshl_add_u32 v115, v115, 23, 0x3b800000
	s_delay_alu instid0(VALU_DEP_1)
	v_or3_b32 v114, v113, v115, v114
.LBB2_1063:                             ;   in Loop: Header=BB2_869 Depth=2
	s_or_b32 exec_lo, exec_lo, s27
	s_delay_alu instid0(VALU_DEP_1) | instskip(NEXT) | instid1(VALU_DEP_1)
	v_dual_max_f32 v113, v114, v114 :: v_dual_max_f32 v114, v116, v116
	v_min_f32_e32 v116, v114, v113
.LBB2_1064:                             ;   in Loop: Header=BB2_869 Depth=2
	s_delay_alu instid0(VALU_DEP_1) | instskip(NEXT) | instid1(VALU_DEP_1)
	v_and_b32_e32 v113, 0x7f800000, v116
	v_cmp_ne_u32_e32 vcc_lo, 0x7f800000, v113
	v_mov_b32_e32 v113, 0x80
	s_and_saveexec_b32 s27, vcc_lo
	s_cbranch_execz .LBB2_1072
; %bb.1065:                             ;   in Loop: Header=BB2_869 Depth=2
	v_mov_b32_e32 v113, 0
	s_mov_b32 s28, exec_lo
	v_cmpx_ne_u32_e32 0, v116
	s_cbranch_execz .LBB2_1071
; %bb.1066:                             ;   in Loop: Header=BB2_869 Depth=2
	v_bfe_u32 v113, v116, 23, 8
	s_delay_alu instid0(VALU_DEP_1) | instskip(SKIP_1) | instid1(VALU_DEP_2)
	v_sub_nc_u32_e32 v115, 0x78, v113
	v_cmp_gt_u32_e32 vcc_lo, 0x79, v113
	v_dual_cndmask_b32 v115, 0, v115 :: v_dual_and_b32 v114, 0x7fffff, v116
	s_delay_alu instid0(VALU_DEP_1) | instskip(SKIP_2) | instid1(VALU_DEP_4)
	v_or_b32_e32 v117, 0x800000, v114
	v_cmp_eq_u32_e32 vcc_lo, 0, v113
	v_add_nc_u32_e32 v113, 0xffffff89, v113
	v_cndmask_b32_e64 v115, v115, 0x77, vcc_lo
	s_delay_alu instid0(VALU_DEP_4) | instskip(NEXT) | instid1(VALU_DEP_3)
	v_cndmask_b32_e32 v114, v117, v114, vcc_lo
	v_cndmask_b32_e64 v113, v113, 0xffffff8a, vcc_lo
	s_delay_alu instid0(VALU_DEP_3) | instskip(NEXT) | instid1(VALU_DEP_3)
	v_lshl_add_u32 v117, 0x100000, v115, -1
	v_lshrrev_b32_e32 v118, v115, v114
	v_lshlrev_b32_e64 v128, v115, 0x80000
	s_delay_alu instid0(VALU_DEP_4) | instskip(NEXT) | instid1(VALU_DEP_4)
	v_add_nc_u32_e32 v115, v115, v113
	v_and_b32_e32 v114, v117, v114
	s_delay_alu instid0(VALU_DEP_4) | instskip(NEXT) | instid1(VALU_DEP_2)
	v_bfe_u32 v119, v118, 20, 1
	v_cmp_eq_u32_e64 s11, v114, v128
	s_delay_alu instid0(VALU_DEP_2) | instskip(NEXT) | instid1(VALU_DEP_1)
	v_add_nc_u32_e32 v117, -1, v119
	v_cndmask_b32_e64 v114, 0, v117, s11
	v_lshrrev_b32_e32 v117, 23, v118
	s_mov_b32 s11, exec_lo
	s_delay_alu instid0(VALU_DEP_2) | instskip(NEXT) | instid1(VALU_DEP_2)
	v_add_nc_u32_e32 v114, v114, v118
	v_xor_b32_e32 v117, 1, v117
	s_delay_alu instid0(VALU_DEP_2) | instskip(NEXT) | instid1(VALU_DEP_1)
	v_and_b32_e32 v113, 0xfffff, v114
	v_add_nc_u32_e32 v114, v113, v118
                                        ; implicit-def: $vgpr113
	s_delay_alu instid0(VALU_DEP_3)
	v_cmpx_ne_u32_e64 v115, v117
	s_xor_b32 s11, exec_lo, s11
; %bb.1067:                             ;   in Loop: Header=BB2_869 Depth=2
	s_delay_alu instid0(VALU_DEP_2) | instskip(SKIP_2) | instid1(VALU_DEP_2)
	v_cmp_lt_u32_e32 vcc_lo, 0xffffff, v114
	v_sub_nc_u32_e32 v113, v115, v117
	v_cndmask_b32_e64 v115, 0, 1, vcc_lo
	v_add_co_ci_u32_e32 v113, vcc_lo, 0, v113, vcc_lo
	s_delay_alu instid0(VALU_DEP_2)
	v_lshrrev_b32_e32 v114, v115, v114
; %bb.1068:                             ;   in Loop: Header=BB2_869 Depth=2
	s_and_not1_saveexec_b32 s11, s11
; %bb.1069:                             ;   in Loop: Header=BB2_869 Depth=2
	s_delay_alu instid0(VALU_DEP_1)
	v_bfe_u32 v113, v114, 23, 1
; %bb.1070:                             ;   in Loop: Header=BB2_869 Depth=2
	s_or_b32 exec_lo, exec_lo, s11
	v_lshrrev_b32_e32 v114, 20, v114
	s_delay_alu instid0(VALU_DEP_2) | instskip(SKIP_2) | instid1(VALU_DEP_2)
	v_cmp_gt_i32_e32 vcc_lo, 16, v113
	v_min_i32_e32 v115, 15, v113
	v_lshrrev_b32_e32 v116, 24, v116
	v_dual_cndmask_b32 v114, 7, v114 :: v_dual_lshlrev_b32 v115, 3, v115
	s_delay_alu instid0(VALU_DEP_1) | instskip(SKIP_1) | instid1(VALU_DEP_3)
	v_or_b32_e32 v113, v113, v114
	v_and_b32_e32 v117, 7, v114
	v_and_b32_e32 v115, 0xf8, v115
	s_delay_alu instid0(VALU_DEP_3) | instskip(SKIP_1) | instid1(VALU_DEP_1)
	v_cmp_ne_u32_e32 vcc_lo, 0, v113
	v_and_b32_e32 v116, 0x80, v116
	v_or3_b32 v114, v115, v116, v117
	s_delay_alu instid0(VALU_DEP_1)
	v_cndmask_b32_e32 v113, 0, v114, vcc_lo
.LBB2_1071:                             ;   in Loop: Header=BB2_869 Depth=2
	s_or_b32 exec_lo, exec_lo, s28
.LBB2_1072:                             ;   in Loop: Header=BB2_869 Depth=2
	s_delay_alu instid0(SALU_CYCLE_1) | instskip(SKIP_3) | instid1(VALU_DEP_2)
	s_or_b32 exec_lo, exec_lo, s27
	v_lshrrev_b32_e32 v115, 24, v15
	v_lshrrev_b32_e32 v114, 24, v11
	s_and_b32 vcc_lo, exec_lo, s26
	v_cmp_lt_i16_e64 s11, 0x7f, v115
	s_cbranch_vccz .LBB2_1082
; %bb.1073:                             ;   in Loop: Header=BB2_869 Depth=2
	s_mov_b32 s27, 0
                                        ; implicit-def: $sgpr28
	s_delay_alu instid0(VALU_DEP_1) | instskip(NEXT) | instid1(SALU_CYCLE_1)
	s_and_saveexec_b32 s29, s11
	s_xor_b32 s11, exec_lo, s29
	s_cbranch_execnz .LBB2_1443
; %bb.1074:                             ;   in Loop: Header=BB2_869 Depth=2
	s_or_saveexec_b32 s11, s11
	v_mov_b32_e32 v116, s28
	s_xor_b32 exec_lo, exec_lo, s11
	s_cbranch_execnz .LBB2_1446
.LBB2_1075:                             ;   in Loop: Header=BB2_869 Depth=2
	s_or_b32 exec_lo, exec_lo, s11
	s_and_saveexec_b32 s11, s27
	s_cbranch_execz .LBB2_1077
.LBB2_1076:                             ;   in Loop: Header=BB2_869 Depth=2
	v_bfe_u32 v116, v15, 24, 3
	v_bfe_u32 v119, v15, 27, 4
	s_delay_alu instid0(VALU_DEP_2) | instskip(NEXT) | instid1(VALU_DEP_2)
	v_clz_i32_u32_e32 v117, v116
	v_cmp_eq_u32_e32 vcc_lo, 0, v119
	s_delay_alu instid0(VALU_DEP_2) | instskip(NEXT) | instid1(VALU_DEP_1)
	v_min_u32_e32 v117, 32, v117
	v_subrev_nc_u32_e32 v118, 28, v117
	v_sub_nc_u32_e32 v117, 29, v117
	s_delay_alu instid0(VALU_DEP_1) | instskip(NEXT) | instid1(VALU_DEP_1)
	v_dual_cndmask_b32 v117, v119, v117 :: v_dual_lshlrev_b32 v118, v118, v115
	v_and_b32_e32 v118, 7, v118
	s_delay_alu instid0(VALU_DEP_2) | instskip(NEXT) | instid1(VALU_DEP_2)
	v_lshl_add_u32 v117, v117, 23, 0x3b800000
	v_cndmask_b32_e32 v116, v116, v118, vcc_lo
	v_and_b32_e32 v118, 0x80000000, v15
	s_delay_alu instid0(VALU_DEP_2) | instskip(NEXT) | instid1(VALU_DEP_1)
	v_lshlrev_b32_e32 v116, 20, v116
	v_or3_b32 v116, v118, v117, v116
.LBB2_1077:                             ;   in Loop: Header=BB2_869 Depth=2
	s_or_b32 exec_lo, exec_lo, s11
	s_mov_b32 s11, 0
	s_mov_b32 s28, exec_lo
                                        ; implicit-def: $sgpr27
	v_cmpx_lt_i16_e32 0x7f, v114
	s_xor_b32 s28, exec_lo, s28
	s_cbranch_execnz .LBB2_1447
; %bb.1078:                             ;   in Loop: Header=BB2_869 Depth=2
	s_or_saveexec_b32 s28, s28
	v_mov_b32_e32 v117, s27
	s_xor_b32 exec_lo, exec_lo, s28
	s_cbranch_execnz .LBB2_1450
.LBB2_1079:                             ;   in Loop: Header=BB2_869 Depth=2
	s_or_b32 exec_lo, exec_lo, s28
	s_and_saveexec_b32 s27, s11
	s_cbranch_execz .LBB2_1081
.LBB2_1080:                             ;   in Loop: Header=BB2_869 Depth=2
	v_bfe_u32 v117, v11, 24, 3
	v_bfe_u32 v128, v11, 27, 4
	s_delay_alu instid0(VALU_DEP_2) | instskip(NEXT) | instid1(VALU_DEP_2)
	v_clz_i32_u32_e32 v118, v117
	v_cmp_eq_u32_e32 vcc_lo, 0, v128
	s_delay_alu instid0(VALU_DEP_2) | instskip(NEXT) | instid1(VALU_DEP_1)
	v_min_u32_e32 v118, 32, v118
	v_subrev_nc_u32_e32 v119, 28, v118
	v_sub_nc_u32_e32 v118, 29, v118
	s_delay_alu instid0(VALU_DEP_2) | instskip(NEXT) | instid1(VALU_DEP_1)
	v_lshlrev_b32_e32 v119, v119, v114
	v_dual_cndmask_b32 v118, v128, v118 :: v_dual_and_b32 v119, 7, v119
	s_delay_alu instid0(VALU_DEP_1) | instskip(NEXT) | instid1(VALU_DEP_2)
	v_lshl_add_u32 v118, v118, 23, 0x3b800000
	v_cndmask_b32_e32 v117, v117, v119, vcc_lo
	v_and_b32_e32 v119, 0x80000000, v11
	s_delay_alu instid0(VALU_DEP_2) | instskip(NEXT) | instid1(VALU_DEP_1)
	v_lshlrev_b32_e32 v117, 20, v117
	v_or3_b32 v117, v119, v118, v117
.LBB2_1081:                             ;   in Loop: Header=BB2_869 Depth=2
	s_or_b32 exec_lo, exec_lo, s27
	s_delay_alu instid0(VALU_DEP_1) | instskip(SKIP_1) | instid1(VALU_DEP_1)
	v_dual_max_f32 v117, v117, v117 :: v_dual_max_f32 v116, v116, v116
	s_mov_b32 s11, 0
	v_max_f32_e32 v116, v116, v117
	s_branch .LBB2_1083
.LBB2_1082:                             ;   in Loop: Header=BB2_869 Depth=2
	s_mov_b32 s11, -1
                                        ; implicit-def: $vgpr116
.LBB2_1083:                             ;   in Loop: Header=BB2_869 Depth=2
	s_delay_alu instid0(SALU_CYCLE_1)
	s_and_b32 vcc_lo, exec_lo, s11
	s_cbranch_vccz .LBB2_1093
; %bb.1084:                             ;   in Loop: Header=BB2_869 Depth=2
	s_mov_b32 s11, 0
	s_mov_b32 s28, exec_lo
                                        ; implicit-def: $sgpr27
	v_cmpx_lt_i16_e32 0x7f, v115
	s_xor_b32 s28, exec_lo, s28
	s_cbranch_execnz .LBB2_1451
; %bb.1085:                             ;   in Loop: Header=BB2_869 Depth=2
	s_or_saveexec_b32 s28, s28
	v_mov_b32_e32 v116, s27
	s_xor_b32 exec_lo, exec_lo, s28
	s_cbranch_execnz .LBB2_1454
.LBB2_1086:                             ;   in Loop: Header=BB2_869 Depth=2
	s_or_b32 exec_lo, exec_lo, s28
	s_and_saveexec_b32 s27, s11
	s_cbranch_execz .LBB2_1088
.LBB2_1087:                             ;   in Loop: Header=BB2_869 Depth=2
	v_bfe_u32 v116, v15, 24, 3
	s_delay_alu instid0(VALU_DEP_1) | instskip(NEXT) | instid1(VALU_DEP_1)
	v_clz_i32_u32_e32 v117, v116
	v_min_u32_e32 v117, 32, v117
	s_delay_alu instid0(VALU_DEP_1) | instskip(SKIP_1) | instid1(VALU_DEP_2)
	v_subrev_nc_u32_e32 v118, 28, v117
	v_sub_nc_u32_e32 v117, 29, v117
	v_lshlrev_b32_e32 v115, v118, v115
	v_bfe_u32 v118, v15, 27, 4
	v_and_b32_e32 v15, 0x80000000, v15
	s_delay_alu instid0(VALU_DEP_3) | instskip(NEXT) | instid1(VALU_DEP_3)
	v_and_b32_e32 v115, 7, v115
	v_cmp_eq_u32_e32 vcc_lo, 0, v118
	v_cndmask_b32_e32 v117, v118, v117, vcc_lo
	s_delay_alu instid0(VALU_DEP_3) | instskip(NEXT) | instid1(VALU_DEP_2)
	v_cndmask_b32_e32 v115, v116, v115, vcc_lo
	v_lshl_add_u32 v116, v117, 23, 0x3b800000
	s_delay_alu instid0(VALU_DEP_2) | instskip(NEXT) | instid1(VALU_DEP_1)
	v_lshlrev_b32_e32 v115, 20, v115
	v_or3_b32 v116, v15, v116, v115
.LBB2_1088:                             ;   in Loop: Header=BB2_869 Depth=2
	s_or_b32 exec_lo, exec_lo, s27
	s_mov_b32 s11, 0
	s_mov_b32 s28, exec_lo
                                        ; implicit-def: $sgpr27
	v_cmpx_lt_i16_e32 0x7f, v114
	s_xor_b32 s28, exec_lo, s28
	s_cbranch_execnz .LBB2_1455
; %bb.1089:                             ;   in Loop: Header=BB2_869 Depth=2
	s_or_saveexec_b32 s28, s28
	v_mov_b32_e32 v15, s27
	s_xor_b32 exec_lo, exec_lo, s28
	s_cbranch_execnz .LBB2_1458
.LBB2_1090:                             ;   in Loop: Header=BB2_869 Depth=2
	s_or_b32 exec_lo, exec_lo, s28
	s_and_saveexec_b32 s27, s11
	s_cbranch_execz .LBB2_1092
.LBB2_1091:                             ;   in Loop: Header=BB2_869 Depth=2
	v_bfe_u32 v15, v11, 24, 3
	s_delay_alu instid0(VALU_DEP_1) | instskip(NEXT) | instid1(VALU_DEP_1)
	v_clz_i32_u32_e32 v115, v15
	v_min_u32_e32 v115, 32, v115
	s_delay_alu instid0(VALU_DEP_1) | instskip(SKIP_1) | instid1(VALU_DEP_2)
	v_subrev_nc_u32_e32 v117, 28, v115
	v_sub_nc_u32_e32 v115, 29, v115
	v_lshlrev_b32_e32 v114, v117, v114
	v_bfe_u32 v117, v11, 27, 4
	v_and_b32_e32 v11, 0x80000000, v11
	s_delay_alu instid0(VALU_DEP_2) | instskip(NEXT) | instid1(VALU_DEP_4)
	v_cmp_eq_u32_e32 vcc_lo, 0, v117
	v_dual_cndmask_b32 v115, v117, v115 :: v_dual_and_b32 v114, 7, v114
	s_delay_alu instid0(VALU_DEP_1) | instskip(NEXT) | instid1(VALU_DEP_2)
	v_cndmask_b32_e32 v15, v15, v114, vcc_lo
	v_lshl_add_u32 v114, v115, 23, 0x3b800000
	s_delay_alu instid0(VALU_DEP_2) | instskip(NEXT) | instid1(VALU_DEP_1)
	v_lshlrev_b32_e32 v15, 20, v15
	v_or3_b32 v15, v11, v114, v15
.LBB2_1092:                             ;   in Loop: Header=BB2_869 Depth=2
	s_or_b32 exec_lo, exec_lo, s27
	s_delay_alu instid0(VALU_DEP_1) | instskip(SKIP_1) | instid1(VALU_DEP_1)
	v_max_f32_e32 v11, v15, v15
	v_max_f32_e32 v15, v116, v116
	v_min_f32_e32 v116, v15, v11
.LBB2_1093:                             ;   in Loop: Header=BB2_869 Depth=2
	s_delay_alu instid0(VALU_DEP_1) | instskip(NEXT) | instid1(VALU_DEP_1)
	v_and_b32_e32 v11, 0x7f800000, v116
	v_cmp_ne_u32_e32 vcc_lo, 0x7f800000, v11
	v_mov_b32_e32 v11, 0x8000
	s_and_saveexec_b32 s27, vcc_lo
	s_cbranch_execz .LBB2_1101
; %bb.1094:                             ;   in Loop: Header=BB2_869 Depth=2
	v_mov_b32_e32 v11, 0
	s_mov_b32 s28, exec_lo
	v_cmpx_ne_u32_e32 0, v116
	s_cbranch_execz .LBB2_1100
; %bb.1095:                             ;   in Loop: Header=BB2_869 Depth=2
	v_bfe_u32 v11, v116, 23, 8
	s_delay_alu instid0(VALU_DEP_1) | instskip(SKIP_1) | instid1(VALU_DEP_2)
	v_sub_nc_u32_e32 v114, 0x78, v11
	v_cmp_gt_u32_e32 vcc_lo, 0x79, v11
	v_dual_cndmask_b32 v114, 0, v114 :: v_dual_and_b32 v15, 0x7fffff, v116
	s_delay_alu instid0(VALU_DEP_1) | instskip(SKIP_2) | instid1(VALU_DEP_4)
	v_or_b32_e32 v115, 0x800000, v15
	v_cmp_eq_u32_e32 vcc_lo, 0, v11
	v_add_nc_u32_e32 v11, 0xffffff89, v11
	v_cndmask_b32_e64 v114, v114, 0x77, vcc_lo
	s_delay_alu instid0(VALU_DEP_4) | instskip(NEXT) | instid1(VALU_DEP_3)
	v_cndmask_b32_e32 v15, v115, v15, vcc_lo
	v_cndmask_b32_e64 v11, v11, 0xffffff8a, vcc_lo
	s_delay_alu instid0(VALU_DEP_3) | instskip(NEXT) | instid1(VALU_DEP_3)
	v_lshl_add_u32 v115, 0x100000, v114, -1
	v_lshrrev_b32_e32 v117, v114, v15
	v_lshlrev_b32_e64 v119, v114, 0x80000
	s_delay_alu instid0(VALU_DEP_4) | instskip(NEXT) | instid1(VALU_DEP_4)
	v_add_nc_u32_e32 v114, v114, v11
	v_and_b32_e32 v15, v115, v15
	s_delay_alu instid0(VALU_DEP_4) | instskip(NEXT) | instid1(VALU_DEP_2)
	v_bfe_u32 v118, v117, 20, 1
	v_cmp_eq_u32_e64 s11, v15, v119
	s_delay_alu instid0(VALU_DEP_2) | instskip(NEXT) | instid1(VALU_DEP_1)
	v_add_nc_u32_e32 v115, -1, v118
	v_cndmask_b32_e64 v15, 0, v115, s11
	v_lshrrev_b32_e32 v115, 23, v117
	s_mov_b32 s11, exec_lo
	s_delay_alu instid0(VALU_DEP_2) | instskip(NEXT) | instid1(VALU_DEP_2)
	v_add_nc_u32_e32 v15, v15, v117
	v_xor_b32_e32 v115, 1, v115
	s_delay_alu instid0(VALU_DEP_2) | instskip(NEXT) | instid1(VALU_DEP_1)
	v_and_b32_e32 v11, 0xfffff, v15
	v_add_nc_u32_e32 v15, v11, v117
                                        ; implicit-def: $vgpr11
	s_delay_alu instid0(VALU_DEP_3)
	v_cmpx_ne_u32_e64 v114, v115
	s_xor_b32 s11, exec_lo, s11
; %bb.1096:                             ;   in Loop: Header=BB2_869 Depth=2
	s_delay_alu instid0(VALU_DEP_2) | instskip(SKIP_2) | instid1(VALU_DEP_2)
	v_cmp_lt_u32_e32 vcc_lo, 0xffffff, v15
	v_sub_nc_u32_e32 v11, v114, v115
	v_cndmask_b32_e64 v114, 0, 1, vcc_lo
	v_add_co_ci_u32_e32 v11, vcc_lo, 0, v11, vcc_lo
	s_delay_alu instid0(VALU_DEP_2)
	v_lshrrev_b32_e32 v15, v114, v15
; %bb.1097:                             ;   in Loop: Header=BB2_869 Depth=2
	s_and_not1_saveexec_b32 s11, s11
; %bb.1098:                             ;   in Loop: Header=BB2_869 Depth=2
	s_delay_alu instid0(VALU_DEP_1)
	v_bfe_u32 v11, v15, 23, 1
; %bb.1099:                             ;   in Loop: Header=BB2_869 Depth=2
	s_or_b32 exec_lo, exec_lo, s11
	v_lshrrev_b32_e32 v15, 20, v15
	s_delay_alu instid0(VALU_DEP_2) | instskip(SKIP_2) | instid1(VALU_DEP_2)
	v_cmp_gt_i32_e32 vcc_lo, 16, v11
	v_min_i32_e32 v114, 15, v11
	v_lshrrev_b32_e32 v115, 24, v116
	v_dual_cndmask_b32 v15, 7, v15 :: v_dual_lshlrev_b32 v114, 3, v114
	s_delay_alu instid0(VALU_DEP_2) | instskip(NEXT) | instid1(VALU_DEP_2)
	v_and_b32_e32 v115, 0x80, v115
	v_or_b32_e32 v11, v11, v15
	v_and_b32_e32 v116, 7, v15
	s_delay_alu instid0(VALU_DEP_2) | instskip(SKIP_1) | instid1(VALU_DEP_1)
	v_cmp_ne_u32_e32 vcc_lo, 0, v11
	v_and_b32_e32 v114, 0xf8, v114
	v_or3_b32 v114, v115, v114, v116
	s_delay_alu instid0(VALU_DEP_1) | instskip(NEXT) | instid1(VALU_DEP_1)
	v_lshlrev_b32_e32 v15, 8, v114
	v_cndmask_b32_e32 v11, 0, v15, vcc_lo
.LBB2_1100:                             ;   in Loop: Header=BB2_869 Depth=2
	s_or_b32 exec_lo, exec_lo, s28
.LBB2_1101:                             ;   in Loop: Header=BB2_869 Depth=2
	s_delay_alu instid0(SALU_CYCLE_1) | instskip(SKIP_2) | instid1(VALU_DEP_1)
	s_or_b32 exec_lo, exec_lo, s27
	v_and_b32_e32 v15, 0xff, v16
	s_and_b32 vcc_lo, exec_lo, s26
	v_cmp_lt_i16_e64 s11, 0x7f, v15
	s_cbranch_vccz .LBB2_1111
; %bb.1102:                             ;   in Loop: Header=BB2_869 Depth=2
	s_mov_b32 s27, 0
                                        ; implicit-def: $sgpr28
	s_delay_alu instid0(VALU_DEP_1) | instskip(NEXT) | instid1(SALU_CYCLE_1)
	s_and_saveexec_b32 s29, s11
	s_xor_b32 s11, exec_lo, s29
	s_cbranch_execnz .LBB2_1459
; %bb.1103:                             ;   in Loop: Header=BB2_869 Depth=2
	s_or_saveexec_b32 s11, s11
	v_mov_b32_e32 v114, s28
	s_xor_b32 exec_lo, exec_lo, s11
	s_cbranch_execnz .LBB2_1462
.LBB2_1104:                             ;   in Loop: Header=BB2_869 Depth=2
	s_or_b32 exec_lo, exec_lo, s11
	s_and_saveexec_b32 s11, s27
	s_cbranch_execz .LBB2_1106
.LBB2_1105:                             ;   in Loop: Header=BB2_869 Depth=2
	v_bfe_u32 v117, v16, 3, 4
	v_lshlrev_b32_e32 v118, 24, v16
	s_delay_alu instid0(VALU_DEP_2) | instskip(SKIP_1) | instid1(VALU_DEP_1)
	v_cmp_eq_u32_e32 vcc_lo, 0, v117
	v_and_b32_e32 v114, 7, v16
	v_clz_i32_u32_e32 v115, v114
	s_delay_alu instid0(VALU_DEP_1) | instskip(NEXT) | instid1(VALU_DEP_1)
	v_min_u32_e32 v115, 32, v115
	v_subrev_nc_u32_e32 v116, 28, v115
	v_sub_nc_u32_e32 v115, 29, v115
	s_delay_alu instid0(VALU_DEP_1) | instskip(NEXT) | instid1(VALU_DEP_1)
	v_dual_cndmask_b32 v115, v117, v115 :: v_dual_lshlrev_b32 v116, v116, v16
	v_and_b32_e32 v116, 7, v116
	s_delay_alu instid0(VALU_DEP_2) | instskip(NEXT) | instid1(VALU_DEP_2)
	v_lshl_add_u32 v115, v115, 23, 0x3b800000
	v_cndmask_b32_e32 v114, v114, v116, vcc_lo
	v_and_b32_e32 v116, 0x80000000, v118
	s_delay_alu instid0(VALU_DEP_2) | instskip(NEXT) | instid1(VALU_DEP_1)
	v_lshlrev_b32_e32 v114, 20, v114
	v_or3_b32 v114, v116, v115, v114
.LBB2_1106:                             ;   in Loop: Header=BB2_869 Depth=2
	s_or_b32 exec_lo, exec_lo, s11
	v_and_b32_e32 v116, 0xff, v12
	s_mov_b32 s11, 0
	s_mov_b32 s28, exec_lo
                                        ; implicit-def: $sgpr27
	s_delay_alu instid0(VALU_DEP_1)
	v_cmpx_lt_i16_e32 0x7f, v116
	s_xor_b32 s28, exec_lo, s28
	s_cbranch_execnz .LBB2_1463
; %bb.1107:                             ;   in Loop: Header=BB2_869 Depth=2
	s_or_saveexec_b32 s28, s28
	v_mov_b32_e32 v115, s27
	s_xor_b32 exec_lo, exec_lo, s28
	s_cbranch_execnz .LBB2_1466
.LBB2_1108:                             ;   in Loop: Header=BB2_869 Depth=2
	s_or_b32 exec_lo, exec_lo, s28
	s_and_saveexec_b32 s27, s11
	s_cbranch_execz .LBB2_1110
.LBB2_1109:                             ;   in Loop: Header=BB2_869 Depth=2
	v_and_b32_e32 v115, 7, v12
	v_bfe_u32 v118, v12, 3, 4
	v_lshlrev_b32_e32 v119, 24, v12
	s_delay_alu instid0(VALU_DEP_3) | instskip(NEXT) | instid1(VALU_DEP_3)
	v_clz_i32_u32_e32 v116, v115
	v_cmp_eq_u32_e32 vcc_lo, 0, v118
	s_delay_alu instid0(VALU_DEP_2) | instskip(NEXT) | instid1(VALU_DEP_1)
	v_min_u32_e32 v116, 32, v116
	v_subrev_nc_u32_e32 v117, 28, v116
	v_sub_nc_u32_e32 v116, 29, v116
	s_delay_alu instid0(VALU_DEP_2) | instskip(NEXT) | instid1(VALU_DEP_1)
	v_lshlrev_b32_e32 v117, v117, v12
	v_dual_cndmask_b32 v116, v118, v116 :: v_dual_and_b32 v117, 7, v117
	s_delay_alu instid0(VALU_DEP_1) | instskip(NEXT) | instid1(VALU_DEP_2)
	v_lshl_add_u32 v116, v116, 23, 0x3b800000
	v_cndmask_b32_e32 v115, v115, v117, vcc_lo
	v_and_b32_e32 v117, 0x80000000, v119
	s_delay_alu instid0(VALU_DEP_2) | instskip(NEXT) | instid1(VALU_DEP_1)
	v_lshlrev_b32_e32 v115, 20, v115
	v_or3_b32 v115, v117, v116, v115
.LBB2_1110:                             ;   in Loop: Header=BB2_869 Depth=2
	s_or_b32 exec_lo, exec_lo, s27
	s_delay_alu instid0(VALU_DEP_1) | instskip(SKIP_1) | instid1(VALU_DEP_1)
	v_dual_max_f32 v115, v115, v115 :: v_dual_max_f32 v114, v114, v114
	s_mov_b32 s11, 0
	v_max_f32_e32 v114, v114, v115
	s_branch .LBB2_1112
.LBB2_1111:                             ;   in Loop: Header=BB2_869 Depth=2
	s_mov_b32 s11, -1
                                        ; implicit-def: $vgpr114
.LBB2_1112:                             ;   in Loop: Header=BB2_869 Depth=2
	s_delay_alu instid0(SALU_CYCLE_1)
	s_and_b32 vcc_lo, exec_lo, s11
	s_cbranch_vccz .LBB2_1122
; %bb.1113:                             ;   in Loop: Header=BB2_869 Depth=2
	s_mov_b32 s11, 0
	s_mov_b32 s28, exec_lo
                                        ; implicit-def: $sgpr27
	v_cmpx_lt_i16_e32 0x7f, v15
	s_xor_b32 s28, exec_lo, s28
	s_cbranch_execnz .LBB2_1467
; %bb.1114:                             ;   in Loop: Header=BB2_869 Depth=2
	s_or_saveexec_b32 s28, s28
	v_mov_b32_e32 v114, s27
	s_xor_b32 exec_lo, exec_lo, s28
	s_cbranch_execnz .LBB2_1470
.LBB2_1115:                             ;   in Loop: Header=BB2_869 Depth=2
	s_or_b32 exec_lo, exec_lo, s28
	s_and_saveexec_b32 s27, s11
	s_cbranch_execz .LBB2_1117
.LBB2_1116:                             ;   in Loop: Header=BB2_869 Depth=2
	v_bfe_u32 v116, v16, 3, 4
	v_lshlrev_b32_e32 v117, 24, v16
	s_delay_alu instid0(VALU_DEP_2) | instskip(SKIP_1) | instid1(VALU_DEP_1)
	v_cmp_eq_u32_e32 vcc_lo, 0, v116
	v_and_b32_e32 v15, 7, v16
	v_clz_i32_u32_e32 v114, v15
	s_delay_alu instid0(VALU_DEP_1) | instskip(NEXT) | instid1(VALU_DEP_1)
	v_min_u32_e32 v114, 32, v114
	v_subrev_nc_u32_e32 v115, 28, v114
	v_sub_nc_u32_e32 v114, 29, v114
	s_delay_alu instid0(VALU_DEP_1) | instskip(NEXT) | instid1(VALU_DEP_1)
	v_dual_cndmask_b32 v114, v116, v114 :: v_dual_lshlrev_b32 v115, v115, v16
	v_and_b32_e32 v115, 7, v115
	s_delay_alu instid0(VALU_DEP_2) | instskip(NEXT) | instid1(VALU_DEP_2)
	v_lshl_add_u32 v114, v114, 23, 0x3b800000
	v_cndmask_b32_e32 v15, v15, v115, vcc_lo
	v_and_b32_e32 v115, 0x80000000, v117
	s_delay_alu instid0(VALU_DEP_2) | instskip(NEXT) | instid1(VALU_DEP_1)
	v_lshlrev_b32_e32 v15, 20, v15
	v_or3_b32 v114, v115, v114, v15
.LBB2_1117:                             ;   in Loop: Header=BB2_869 Depth=2
	s_or_b32 exec_lo, exec_lo, s27
	v_and_b32_e32 v115, 0xff, v12
	s_mov_b32 s11, 0
	s_mov_b32 s28, exec_lo
                                        ; implicit-def: $sgpr27
	s_delay_alu instid0(VALU_DEP_1)
	v_cmpx_lt_i16_e32 0x7f, v115
	s_xor_b32 s28, exec_lo, s28
	s_cbranch_execnz .LBB2_1471
; %bb.1118:                             ;   in Loop: Header=BB2_869 Depth=2
	s_or_saveexec_b32 s28, s28
	v_mov_b32_e32 v15, s27
	s_xor_b32 exec_lo, exec_lo, s28
	s_cbranch_execnz .LBB2_1474
.LBB2_1119:                             ;   in Loop: Header=BB2_869 Depth=2
	s_or_b32 exec_lo, exec_lo, s28
	s_and_saveexec_b32 s27, s11
	s_cbranch_execz .LBB2_1121
.LBB2_1120:                             ;   in Loop: Header=BB2_869 Depth=2
	v_and_b32_e32 v15, 7, v12
	v_bfe_u32 v117, v12, 3, 4
	v_lshlrev_b32_e32 v118, 24, v12
	s_delay_alu instid0(VALU_DEP_3) | instskip(NEXT) | instid1(VALU_DEP_3)
	v_clz_i32_u32_e32 v115, v15
	v_cmp_eq_u32_e32 vcc_lo, 0, v117
	s_delay_alu instid0(VALU_DEP_2) | instskip(NEXT) | instid1(VALU_DEP_1)
	v_min_u32_e32 v115, 32, v115
	v_subrev_nc_u32_e32 v116, 28, v115
	v_sub_nc_u32_e32 v115, 29, v115
	s_delay_alu instid0(VALU_DEP_1) | instskip(NEXT) | instid1(VALU_DEP_1)
	v_dual_cndmask_b32 v115, v117, v115 :: v_dual_lshlrev_b32 v116, v116, v12
	v_and_b32_e32 v116, 7, v116
	s_delay_alu instid0(VALU_DEP_2) | instskip(NEXT) | instid1(VALU_DEP_2)
	v_lshl_add_u32 v115, v115, 23, 0x3b800000
	v_dual_cndmask_b32 v15, v15, v116 :: v_dual_and_b32 v116, 0x80000000, v118
	s_delay_alu instid0(VALU_DEP_1) | instskip(NEXT) | instid1(VALU_DEP_1)
	v_lshlrev_b32_e32 v15, 20, v15
	v_or3_b32 v15, v116, v115, v15
.LBB2_1121:                             ;   in Loop: Header=BB2_869 Depth=2
	s_or_b32 exec_lo, exec_lo, s27
	s_delay_alu instid0(VALU_DEP_1) | instskip(NEXT) | instid1(VALU_DEP_1)
	v_dual_max_f32 v15, v15, v15 :: v_dual_max_f32 v114, v114, v114
	v_min_f32_e32 v114, v114, v15
.LBB2_1122:                             ;   in Loop: Header=BB2_869 Depth=2
	s_delay_alu instid0(VALU_DEP_1) | instskip(NEXT) | instid1(VALU_DEP_1)
	v_and_b32_e32 v15, 0x7f800000, v114
	v_cmp_ne_u32_e32 vcc_lo, 0x7f800000, v15
	v_mov_b32_e32 v15, 0x80
	s_and_saveexec_b32 s27, vcc_lo
	s_cbranch_execz .LBB2_1130
; %bb.1123:                             ;   in Loop: Header=BB2_869 Depth=2
	v_mov_b32_e32 v15, 0
	s_mov_b32 s28, exec_lo
	v_cmpx_ne_u32_e32 0, v114
	s_cbranch_execz .LBB2_1129
; %bb.1124:                             ;   in Loop: Header=BB2_869 Depth=2
	v_bfe_u32 v15, v114, 23, 8
	s_delay_alu instid0(VALU_DEP_1) | instskip(SKIP_1) | instid1(VALU_DEP_2)
	v_sub_nc_u32_e32 v116, 0x78, v15
	v_cmp_gt_u32_e32 vcc_lo, 0x79, v15
	v_dual_cndmask_b32 v116, 0, v116 :: v_dual_and_b32 v115, 0x7fffff, v114
	s_delay_alu instid0(VALU_DEP_1) | instskip(SKIP_2) | instid1(VALU_DEP_4)
	v_or_b32_e32 v117, 0x800000, v115
	v_cmp_eq_u32_e32 vcc_lo, 0, v15
	v_add_nc_u32_e32 v15, 0xffffff89, v15
	v_cndmask_b32_e64 v116, v116, 0x77, vcc_lo
	s_delay_alu instid0(VALU_DEP_4) | instskip(NEXT) | instid1(VALU_DEP_3)
	v_cndmask_b32_e32 v115, v117, v115, vcc_lo
	v_cndmask_b32_e64 v15, v15, 0xffffff8a, vcc_lo
	s_delay_alu instid0(VALU_DEP_3) | instskip(NEXT) | instid1(VALU_DEP_3)
	v_lshl_add_u32 v117, 0x100000, v116, -1
	v_lshrrev_b32_e32 v118, v116, v115
	v_lshlrev_b32_e64 v128, v116, 0x80000
	s_delay_alu instid0(VALU_DEP_4) | instskip(NEXT) | instid1(VALU_DEP_4)
	v_add_nc_u32_e32 v116, v116, v15
	v_and_b32_e32 v115, v117, v115
	s_delay_alu instid0(VALU_DEP_4) | instskip(NEXT) | instid1(VALU_DEP_2)
	v_bfe_u32 v119, v118, 20, 1
	v_cmp_eq_u32_e64 s11, v115, v128
	s_delay_alu instid0(VALU_DEP_2) | instskip(NEXT) | instid1(VALU_DEP_1)
	v_add_nc_u32_e32 v117, -1, v119
	v_cndmask_b32_e64 v115, 0, v117, s11
	v_lshrrev_b32_e32 v117, 23, v118
	s_mov_b32 s11, exec_lo
	s_delay_alu instid0(VALU_DEP_2) | instskip(NEXT) | instid1(VALU_DEP_2)
	v_add_nc_u32_e32 v115, v115, v118
	v_xor_b32_e32 v117, 1, v117
	s_delay_alu instid0(VALU_DEP_2) | instskip(NEXT) | instid1(VALU_DEP_1)
	v_and_b32_e32 v15, 0xfffff, v115
	v_add_nc_u32_e32 v115, v15, v118
                                        ; implicit-def: $vgpr15
	s_delay_alu instid0(VALU_DEP_3)
	v_cmpx_ne_u32_e64 v116, v117
	s_xor_b32 s11, exec_lo, s11
; %bb.1125:                             ;   in Loop: Header=BB2_869 Depth=2
	s_delay_alu instid0(VALU_DEP_2) | instskip(SKIP_2) | instid1(VALU_DEP_2)
	v_cmp_lt_u32_e32 vcc_lo, 0xffffff, v115
	v_sub_nc_u32_e32 v15, v116, v117
	v_cndmask_b32_e64 v116, 0, 1, vcc_lo
	v_add_co_ci_u32_e32 v15, vcc_lo, 0, v15, vcc_lo
	s_delay_alu instid0(VALU_DEP_2)
	v_lshrrev_b32_e32 v115, v116, v115
; %bb.1126:                             ;   in Loop: Header=BB2_869 Depth=2
	s_and_not1_saveexec_b32 s11, s11
; %bb.1127:                             ;   in Loop: Header=BB2_869 Depth=2
	s_delay_alu instid0(VALU_DEP_1)
	v_bfe_u32 v15, v115, 23, 1
; %bb.1128:                             ;   in Loop: Header=BB2_869 Depth=2
	s_or_b32 exec_lo, exec_lo, s11
	v_lshrrev_b32_e32 v115, 20, v115
	s_delay_alu instid0(VALU_DEP_2) | instskip(SKIP_2) | instid1(VALU_DEP_2)
	v_cmp_gt_i32_e32 vcc_lo, 16, v15
	v_lshrrev_b32_e32 v114, 24, v114
	v_min_i32_e32 v116, 15, v15
	v_dual_cndmask_b32 v115, 7, v115 :: v_dual_and_b32 v114, 0x80, v114
	s_delay_alu instid0(VALU_DEP_1) | instskip(SKIP_1) | instid1(VALU_DEP_2)
	v_or_b32_e32 v15, v15, v115
	v_and_b32_e32 v117, 7, v115
	v_cmp_ne_u32_e32 vcc_lo, 0, v15
	v_lshlrev_b32_e32 v116, 3, v116
	s_delay_alu instid0(VALU_DEP_1) | instskip(NEXT) | instid1(VALU_DEP_1)
	v_or3_b32 v114, v116, v114, v117
	v_cndmask_b32_e32 v15, 0, v114, vcc_lo
.LBB2_1129:                             ;   in Loop: Header=BB2_869 Depth=2
	s_or_b32 exec_lo, exec_lo, s28
.LBB2_1130:                             ;   in Loop: Header=BB2_869 Depth=2
	s_delay_alu instid0(SALU_CYCLE_1) | instskip(SKIP_3) | instid1(VALU_DEP_2)
	s_or_b32 exec_lo, exec_lo, s27
	v_lshrrev_b16 v115, 8, v16
	v_lshrrev_b16 v114, 8, v12
	s_and_b32 vcc_lo, exec_lo, s26
	v_cmp_lt_i16_e64 s11, 0x7f, v115
	s_cbranch_vccz .LBB2_1140
; %bb.1131:                             ;   in Loop: Header=BB2_869 Depth=2
	s_mov_b32 s27, 0
                                        ; implicit-def: $sgpr28
	s_delay_alu instid0(VALU_DEP_1) | instskip(NEXT) | instid1(SALU_CYCLE_1)
	s_and_saveexec_b32 s29, s11
	s_xor_b32 s11, exec_lo, s29
	s_cbranch_execnz .LBB2_1475
; %bb.1132:                             ;   in Loop: Header=BB2_869 Depth=2
	s_or_saveexec_b32 s11, s11
	v_mov_b32_e32 v116, s28
	s_xor_b32 exec_lo, exec_lo, s11
	s_cbranch_execnz .LBB2_1478
.LBB2_1133:                             ;   in Loop: Header=BB2_869 Depth=2
	s_or_b32 exec_lo, exec_lo, s11
	s_and_saveexec_b32 s11, s27
	s_cbranch_execz .LBB2_1135
.LBB2_1134:                             ;   in Loop: Header=BB2_869 Depth=2
	v_and_b32_e32 v116, 0xffff, v115
	s_delay_alu instid0(VALU_DEP_1) | instskip(NEXT) | instid1(VALU_DEP_1)
	v_and_b32_e32 v117, 7, v116
	v_clz_i32_u32_e32 v118, v117
	s_delay_alu instid0(VALU_DEP_1) | instskip(NEXT) | instid1(VALU_DEP_1)
	v_min_u32_e32 v118, 32, v118
	v_subrev_nc_u32_e32 v119, 28, v118
	v_sub_nc_u32_e32 v118, 29, v118
	s_delay_alu instid0(VALU_DEP_2) | instskip(SKIP_1) | instid1(VALU_DEP_2)
	v_lshlrev_b32_e32 v119, v119, v116
	v_bfe_u32 v116, v116, 3, 4
	v_and_b32_e32 v119, 7, v119
	s_delay_alu instid0(VALU_DEP_2) | instskip(SKIP_1) | instid1(VALU_DEP_3)
	v_cmp_eq_u32_e32 vcc_lo, 0, v116
	v_cndmask_b32_e32 v116, v116, v118, vcc_lo
	v_dual_cndmask_b32 v117, v117, v119 :: v_dual_lshlrev_b32 v128, 16, v16
	s_delay_alu instid0(VALU_DEP_2) | instskip(NEXT) | instid1(VALU_DEP_2)
	v_lshl_add_u32 v116, v116, 23, 0x3b800000
	v_and_b32_e32 v118, 0x80000000, v128
	s_delay_alu instid0(VALU_DEP_3) | instskip(NEXT) | instid1(VALU_DEP_1)
	v_lshlrev_b32_e32 v117, 20, v117
	v_or3_b32 v116, v118, v116, v117
.LBB2_1135:                             ;   in Loop: Header=BB2_869 Depth=2
	s_or_b32 exec_lo, exec_lo, s11
	s_mov_b32 s11, 0
	s_mov_b32 s28, exec_lo
                                        ; implicit-def: $sgpr27
	v_cmpx_lt_i16_e32 0x7f, v114
	s_xor_b32 s28, exec_lo, s28
	s_cbranch_execnz .LBB2_1479
; %bb.1136:                             ;   in Loop: Header=BB2_869 Depth=2
	s_or_saveexec_b32 s28, s28
	v_mov_b32_e32 v117, s27
	s_xor_b32 exec_lo, exec_lo, s28
	s_cbranch_execnz .LBB2_1482
.LBB2_1137:                             ;   in Loop: Header=BB2_869 Depth=2
	s_or_b32 exec_lo, exec_lo, s28
	s_and_saveexec_b32 s27, s11
	s_cbranch_execz .LBB2_1139
.LBB2_1138:                             ;   in Loop: Header=BB2_869 Depth=2
	v_and_b32_e32 v117, 0xffff, v114
	v_lshlrev_b32_e32 v129, 16, v12
	s_delay_alu instid0(VALU_DEP_2) | instskip(NEXT) | instid1(VALU_DEP_1)
	v_and_b32_e32 v118, 7, v117
	v_clz_i32_u32_e32 v119, v118
	s_delay_alu instid0(VALU_DEP_1) | instskip(NEXT) | instid1(VALU_DEP_1)
	v_min_u32_e32 v119, 32, v119
	v_subrev_nc_u32_e32 v128, 28, v119
	v_sub_nc_u32_e32 v119, 29, v119
	s_delay_alu instid0(VALU_DEP_2) | instskip(SKIP_1) | instid1(VALU_DEP_2)
	v_lshlrev_b32_e32 v128, v128, v117
	v_bfe_u32 v117, v117, 3, 4
	v_and_b32_e32 v128, 7, v128
	s_delay_alu instid0(VALU_DEP_2) | instskip(NEXT) | instid1(VALU_DEP_2)
	v_cmp_eq_u32_e32 vcc_lo, 0, v117
	v_dual_cndmask_b32 v117, v117, v119 :: v_dual_cndmask_b32 v118, v118, v128
	v_and_b32_e32 v119, 0x80000000, v129
	s_delay_alu instid0(VALU_DEP_2) | instskip(NEXT) | instid1(VALU_DEP_3)
	v_lshl_add_u32 v117, v117, 23, 0x3b800000
	v_lshlrev_b32_e32 v118, 20, v118
	s_delay_alu instid0(VALU_DEP_1)
	v_or3_b32 v117, v119, v117, v118
.LBB2_1139:                             ;   in Loop: Header=BB2_869 Depth=2
	s_or_b32 exec_lo, exec_lo, s27
	s_delay_alu instid0(VALU_DEP_1) | instskip(SKIP_1) | instid1(VALU_DEP_1)
	v_dual_max_f32 v117, v117, v117 :: v_dual_max_f32 v116, v116, v116
	s_mov_b32 s11, 0
	v_max_f32_e32 v116, v116, v117
	s_branch .LBB2_1141
.LBB2_1140:                             ;   in Loop: Header=BB2_869 Depth=2
	s_mov_b32 s11, -1
                                        ; implicit-def: $vgpr116
.LBB2_1141:                             ;   in Loop: Header=BB2_869 Depth=2
	s_delay_alu instid0(SALU_CYCLE_1)
	s_and_b32 vcc_lo, exec_lo, s11
	s_cbranch_vccz .LBB2_1151
; %bb.1142:                             ;   in Loop: Header=BB2_869 Depth=2
	s_mov_b32 s11, 0
	s_mov_b32 s28, exec_lo
                                        ; implicit-def: $sgpr27
	v_cmpx_lt_i16_e32 0x7f, v115
	s_xor_b32 s28, exec_lo, s28
	s_cbranch_execnz .LBB2_1483
; %bb.1143:                             ;   in Loop: Header=BB2_869 Depth=2
	s_or_saveexec_b32 s28, s28
	v_mov_b32_e32 v116, s27
	s_xor_b32 exec_lo, exec_lo, s28
	s_cbranch_execnz .LBB2_1486
.LBB2_1144:                             ;   in Loop: Header=BB2_869 Depth=2
	s_or_b32 exec_lo, exec_lo, s28
	s_and_saveexec_b32 s27, s11
	s_cbranch_execz .LBB2_1146
.LBB2_1145:                             ;   in Loop: Header=BB2_869 Depth=2
	v_and_b32_e32 v115, 0xffff, v115
	v_lshlrev_b32_e32 v119, 16, v16
	s_delay_alu instid0(VALU_DEP_2) | instskip(NEXT) | instid1(VALU_DEP_1)
	v_and_b32_e32 v116, 7, v115
	v_clz_i32_u32_e32 v117, v116
	s_delay_alu instid0(VALU_DEP_1) | instskip(NEXT) | instid1(VALU_DEP_1)
	v_min_u32_e32 v117, 32, v117
	v_subrev_nc_u32_e32 v118, 28, v117
	v_sub_nc_u32_e32 v117, 29, v117
	s_delay_alu instid0(VALU_DEP_2) | instskip(SKIP_1) | instid1(VALU_DEP_2)
	v_lshlrev_b32_e32 v118, v118, v115
	v_bfe_u32 v115, v115, 3, 4
	v_and_b32_e32 v118, 7, v118
	s_delay_alu instid0(VALU_DEP_2) | instskip(NEXT) | instid1(VALU_DEP_2)
	v_cmp_eq_u32_e32 vcc_lo, 0, v115
	v_dual_cndmask_b32 v115, v115, v117 :: v_dual_cndmask_b32 v116, v116, v118
	v_and_b32_e32 v117, 0x80000000, v119
	s_delay_alu instid0(VALU_DEP_2) | instskip(NEXT) | instid1(VALU_DEP_3)
	v_lshl_add_u32 v115, v115, 23, 0x3b800000
	v_lshlrev_b32_e32 v116, 20, v116
	s_delay_alu instid0(VALU_DEP_1)
	v_or3_b32 v116, v117, v115, v116
.LBB2_1146:                             ;   in Loop: Header=BB2_869 Depth=2
	s_or_b32 exec_lo, exec_lo, s27
	s_mov_b32 s11, 0
	s_mov_b32 s28, exec_lo
                                        ; implicit-def: $sgpr27
	v_cmpx_lt_i16_e32 0x7f, v114
	s_xor_b32 s28, exec_lo, s28
	s_cbranch_execnz .LBB2_1487
; %bb.1147:                             ;   in Loop: Header=BB2_869 Depth=2
	s_or_saveexec_b32 s28, s28
	v_mov_b32_e32 v115, s27
	s_xor_b32 exec_lo, exec_lo, s28
	s_cbranch_execnz .LBB2_1490
.LBB2_1148:                             ;   in Loop: Header=BB2_869 Depth=2
	s_or_b32 exec_lo, exec_lo, s28
	s_and_saveexec_b32 s27, s11
	s_cbranch_execz .LBB2_1150
.LBB2_1149:                             ;   in Loop: Header=BB2_869 Depth=2
	v_and_b32_e32 v114, 0xffff, v114
	v_lshlrev_b32_e32 v119, 16, v12
	s_delay_alu instid0(VALU_DEP_2) | instskip(NEXT) | instid1(VALU_DEP_1)
	v_and_b32_e32 v115, 7, v114
	v_clz_i32_u32_e32 v117, v115
	s_delay_alu instid0(VALU_DEP_1) | instskip(NEXT) | instid1(VALU_DEP_1)
	v_min_u32_e32 v117, 32, v117
	v_subrev_nc_u32_e32 v118, 28, v117
	v_sub_nc_u32_e32 v117, 29, v117
	s_delay_alu instid0(VALU_DEP_2) | instskip(SKIP_1) | instid1(VALU_DEP_2)
	v_lshlrev_b32_e32 v118, v118, v114
	v_bfe_u32 v114, v114, 3, 4
	v_and_b32_e32 v118, 7, v118
	s_delay_alu instid0(VALU_DEP_2) | instskip(NEXT) | instid1(VALU_DEP_2)
	v_cmp_eq_u32_e32 vcc_lo, 0, v114
	v_dual_cndmask_b32 v114, v114, v117 :: v_dual_cndmask_b32 v115, v115, v118
	v_and_b32_e32 v117, 0x80000000, v119
	s_delay_alu instid0(VALU_DEP_2) | instskip(NEXT) | instid1(VALU_DEP_3)
	v_lshl_add_u32 v114, v114, 23, 0x3b800000
	v_lshlrev_b32_e32 v115, 20, v115
	s_delay_alu instid0(VALU_DEP_1)
	v_or3_b32 v115, v117, v114, v115
.LBB2_1150:                             ;   in Loop: Header=BB2_869 Depth=2
	s_or_b32 exec_lo, exec_lo, s27
	s_delay_alu instid0(VALU_DEP_1) | instskip(NEXT) | instid1(VALU_DEP_1)
	v_dual_max_f32 v114, v115, v115 :: v_dual_max_f32 v115, v116, v116
	v_min_f32_e32 v116, v115, v114
.LBB2_1151:                             ;   in Loop: Header=BB2_869 Depth=2
	s_delay_alu instid0(VALU_DEP_1) | instskip(NEXT) | instid1(VALU_DEP_1)
	v_and_b32_e32 v114, 0x7f800000, v116
	v_cmp_ne_u32_e32 vcc_lo, 0x7f800000, v114
	v_mov_b32_e32 v114, 0x80
	s_and_saveexec_b32 s27, vcc_lo
	s_cbranch_execz .LBB2_1159
; %bb.1152:                             ;   in Loop: Header=BB2_869 Depth=2
	v_mov_b32_e32 v114, 0
	s_mov_b32 s28, exec_lo
	v_cmpx_ne_u32_e32 0, v116
	s_cbranch_execz .LBB2_1158
; %bb.1153:                             ;   in Loop: Header=BB2_869 Depth=2
	v_bfe_u32 v114, v116, 23, 8
	v_and_b32_e32 v115, 0x7fffff, v116
	s_delay_alu instid0(VALU_DEP_2) | instskip(SKIP_1) | instid1(VALU_DEP_3)
	v_sub_nc_u32_e32 v117, 0x78, v114
	v_cmp_gt_u32_e32 vcc_lo, 0x79, v114
	v_or_b32_e32 v118, 0x800000, v115
	s_delay_alu instid0(VALU_DEP_3) | instskip(SKIP_2) | instid1(VALU_DEP_3)
	v_cndmask_b32_e32 v117, 0, v117, vcc_lo
	v_cmp_eq_u32_e32 vcc_lo, 0, v114
	v_add_nc_u32_e32 v114, 0xffffff89, v114
	v_cndmask_b32_e64 v117, v117, 0x77, vcc_lo
	v_cndmask_b32_e32 v115, v118, v115, vcc_lo
	s_delay_alu instid0(VALU_DEP_3) | instskip(NEXT) | instid1(VALU_DEP_3)
	v_cndmask_b32_e64 v114, v114, 0xffffff8a, vcc_lo
	v_lshl_add_u32 v118, 0x100000, v117, -1
	s_delay_alu instid0(VALU_DEP_3) | instskip(SKIP_1) | instid1(VALU_DEP_4)
	v_lshrrev_b32_e32 v119, v117, v115
	v_lshlrev_b32_e64 v129, v117, 0x80000
	v_add_nc_u32_e32 v117, v117, v114
	s_delay_alu instid0(VALU_DEP_4) | instskip(NEXT) | instid1(VALU_DEP_4)
	v_and_b32_e32 v115, v118, v115
	v_bfe_u32 v128, v119, 20, 1
	s_delay_alu instid0(VALU_DEP_2) | instskip(NEXT) | instid1(VALU_DEP_2)
	v_cmp_eq_u32_e64 s11, v115, v129
	v_add_nc_u32_e32 v118, -1, v128
	s_delay_alu instid0(VALU_DEP_1) | instskip(SKIP_2) | instid1(VALU_DEP_2)
	v_cndmask_b32_e64 v115, 0, v118, s11
	v_lshrrev_b32_e32 v118, 23, v119
	s_mov_b32 s11, exec_lo
	v_add_nc_u32_e32 v115, v115, v119
	s_delay_alu instid0(VALU_DEP_2) | instskip(NEXT) | instid1(VALU_DEP_2)
	v_xor_b32_e32 v118, 1, v118
	v_and_b32_e32 v114, 0xfffff, v115
	s_delay_alu instid0(VALU_DEP_1) | instskip(NEXT) | instid1(VALU_DEP_3)
	v_add_nc_u32_e32 v115, v114, v119
                                        ; implicit-def: $vgpr114
	v_cmpx_ne_u32_e64 v117, v118
	s_xor_b32 s11, exec_lo, s11
; %bb.1154:                             ;   in Loop: Header=BB2_869 Depth=2
	s_delay_alu instid0(VALU_DEP_2) | instskip(SKIP_2) | instid1(VALU_DEP_2)
	v_cmp_lt_u32_e32 vcc_lo, 0xffffff, v115
	v_sub_nc_u32_e32 v114, v117, v118
	v_cndmask_b32_e64 v117, 0, 1, vcc_lo
	v_add_co_ci_u32_e32 v114, vcc_lo, 0, v114, vcc_lo
	s_delay_alu instid0(VALU_DEP_2)
	v_lshrrev_b32_e32 v115, v117, v115
; %bb.1155:                             ;   in Loop: Header=BB2_869 Depth=2
	s_and_not1_saveexec_b32 s11, s11
; %bb.1156:                             ;   in Loop: Header=BB2_869 Depth=2
	s_delay_alu instid0(VALU_DEP_1)
	v_bfe_u32 v114, v115, 23, 1
; %bb.1157:                             ;   in Loop: Header=BB2_869 Depth=2
	s_or_b32 exec_lo, exec_lo, s11
	v_lshrrev_b32_e32 v115, 20, v115
	s_delay_alu instid0(VALU_DEP_2) | instskip(SKIP_2) | instid1(VALU_DEP_2)
	v_cmp_gt_i32_e32 vcc_lo, 16, v114
	v_lshrrev_b32_e32 v116, 24, v116
	v_min_i32_e32 v117, 15, v114
	v_dual_cndmask_b32 v115, 7, v115 :: v_dual_and_b32 v116, 0x80, v116
	s_delay_alu instid0(VALU_DEP_1) | instskip(SKIP_1) | instid1(VALU_DEP_2)
	v_or_b32_e32 v114, v114, v115
	v_and_b32_e32 v118, 7, v115
	v_cmp_ne_u32_e32 vcc_lo, 0, v114
	v_lshlrev_b32_e32 v117, 3, v117
	s_delay_alu instid0(VALU_DEP_1) | instskip(NEXT) | instid1(VALU_DEP_1)
	v_or3_b32 v115, v117, v116, v118
	v_cndmask_b32_e32 v114, 0, v115, vcc_lo
.LBB2_1158:                             ;   in Loop: Header=BB2_869 Depth=2
	s_or_b32 exec_lo, exec_lo, s28
.LBB2_1159:                             ;   in Loop: Header=BB2_869 Depth=2
	s_delay_alu instid0(SALU_CYCLE_1) | instskip(SKIP_3) | instid1(VALU_DEP_2)
	s_or_b32 exec_lo, exec_lo, s27
	v_lshrrev_b32_e32 v116, 16, v16
	v_lshrrev_b32_e32 v115, 16, v12
	s_and_b32 vcc_lo, exec_lo, s26
	v_and_b32_e32 v117, 0xff, v116
	s_delay_alu instid0(VALU_DEP_1)
	v_cmp_lt_i16_e64 s11, 0x7f, v117
	s_cbranch_vccz .LBB2_1169
; %bb.1160:                             ;   in Loop: Header=BB2_869 Depth=2
	s_mov_b32 s27, 0
                                        ; implicit-def: $sgpr28
	s_delay_alu instid0(VALU_DEP_1) | instskip(NEXT) | instid1(SALU_CYCLE_1)
	s_and_saveexec_b32 s29, s11
	s_xor_b32 s11, exec_lo, s29
	s_cbranch_execnz .LBB2_1491
; %bb.1161:                             ;   in Loop: Header=BB2_869 Depth=2
	s_or_saveexec_b32 s11, s11
	v_mov_b32_e32 v118, s28
	s_xor_b32 exec_lo, exec_lo, s11
	s_cbranch_execnz .LBB2_1494
.LBB2_1162:                             ;   in Loop: Header=BB2_869 Depth=2
	s_or_b32 exec_lo, exec_lo, s11
	s_and_saveexec_b32 s11, s27
	s_cbranch_execz .LBB2_1164
.LBB2_1163:                             ;   in Loop: Header=BB2_869 Depth=2
	v_bfe_u32 v118, v16, 16, 3
	v_bfe_u32 v129, v16, 19, 4
	v_lshlrev_b32_e32 v130, 24, v116
	s_delay_alu instid0(VALU_DEP_3) | instskip(NEXT) | instid1(VALU_DEP_3)
	v_clz_i32_u32_e32 v119, v118
	v_cmp_eq_u32_e32 vcc_lo, 0, v129
	s_delay_alu instid0(VALU_DEP_2) | instskip(NEXT) | instid1(VALU_DEP_1)
	v_min_u32_e32 v119, 32, v119
	v_subrev_nc_u32_e32 v128, 28, v119
	v_sub_nc_u32_e32 v119, 29, v119
	s_delay_alu instid0(VALU_DEP_1) | instskip(NEXT) | instid1(VALU_DEP_1)
	v_dual_cndmask_b32 v119, v129, v119 :: v_dual_lshlrev_b32 v128, v128, v116
	v_and_b32_e32 v128, 7, v128
	s_delay_alu instid0(VALU_DEP_2) | instskip(NEXT) | instid1(VALU_DEP_2)
	v_lshl_add_u32 v119, v119, 23, 0x3b800000
	v_cndmask_b32_e32 v118, v118, v128, vcc_lo
	v_and_b32_e32 v128, 0x80000000, v130
	s_delay_alu instid0(VALU_DEP_2) | instskip(NEXT) | instid1(VALU_DEP_1)
	v_lshlrev_b32_e32 v118, 20, v118
	v_or3_b32 v118, v128, v119, v118
.LBB2_1164:                             ;   in Loop: Header=BB2_869 Depth=2
	s_or_b32 exec_lo, exec_lo, s11
	v_and_b32_e32 v128, 0xff, v115
	s_mov_b32 s11, 0
	s_mov_b32 s28, exec_lo
                                        ; implicit-def: $sgpr27
	s_delay_alu instid0(VALU_DEP_1)
	v_cmpx_lt_i16_e64 0x7f, v128
	s_xor_b32 s28, exec_lo, s28
	s_cbranch_execnz .LBB2_1495
; %bb.1165:                             ;   in Loop: Header=BB2_869 Depth=2
	s_or_saveexec_b32 s28, s28
	v_mov_b32_e32 v119, s27
	s_xor_b32 exec_lo, exec_lo, s28
	s_cbranch_execnz .LBB2_1498
.LBB2_1166:                             ;   in Loop: Header=BB2_869 Depth=2
	s_or_b32 exec_lo, exec_lo, s28
	s_and_saveexec_b32 s27, s11
	s_cbranch_execz .LBB2_1168
.LBB2_1167:                             ;   in Loop: Header=BB2_869 Depth=2
	v_bfe_u32 v119, v12, 16, 3
	v_bfe_u32 v130, v12, 19, 4
	v_lshlrev_b32_e32 v131, 24, v115
	s_delay_alu instid0(VALU_DEP_3) | instskip(NEXT) | instid1(VALU_DEP_3)
	v_clz_i32_u32_e32 v128, v119
	v_cmp_eq_u32_e32 vcc_lo, 0, v130
	s_delay_alu instid0(VALU_DEP_2) | instskip(NEXT) | instid1(VALU_DEP_1)
	v_min_u32_e32 v128, 32, v128
	v_subrev_nc_u32_e32 v129, 28, v128
	v_sub_nc_u32_e32 v128, 29, v128
	s_delay_alu instid0(VALU_DEP_1) | instskip(NEXT) | instid1(VALU_DEP_1)
	v_dual_cndmask_b32 v128, v130, v128 :: v_dual_lshlrev_b32 v129, v129, v115
	v_and_b32_e32 v129, 7, v129
	s_delay_alu instid0(VALU_DEP_2) | instskip(NEXT) | instid1(VALU_DEP_2)
	v_lshl_add_u32 v128, v128, 23, 0x3b800000
	v_cndmask_b32_e32 v119, v119, v129, vcc_lo
	v_and_b32_e32 v129, 0x80000000, v131
	s_delay_alu instid0(VALU_DEP_2) | instskip(NEXT) | instid1(VALU_DEP_1)
	v_lshlrev_b32_e32 v119, 20, v119
	v_or3_b32 v119, v129, v128, v119
.LBB2_1168:                             ;   in Loop: Header=BB2_869 Depth=2
	s_or_b32 exec_lo, exec_lo, s27
	s_delay_alu instid0(VALU_DEP_1) | instskip(SKIP_1) | instid1(VALU_DEP_1)
	v_dual_max_f32 v119, v119, v119 :: v_dual_max_f32 v118, v118, v118
	s_mov_b32 s11, 0
	v_max_f32_e32 v118, v118, v119
	s_branch .LBB2_1170
.LBB2_1169:                             ;   in Loop: Header=BB2_869 Depth=2
	s_mov_b32 s11, -1
                                        ; implicit-def: $vgpr118
.LBB2_1170:                             ;   in Loop: Header=BB2_869 Depth=2
	s_delay_alu instid0(SALU_CYCLE_1)
	s_and_b32 vcc_lo, exec_lo, s11
	s_cbranch_vccz .LBB2_1180
; %bb.1171:                             ;   in Loop: Header=BB2_869 Depth=2
	s_mov_b32 s11, 0
	s_mov_b32 s28, exec_lo
                                        ; implicit-def: $sgpr27
	v_cmpx_lt_i16_e32 0x7f, v117
	s_xor_b32 s28, exec_lo, s28
	s_cbranch_execnz .LBB2_1499
; %bb.1172:                             ;   in Loop: Header=BB2_869 Depth=2
	s_or_saveexec_b32 s28, s28
	v_mov_b32_e32 v118, s27
	s_xor_b32 exec_lo, exec_lo, s28
	s_cbranch_execnz .LBB2_1502
.LBB2_1173:                             ;   in Loop: Header=BB2_869 Depth=2
	s_or_b32 exec_lo, exec_lo, s28
	s_and_saveexec_b32 s27, s11
	s_cbranch_execz .LBB2_1175
.LBB2_1174:                             ;   in Loop: Header=BB2_869 Depth=2
	v_bfe_u32 v117, v16, 16, 3
	v_bfe_u32 v128, v16, 19, 4
	s_delay_alu instid0(VALU_DEP_2) | instskip(NEXT) | instid1(VALU_DEP_2)
	v_clz_i32_u32_e32 v118, v117
	v_cmp_eq_u32_e32 vcc_lo, 0, v128
	s_delay_alu instid0(VALU_DEP_2) | instskip(NEXT) | instid1(VALU_DEP_1)
	v_min_u32_e32 v118, 32, v118
	v_subrev_nc_u32_e32 v119, 28, v118
	v_sub_nc_u32_e32 v118, 29, v118
	s_delay_alu instid0(VALU_DEP_1) | instskip(NEXT) | instid1(VALU_DEP_1)
	v_dual_cndmask_b32 v118, v128, v118 :: v_dual_lshlrev_b32 v119, v119, v116
	v_and_b32_e32 v119, 7, v119
	v_lshlrev_b32_e32 v116, 24, v116
	s_delay_alu instid0(VALU_DEP_3) | instskip(NEXT) | instid1(VALU_DEP_2)
	v_lshl_add_u32 v118, v118, 23, 0x3b800000
	v_dual_cndmask_b32 v117, v117, v119 :: v_dual_and_b32 v116, 0x80000000, v116
	s_delay_alu instid0(VALU_DEP_1) | instskip(NEXT) | instid1(VALU_DEP_1)
	v_lshlrev_b32_e32 v117, 20, v117
	v_or3_b32 v118, v116, v118, v117
.LBB2_1175:                             ;   in Loop: Header=BB2_869 Depth=2
	s_or_b32 exec_lo, exec_lo, s27
	v_and_b32_e32 v117, 0xff, v115
	s_mov_b32 s11, 0
	s_mov_b32 s28, exec_lo
                                        ; implicit-def: $sgpr27
	s_delay_alu instid0(VALU_DEP_1)
	v_cmpx_lt_i16_e32 0x7f, v117
	s_xor_b32 s28, exec_lo, s28
	s_cbranch_execnz .LBB2_1503
; %bb.1176:                             ;   in Loop: Header=BB2_869 Depth=2
	s_or_saveexec_b32 s28, s28
	v_mov_b32_e32 v116, s27
	s_xor_b32 exec_lo, exec_lo, s28
	s_cbranch_execnz .LBB2_1506
.LBB2_1177:                             ;   in Loop: Header=BB2_869 Depth=2
	s_or_b32 exec_lo, exec_lo, s28
	s_and_saveexec_b32 s27, s11
	s_cbranch_execz .LBB2_1179
.LBB2_1178:                             ;   in Loop: Header=BB2_869 Depth=2
	v_bfe_u32 v116, v12, 16, 3
	v_bfe_u32 v128, v12, 19, 4
	s_delay_alu instid0(VALU_DEP_2) | instskip(NEXT) | instid1(VALU_DEP_2)
	v_clz_i32_u32_e32 v117, v116
	v_cmp_eq_u32_e32 vcc_lo, 0, v128
	s_delay_alu instid0(VALU_DEP_2) | instskip(NEXT) | instid1(VALU_DEP_1)
	v_min_u32_e32 v117, 32, v117
	v_subrev_nc_u32_e32 v119, 28, v117
	v_sub_nc_u32_e32 v117, 29, v117
	s_delay_alu instid0(VALU_DEP_2) | instskip(SKIP_1) | instid1(VALU_DEP_2)
	v_lshlrev_b32_e32 v119, v119, v115
	v_lshlrev_b32_e32 v115, 24, v115
	v_and_b32_e32 v119, 7, v119
	s_delay_alu instid0(VALU_DEP_2) | instskip(NEXT) | instid1(VALU_DEP_2)
	v_and_b32_e32 v115, 0x80000000, v115
	v_cndmask_b32_e32 v116, v116, v119, vcc_lo
	s_delay_alu instid0(VALU_DEP_1) | instskip(NEXT) | instid1(VALU_DEP_1)
	v_dual_cndmask_b32 v117, v128, v117 :: v_dual_lshlrev_b32 v116, 20, v116
	v_lshl_add_u32 v117, v117, 23, 0x3b800000
	s_delay_alu instid0(VALU_DEP_1)
	v_or3_b32 v116, v115, v117, v116
.LBB2_1179:                             ;   in Loop: Header=BB2_869 Depth=2
	s_or_b32 exec_lo, exec_lo, s27
	s_delay_alu instid0(VALU_DEP_1) | instskip(NEXT) | instid1(VALU_DEP_1)
	v_dual_max_f32 v115, v116, v116 :: v_dual_max_f32 v116, v118, v118
	v_min_f32_e32 v118, v116, v115
.LBB2_1180:                             ;   in Loop: Header=BB2_869 Depth=2
	s_delay_alu instid0(VALU_DEP_1) | instskip(NEXT) | instid1(VALU_DEP_1)
	v_and_b32_e32 v115, 0x7f800000, v118
	v_cmp_ne_u32_e32 vcc_lo, 0x7f800000, v115
	v_mov_b32_e32 v115, 0x80
	s_and_saveexec_b32 s27, vcc_lo
	s_cbranch_execz .LBB2_1188
; %bb.1181:                             ;   in Loop: Header=BB2_869 Depth=2
	v_mov_b32_e32 v115, 0
	s_mov_b32 s28, exec_lo
	v_cmpx_ne_u32_e32 0, v118
	s_cbranch_execz .LBB2_1187
; %bb.1182:                             ;   in Loop: Header=BB2_869 Depth=2
	v_bfe_u32 v115, v118, 23, 8
	s_delay_alu instid0(VALU_DEP_1) | instskip(SKIP_1) | instid1(VALU_DEP_2)
	v_sub_nc_u32_e32 v117, 0x78, v115
	v_cmp_gt_u32_e32 vcc_lo, 0x79, v115
	v_dual_cndmask_b32 v117, 0, v117 :: v_dual_and_b32 v116, 0x7fffff, v118
	s_delay_alu instid0(VALU_DEP_1) | instskip(SKIP_2) | instid1(VALU_DEP_4)
	v_or_b32_e32 v119, 0x800000, v116
	v_cmp_eq_u32_e32 vcc_lo, 0, v115
	v_add_nc_u32_e32 v115, 0xffffff89, v115
	v_cndmask_b32_e64 v117, v117, 0x77, vcc_lo
	s_delay_alu instid0(VALU_DEP_4) | instskip(NEXT) | instid1(VALU_DEP_3)
	v_cndmask_b32_e32 v116, v119, v116, vcc_lo
	v_cndmask_b32_e64 v115, v115, 0xffffff8a, vcc_lo
	s_delay_alu instid0(VALU_DEP_3) | instskip(NEXT) | instid1(VALU_DEP_3)
	v_lshl_add_u32 v119, 0x100000, v117, -1
	v_lshrrev_b32_e32 v128, v117, v116
	v_lshlrev_b32_e64 v130, v117, 0x80000
	s_delay_alu instid0(VALU_DEP_4) | instskip(NEXT) | instid1(VALU_DEP_4)
	v_add_nc_u32_e32 v117, v117, v115
	v_and_b32_e32 v116, v119, v116
	s_delay_alu instid0(VALU_DEP_4) | instskip(NEXT) | instid1(VALU_DEP_2)
	v_bfe_u32 v129, v128, 20, 1
	v_cmp_eq_u32_e64 s11, v116, v130
	s_delay_alu instid0(VALU_DEP_2) | instskip(NEXT) | instid1(VALU_DEP_1)
	v_add_nc_u32_e32 v119, -1, v129
	v_cndmask_b32_e64 v116, 0, v119, s11
	v_lshrrev_b32_e32 v119, 23, v128
	s_mov_b32 s11, exec_lo
	s_delay_alu instid0(VALU_DEP_2) | instskip(NEXT) | instid1(VALU_DEP_2)
	v_add_nc_u32_e32 v116, v116, v128
	v_xor_b32_e32 v119, 1, v119
	s_delay_alu instid0(VALU_DEP_2) | instskip(NEXT) | instid1(VALU_DEP_1)
	v_and_b32_e32 v115, 0xfffff, v116
	v_add_nc_u32_e32 v116, v115, v128
                                        ; implicit-def: $vgpr115
	s_delay_alu instid0(VALU_DEP_3)
	v_cmpx_ne_u32_e64 v117, v119
	s_xor_b32 s11, exec_lo, s11
; %bb.1183:                             ;   in Loop: Header=BB2_869 Depth=2
	s_delay_alu instid0(VALU_DEP_2) | instskip(SKIP_2) | instid1(VALU_DEP_2)
	v_cmp_lt_u32_e32 vcc_lo, 0xffffff, v116
	v_sub_nc_u32_e32 v115, v117, v119
	v_cndmask_b32_e64 v117, 0, 1, vcc_lo
	v_add_co_ci_u32_e32 v115, vcc_lo, 0, v115, vcc_lo
	s_delay_alu instid0(VALU_DEP_2)
	v_lshrrev_b32_e32 v116, v117, v116
; %bb.1184:                             ;   in Loop: Header=BB2_869 Depth=2
	s_and_not1_saveexec_b32 s11, s11
; %bb.1185:                             ;   in Loop: Header=BB2_869 Depth=2
	s_delay_alu instid0(VALU_DEP_1)
	v_bfe_u32 v115, v116, 23, 1
; %bb.1186:                             ;   in Loop: Header=BB2_869 Depth=2
	s_or_b32 exec_lo, exec_lo, s11
	v_lshrrev_b32_e32 v116, 20, v116
	s_delay_alu instid0(VALU_DEP_2) | instskip(SKIP_2) | instid1(VALU_DEP_2)
	v_cmp_gt_i32_e32 vcc_lo, 16, v115
	v_lshrrev_b32_e32 v117, 24, v118
	v_min_i32_e32 v118, 15, v115
	v_dual_cndmask_b32 v116, 7, v116 :: v_dual_and_b32 v117, 0x80, v117
	s_delay_alu instid0(VALU_DEP_1) | instskip(SKIP_1) | instid1(VALU_DEP_2)
	v_or_b32_e32 v115, v115, v116
	v_and_b32_e32 v119, 7, v116
	v_cmp_ne_u32_e32 vcc_lo, 0, v115
	v_lshlrev_b32_e32 v118, 3, v118
	s_delay_alu instid0(VALU_DEP_1) | instskip(NEXT) | instid1(VALU_DEP_1)
	v_or3_b32 v116, v118, v117, v119
	v_cndmask_b32_e32 v115, 0, v116, vcc_lo
.LBB2_1187:                             ;   in Loop: Header=BB2_869 Depth=2
	s_or_b32 exec_lo, exec_lo, s28
.LBB2_1188:                             ;   in Loop: Header=BB2_869 Depth=2
	s_delay_alu instid0(SALU_CYCLE_1) | instskip(SKIP_3) | instid1(VALU_DEP_2)
	s_or_b32 exec_lo, exec_lo, s27
	v_lshrrev_b32_e32 v117, 24, v16
	v_lshrrev_b32_e32 v116, 24, v12
	s_and_b32 vcc_lo, exec_lo, s26
	v_cmp_lt_i16_e64 s11, 0x7f, v117
	s_cbranch_vccz .LBB2_1198
; %bb.1189:                             ;   in Loop: Header=BB2_869 Depth=2
	s_mov_b32 s27, 0
                                        ; implicit-def: $sgpr28
	s_delay_alu instid0(VALU_DEP_1) | instskip(NEXT) | instid1(SALU_CYCLE_1)
	s_and_saveexec_b32 s29, s11
	s_xor_b32 s11, exec_lo, s29
	s_cbranch_execnz .LBB2_1507
; %bb.1190:                             ;   in Loop: Header=BB2_869 Depth=2
	s_or_saveexec_b32 s11, s11
	v_mov_b32_e32 v118, s28
	s_xor_b32 exec_lo, exec_lo, s11
	s_cbranch_execnz .LBB2_1510
.LBB2_1191:                             ;   in Loop: Header=BB2_869 Depth=2
	s_or_b32 exec_lo, exec_lo, s11
	s_and_saveexec_b32 s11, s27
	s_cbranch_execz .LBB2_1193
.LBB2_1192:                             ;   in Loop: Header=BB2_869 Depth=2
	v_bfe_u32 v118, v16, 24, 3
	v_bfe_u32 v129, v16, 27, 4
	s_delay_alu instid0(VALU_DEP_2) | instskip(NEXT) | instid1(VALU_DEP_2)
	v_clz_i32_u32_e32 v119, v118
	v_cmp_eq_u32_e32 vcc_lo, 0, v129
	s_delay_alu instid0(VALU_DEP_2) | instskip(NEXT) | instid1(VALU_DEP_1)
	v_min_u32_e32 v119, 32, v119
	v_subrev_nc_u32_e32 v128, 28, v119
	v_sub_nc_u32_e32 v119, 29, v119
	s_delay_alu instid0(VALU_DEP_1) | instskip(NEXT) | instid1(VALU_DEP_1)
	v_dual_cndmask_b32 v119, v129, v119 :: v_dual_lshlrev_b32 v128, v128, v117
	v_and_b32_e32 v128, 7, v128
	s_delay_alu instid0(VALU_DEP_2) | instskip(NEXT) | instid1(VALU_DEP_2)
	v_lshl_add_u32 v119, v119, 23, 0x3b800000
	v_cndmask_b32_e32 v118, v118, v128, vcc_lo
	v_and_b32_e32 v128, 0x80000000, v16
	s_delay_alu instid0(VALU_DEP_2) | instskip(NEXT) | instid1(VALU_DEP_1)
	v_lshlrev_b32_e32 v118, 20, v118
	v_or3_b32 v118, v128, v119, v118
.LBB2_1193:                             ;   in Loop: Header=BB2_869 Depth=2
	s_or_b32 exec_lo, exec_lo, s11
	s_mov_b32 s11, 0
	s_mov_b32 s28, exec_lo
                                        ; implicit-def: $sgpr27
	v_cmpx_lt_i16_e32 0x7f, v116
	s_xor_b32 s28, exec_lo, s28
	s_cbranch_execnz .LBB2_1511
; %bb.1194:                             ;   in Loop: Header=BB2_869 Depth=2
	s_or_saveexec_b32 s28, s28
	v_mov_b32_e32 v119, s27
	s_xor_b32 exec_lo, exec_lo, s28
	s_cbranch_execnz .LBB2_1514
.LBB2_1195:                             ;   in Loop: Header=BB2_869 Depth=2
	s_or_b32 exec_lo, exec_lo, s28
	s_and_saveexec_b32 s27, s11
	s_cbranch_execz .LBB2_1197
.LBB2_1196:                             ;   in Loop: Header=BB2_869 Depth=2
	v_bfe_u32 v119, v12, 24, 3
	v_bfe_u32 v130, v12, 27, 4
	s_delay_alu instid0(VALU_DEP_2) | instskip(NEXT) | instid1(VALU_DEP_2)
	v_clz_i32_u32_e32 v128, v119
	v_cmp_eq_u32_e32 vcc_lo, 0, v130
	s_delay_alu instid0(VALU_DEP_2) | instskip(NEXT) | instid1(VALU_DEP_1)
	v_min_u32_e32 v128, 32, v128
	v_subrev_nc_u32_e32 v129, 28, v128
	v_sub_nc_u32_e32 v128, 29, v128
	s_delay_alu instid0(VALU_DEP_2) | instskip(NEXT) | instid1(VALU_DEP_1)
	v_lshlrev_b32_e32 v129, v129, v116
	v_dual_cndmask_b32 v128, v130, v128 :: v_dual_and_b32 v129, 7, v129
	s_delay_alu instid0(VALU_DEP_1) | instskip(NEXT) | instid1(VALU_DEP_2)
	v_lshl_add_u32 v128, v128, 23, 0x3b800000
	v_cndmask_b32_e32 v119, v119, v129, vcc_lo
	v_and_b32_e32 v129, 0x80000000, v12
	s_delay_alu instid0(VALU_DEP_2) | instskip(NEXT) | instid1(VALU_DEP_1)
	v_lshlrev_b32_e32 v119, 20, v119
	v_or3_b32 v119, v129, v128, v119
.LBB2_1197:                             ;   in Loop: Header=BB2_869 Depth=2
	s_or_b32 exec_lo, exec_lo, s27
	s_delay_alu instid0(VALU_DEP_1) | instskip(SKIP_1) | instid1(VALU_DEP_1)
	v_dual_max_f32 v119, v119, v119 :: v_dual_max_f32 v118, v118, v118
	s_mov_b32 s11, 0
	v_max_f32_e32 v118, v118, v119
	s_branch .LBB2_1199
.LBB2_1198:                             ;   in Loop: Header=BB2_869 Depth=2
	s_mov_b32 s11, -1
                                        ; implicit-def: $vgpr118
.LBB2_1199:                             ;   in Loop: Header=BB2_869 Depth=2
	s_delay_alu instid0(SALU_CYCLE_1)
	s_and_b32 vcc_lo, exec_lo, s11
	s_cbranch_vccz .LBB2_1209
; %bb.1200:                             ;   in Loop: Header=BB2_869 Depth=2
	s_mov_b32 s11, 0
	s_mov_b32 s28, exec_lo
                                        ; implicit-def: $sgpr27
	v_cmpx_lt_i16_e32 0x7f, v117
	s_xor_b32 s28, exec_lo, s28
	s_cbranch_execnz .LBB2_1515
; %bb.1201:                             ;   in Loop: Header=BB2_869 Depth=2
	s_or_saveexec_b32 s28, s28
	v_mov_b32_e32 v118, s27
	s_xor_b32 exec_lo, exec_lo, s28
	s_cbranch_execnz .LBB2_1518
.LBB2_1202:                             ;   in Loop: Header=BB2_869 Depth=2
	s_or_b32 exec_lo, exec_lo, s28
	s_and_saveexec_b32 s27, s11
	s_cbranch_execz .LBB2_1204
.LBB2_1203:                             ;   in Loop: Header=BB2_869 Depth=2
	v_bfe_u32 v118, v16, 24, 3
	s_delay_alu instid0(VALU_DEP_1) | instskip(NEXT) | instid1(VALU_DEP_1)
	v_clz_i32_u32_e32 v119, v118
	v_min_u32_e32 v119, 32, v119
	s_delay_alu instid0(VALU_DEP_1) | instskip(SKIP_1) | instid1(VALU_DEP_2)
	v_subrev_nc_u32_e32 v128, 28, v119
	v_sub_nc_u32_e32 v119, 29, v119
	v_lshlrev_b32_e32 v117, v128, v117
	v_bfe_u32 v128, v16, 27, 4
	v_and_b32_e32 v16, 0x80000000, v16
	s_delay_alu instid0(VALU_DEP_3) | instskip(NEXT) | instid1(VALU_DEP_3)
	v_and_b32_e32 v117, 7, v117
	v_cmp_eq_u32_e32 vcc_lo, 0, v128
	v_cndmask_b32_e32 v119, v128, v119, vcc_lo
	s_delay_alu instid0(VALU_DEP_3) | instskip(NEXT) | instid1(VALU_DEP_2)
	v_cndmask_b32_e32 v117, v118, v117, vcc_lo
	v_lshl_add_u32 v118, v119, 23, 0x3b800000
	s_delay_alu instid0(VALU_DEP_2) | instskip(NEXT) | instid1(VALU_DEP_1)
	v_lshlrev_b32_e32 v117, 20, v117
	v_or3_b32 v118, v16, v118, v117
.LBB2_1204:                             ;   in Loop: Header=BB2_869 Depth=2
	s_or_b32 exec_lo, exec_lo, s27
	s_mov_b32 s11, 0
	s_mov_b32 s28, exec_lo
                                        ; implicit-def: $sgpr27
	v_cmpx_lt_i16_e32 0x7f, v116
	s_xor_b32 s28, exec_lo, s28
	s_cbranch_execnz .LBB2_1519
; %bb.1205:                             ;   in Loop: Header=BB2_869 Depth=2
	s_or_saveexec_b32 s28, s28
	v_mov_b32_e32 v16, s27
	s_xor_b32 exec_lo, exec_lo, s28
	s_cbranch_execnz .LBB2_1522
.LBB2_1206:                             ;   in Loop: Header=BB2_869 Depth=2
	s_or_b32 exec_lo, exec_lo, s28
	s_and_saveexec_b32 s27, s11
	s_cbranch_execz .LBB2_1208
.LBB2_1207:                             ;   in Loop: Header=BB2_869 Depth=2
	v_bfe_u32 v16, v12, 24, 3
	s_delay_alu instid0(VALU_DEP_1) | instskip(NEXT) | instid1(VALU_DEP_1)
	v_clz_i32_u32_e32 v117, v16
	v_min_u32_e32 v117, 32, v117
	s_delay_alu instid0(VALU_DEP_1) | instskip(SKIP_1) | instid1(VALU_DEP_2)
	v_subrev_nc_u32_e32 v119, 28, v117
	v_sub_nc_u32_e32 v117, 29, v117
	v_lshlrev_b32_e32 v116, v119, v116
	v_bfe_u32 v119, v12, 27, 4
	v_and_b32_e32 v12, 0x80000000, v12
	s_delay_alu instid0(VALU_DEP_2) | instskip(NEXT) | instid1(VALU_DEP_4)
	v_cmp_eq_u32_e32 vcc_lo, 0, v119
	v_dual_cndmask_b32 v117, v119, v117 :: v_dual_and_b32 v116, 7, v116
	s_delay_alu instid0(VALU_DEP_1) | instskip(NEXT) | instid1(VALU_DEP_2)
	v_cndmask_b32_e32 v16, v16, v116, vcc_lo
	v_lshl_add_u32 v116, v117, 23, 0x3b800000
	s_delay_alu instid0(VALU_DEP_2) | instskip(NEXT) | instid1(VALU_DEP_1)
	v_lshlrev_b32_e32 v16, 20, v16
	v_or3_b32 v16, v12, v116, v16
.LBB2_1208:                             ;   in Loop: Header=BB2_869 Depth=2
	s_or_b32 exec_lo, exec_lo, s27
	s_delay_alu instid0(VALU_DEP_1) | instskip(SKIP_1) | instid1(VALU_DEP_1)
	v_max_f32_e32 v12, v16, v16
	v_max_f32_e32 v16, v118, v118
	v_min_f32_e32 v118, v16, v12
.LBB2_1209:                             ;   in Loop: Header=BB2_869 Depth=2
	s_delay_alu instid0(VALU_DEP_1) | instskip(NEXT) | instid1(VALU_DEP_1)
	v_and_b32_e32 v12, 0x7f800000, v118
	v_cmp_ne_u32_e32 vcc_lo, 0x7f800000, v12
	v_mov_b32_e32 v12, 0x80
	s_and_saveexec_b32 s27, vcc_lo
	s_cbranch_execz .LBB2_1217
; %bb.1210:                             ;   in Loop: Header=BB2_869 Depth=2
	v_mov_b32_e32 v12, 0
	s_mov_b32 s28, exec_lo
	v_cmpx_ne_u32_e32 0, v118
	s_cbranch_execz .LBB2_1216
; %bb.1211:                             ;   in Loop: Header=BB2_869 Depth=2
	v_bfe_u32 v12, v118, 23, 8
	v_and_b32_e32 v16, 0x7fffff, v118
	s_delay_alu instid0(VALU_DEP_2) | instskip(SKIP_1) | instid1(VALU_DEP_3)
	v_sub_nc_u32_e32 v116, 0x78, v12
	v_cmp_gt_u32_e32 vcc_lo, 0x79, v12
	v_or_b32_e32 v117, 0x800000, v16
	s_delay_alu instid0(VALU_DEP_3) | instskip(SKIP_2) | instid1(VALU_DEP_3)
	v_cndmask_b32_e32 v116, 0, v116, vcc_lo
	v_cmp_eq_u32_e32 vcc_lo, 0, v12
	v_add_nc_u32_e32 v12, 0xffffff89, v12
	v_cndmask_b32_e64 v116, v116, 0x77, vcc_lo
	v_cndmask_b32_e32 v16, v117, v16, vcc_lo
	s_delay_alu instid0(VALU_DEP_3) | instskip(NEXT) | instid1(VALU_DEP_3)
	v_cndmask_b32_e64 v12, v12, 0xffffff8a, vcc_lo
	v_lshl_add_u32 v117, 0x100000, v116, -1
	s_delay_alu instid0(VALU_DEP_3) | instskip(SKIP_1) | instid1(VALU_DEP_4)
	v_lshrrev_b32_e32 v119, v116, v16
	v_lshlrev_b32_e64 v129, v116, 0x80000
	v_add_nc_u32_e32 v116, v116, v12
	s_delay_alu instid0(VALU_DEP_4) | instskip(NEXT) | instid1(VALU_DEP_4)
	v_and_b32_e32 v16, v117, v16
	v_bfe_u32 v128, v119, 20, 1
	s_delay_alu instid0(VALU_DEP_2) | instskip(NEXT) | instid1(VALU_DEP_2)
	v_cmp_eq_u32_e64 s11, v16, v129
	v_add_nc_u32_e32 v117, -1, v128
	s_delay_alu instid0(VALU_DEP_1) | instskip(SKIP_2) | instid1(VALU_DEP_2)
	v_cndmask_b32_e64 v16, 0, v117, s11
	v_lshrrev_b32_e32 v117, 23, v119
	s_mov_b32 s11, exec_lo
	v_add_nc_u32_e32 v16, v16, v119
	s_delay_alu instid0(VALU_DEP_2) | instskip(NEXT) | instid1(VALU_DEP_2)
	v_xor_b32_e32 v117, 1, v117
	v_and_b32_e32 v12, 0xfffff, v16
	s_delay_alu instid0(VALU_DEP_1) | instskip(NEXT) | instid1(VALU_DEP_3)
	v_add_nc_u32_e32 v16, v12, v119
                                        ; implicit-def: $vgpr12
	v_cmpx_ne_u32_e64 v116, v117
	s_xor_b32 s11, exec_lo, s11
; %bb.1212:                             ;   in Loop: Header=BB2_869 Depth=2
	s_delay_alu instid0(VALU_DEP_2) | instskip(SKIP_2) | instid1(VALU_DEP_2)
	v_cmp_lt_u32_e32 vcc_lo, 0xffffff, v16
	v_sub_nc_u32_e32 v12, v116, v117
	v_cndmask_b32_e64 v116, 0, 1, vcc_lo
	v_add_co_ci_u32_e32 v12, vcc_lo, 0, v12, vcc_lo
	s_delay_alu instid0(VALU_DEP_2)
	v_lshrrev_b32_e32 v16, v116, v16
; %bb.1213:                             ;   in Loop: Header=BB2_869 Depth=2
	s_and_not1_saveexec_b32 s11, s11
; %bb.1214:                             ;   in Loop: Header=BB2_869 Depth=2
	s_delay_alu instid0(VALU_DEP_1)
	v_bfe_u32 v12, v16, 23, 1
; %bb.1215:                             ;   in Loop: Header=BB2_869 Depth=2
	s_or_b32 exec_lo, exec_lo, s11
	v_lshrrev_b32_e32 v16, 20, v16
	s_delay_alu instid0(VALU_DEP_2) | instskip(SKIP_2) | instid1(VALU_DEP_4)
	v_cmp_gt_i32_e32 vcc_lo, 16, v12
	v_lshrrev_b32_e32 v116, 24, v118
	v_min_i32_e32 v117, 15, v12
	v_cndmask_b32_e32 v16, 7, v16, vcc_lo
	s_delay_alu instid0(VALU_DEP_3) | instskip(NEXT) | instid1(VALU_DEP_3)
	v_and_b32_e32 v116, 0x80, v116
	v_lshlrev_b32_e32 v117, 3, v117
	s_delay_alu instid0(VALU_DEP_3) | instskip(SKIP_1) | instid1(VALU_DEP_2)
	v_and_b32_e32 v118, 7, v16
	v_or_b32_e32 v12, v12, v16
	v_or3_b32 v16, v117, v116, v118
	s_delay_alu instid0(VALU_DEP_2) | instskip(NEXT) | instid1(VALU_DEP_2)
	v_cmp_ne_u32_e32 vcc_lo, 0, v12
	v_cndmask_b32_e32 v12, 0, v16, vcc_lo
.LBB2_1216:                             ;   in Loop: Header=BB2_869 Depth=2
	s_or_b32 exec_lo, exec_lo, s28
.LBB2_1217:                             ;   in Loop: Header=BB2_869 Depth=2
	s_delay_alu instid0(SALU_CYCLE_1) | instskip(SKIP_2) | instid1(VALU_DEP_1)
	s_or_b32 exec_lo, exec_lo, s27
	v_and_b32_e32 v16, 0xff, v17
	s_and_b32 vcc_lo, exec_lo, s26
	v_cmp_lt_i16_e64 s11, 0x7f, v16
	s_cbranch_vccz .LBB2_1227
; %bb.1218:                             ;   in Loop: Header=BB2_869 Depth=2
	s_mov_b32 s27, 0
                                        ; implicit-def: $sgpr28
	s_delay_alu instid0(VALU_DEP_1) | instskip(NEXT) | instid1(SALU_CYCLE_1)
	s_and_saveexec_b32 s29, s11
	s_xor_b32 s11, exec_lo, s29
	s_cbranch_execnz .LBB2_1523
; %bb.1219:                             ;   in Loop: Header=BB2_869 Depth=2
	s_or_saveexec_b32 s11, s11
	v_mov_b32_e32 v116, s28
	s_xor_b32 exec_lo, exec_lo, s11
	s_cbranch_execnz .LBB2_1526
.LBB2_1220:                             ;   in Loop: Header=BB2_869 Depth=2
	s_or_b32 exec_lo, exec_lo, s11
	s_and_saveexec_b32 s11, s27
	s_cbranch_execz .LBB2_1222
.LBB2_1221:                             ;   in Loop: Header=BB2_869 Depth=2
	v_and_b32_e32 v116, 7, v17
	v_bfe_u32 v119, v17, 3, 4
	v_lshlrev_b32_e32 v128, 24, v17
	s_delay_alu instid0(VALU_DEP_3) | instskip(NEXT) | instid1(VALU_DEP_3)
	v_clz_i32_u32_e32 v117, v116
	v_cmp_eq_u32_e32 vcc_lo, 0, v119
	s_delay_alu instid0(VALU_DEP_2) | instskip(NEXT) | instid1(VALU_DEP_1)
	v_min_u32_e32 v117, 32, v117
	v_subrev_nc_u32_e32 v118, 28, v117
	v_sub_nc_u32_e32 v117, 29, v117
	s_delay_alu instid0(VALU_DEP_2) | instskip(NEXT) | instid1(VALU_DEP_1)
	v_lshlrev_b32_e32 v118, v118, v17
	v_dual_cndmask_b32 v117, v119, v117 :: v_dual_and_b32 v118, 7, v118
	s_delay_alu instid0(VALU_DEP_1) | instskip(NEXT) | instid1(VALU_DEP_2)
	v_lshl_add_u32 v117, v117, 23, 0x3b800000
	v_cndmask_b32_e32 v116, v116, v118, vcc_lo
	v_and_b32_e32 v118, 0x80000000, v128
	s_delay_alu instid0(VALU_DEP_2) | instskip(NEXT) | instid1(VALU_DEP_1)
	v_lshlrev_b32_e32 v116, 20, v116
	v_or3_b32 v116, v118, v117, v116
.LBB2_1222:                             ;   in Loop: Header=BB2_869 Depth=2
	s_or_b32 exec_lo, exec_lo, s11
	v_and_b32_e32 v118, 0xff, v13
	s_mov_b32 s11, 0
	s_mov_b32 s28, exec_lo
                                        ; implicit-def: $sgpr27
	s_delay_alu instid0(VALU_DEP_1)
	v_cmpx_lt_i16_e32 0x7f, v118
	s_xor_b32 s28, exec_lo, s28
	s_cbranch_execnz .LBB2_1527
; %bb.1223:                             ;   in Loop: Header=BB2_869 Depth=2
	s_or_saveexec_b32 s28, s28
	v_mov_b32_e32 v117, s27
	s_xor_b32 exec_lo, exec_lo, s28
	s_cbranch_execnz .LBB2_1530
.LBB2_1224:                             ;   in Loop: Header=BB2_869 Depth=2
	s_or_b32 exec_lo, exec_lo, s28
	s_and_saveexec_b32 s27, s11
	s_cbranch_execz .LBB2_1226
.LBB2_1225:                             ;   in Loop: Header=BB2_869 Depth=2
	v_bfe_u32 v128, v13, 3, 4
	v_lshlrev_b32_e32 v129, 24, v13
	s_delay_alu instid0(VALU_DEP_2) | instskip(SKIP_1) | instid1(VALU_DEP_1)
	v_cmp_eq_u32_e32 vcc_lo, 0, v128
	v_and_b32_e32 v117, 7, v13
	v_clz_i32_u32_e32 v118, v117
	s_delay_alu instid0(VALU_DEP_1) | instskip(NEXT) | instid1(VALU_DEP_1)
	v_min_u32_e32 v118, 32, v118
	v_subrev_nc_u32_e32 v119, 28, v118
	v_sub_nc_u32_e32 v118, 29, v118
	s_delay_alu instid0(VALU_DEP_1) | instskip(NEXT) | instid1(VALU_DEP_1)
	v_dual_cndmask_b32 v118, v128, v118 :: v_dual_lshlrev_b32 v119, v119, v13
	v_and_b32_e32 v119, 7, v119
	s_delay_alu instid0(VALU_DEP_2) | instskip(NEXT) | instid1(VALU_DEP_2)
	v_lshl_add_u32 v118, v118, 23, 0x3b800000
	v_cndmask_b32_e32 v117, v117, v119, vcc_lo
	v_and_b32_e32 v119, 0x80000000, v129
	s_delay_alu instid0(VALU_DEP_2) | instskip(NEXT) | instid1(VALU_DEP_1)
	v_lshlrev_b32_e32 v117, 20, v117
	v_or3_b32 v117, v119, v118, v117
.LBB2_1226:                             ;   in Loop: Header=BB2_869 Depth=2
	s_or_b32 exec_lo, exec_lo, s27
	s_delay_alu instid0(VALU_DEP_1) | instskip(SKIP_1) | instid1(VALU_DEP_1)
	v_dual_max_f32 v117, v117, v117 :: v_dual_max_f32 v116, v116, v116
	s_mov_b32 s11, 0
	v_max_f32_e32 v116, v116, v117
	s_branch .LBB2_1228
.LBB2_1227:                             ;   in Loop: Header=BB2_869 Depth=2
	s_mov_b32 s11, -1
                                        ; implicit-def: $vgpr116
.LBB2_1228:                             ;   in Loop: Header=BB2_869 Depth=2
	s_delay_alu instid0(SALU_CYCLE_1)
	s_and_b32 vcc_lo, exec_lo, s11
	s_cbranch_vccz .LBB2_1238
; %bb.1229:                             ;   in Loop: Header=BB2_869 Depth=2
	s_mov_b32 s11, 0
	s_mov_b32 s28, exec_lo
                                        ; implicit-def: $sgpr27
	v_cmpx_lt_i16_e32 0x7f, v16
	s_xor_b32 s28, exec_lo, s28
	s_cbranch_execnz .LBB2_1531
; %bb.1230:                             ;   in Loop: Header=BB2_869 Depth=2
	s_or_saveexec_b32 s28, s28
	v_mov_b32_e32 v116, s27
	s_xor_b32 exec_lo, exec_lo, s28
	s_cbranch_execnz .LBB2_1534
.LBB2_1231:                             ;   in Loop: Header=BB2_869 Depth=2
	s_or_b32 exec_lo, exec_lo, s28
	s_and_saveexec_b32 s27, s11
	s_cbranch_execz .LBB2_1233
.LBB2_1232:                             ;   in Loop: Header=BB2_869 Depth=2
	v_and_b32_e32 v16, 7, v17
	v_bfe_u32 v118, v17, 3, 4
	v_lshlrev_b32_e32 v119, 24, v17
	s_delay_alu instid0(VALU_DEP_3) | instskip(NEXT) | instid1(VALU_DEP_3)
	v_clz_i32_u32_e32 v116, v16
	v_cmp_eq_u32_e32 vcc_lo, 0, v118
	s_delay_alu instid0(VALU_DEP_2) | instskip(NEXT) | instid1(VALU_DEP_1)
	v_min_u32_e32 v116, 32, v116
	v_subrev_nc_u32_e32 v117, 28, v116
	v_sub_nc_u32_e32 v116, 29, v116
	s_delay_alu instid0(VALU_DEP_1) | instskip(NEXT) | instid1(VALU_DEP_1)
	v_dual_cndmask_b32 v116, v118, v116 :: v_dual_lshlrev_b32 v117, v117, v17
	v_and_b32_e32 v117, 7, v117
	s_delay_alu instid0(VALU_DEP_2) | instskip(NEXT) | instid1(VALU_DEP_2)
	v_lshl_add_u32 v116, v116, 23, 0x3b800000
	v_dual_cndmask_b32 v16, v16, v117 :: v_dual_and_b32 v117, 0x80000000, v119
	s_delay_alu instid0(VALU_DEP_1) | instskip(NEXT) | instid1(VALU_DEP_1)
	v_lshlrev_b32_e32 v16, 20, v16
	v_or3_b32 v116, v117, v116, v16
.LBB2_1233:                             ;   in Loop: Header=BB2_869 Depth=2
	s_or_b32 exec_lo, exec_lo, s27
	v_and_b32_e32 v117, 0xff, v13
	s_mov_b32 s11, 0
	s_mov_b32 s28, exec_lo
                                        ; implicit-def: $sgpr27
	s_delay_alu instid0(VALU_DEP_1)
	v_cmpx_lt_i16_e32 0x7f, v117
	s_xor_b32 s28, exec_lo, s28
	s_cbranch_execnz .LBB2_1535
; %bb.1234:                             ;   in Loop: Header=BB2_869 Depth=2
	s_or_saveexec_b32 s28, s28
	v_mov_b32_e32 v16, s27
	s_xor_b32 exec_lo, exec_lo, s28
	s_cbranch_execnz .LBB2_1538
.LBB2_1235:                             ;   in Loop: Header=BB2_869 Depth=2
	s_or_b32 exec_lo, exec_lo, s28
	s_and_saveexec_b32 s27, s11
	s_cbranch_execz .LBB2_1237
.LBB2_1236:                             ;   in Loop: Header=BB2_869 Depth=2
	v_and_b32_e32 v16, 7, v13
	v_bfe_u32 v119, v13, 3, 4
	v_lshlrev_b32_e32 v128, 24, v13
	s_delay_alu instid0(VALU_DEP_3) | instskip(NEXT) | instid1(VALU_DEP_3)
	v_clz_i32_u32_e32 v117, v16
	v_cmp_eq_u32_e32 vcc_lo, 0, v119
	s_delay_alu instid0(VALU_DEP_2) | instskip(NEXT) | instid1(VALU_DEP_1)
	v_min_u32_e32 v117, 32, v117
	v_subrev_nc_u32_e32 v118, 28, v117
	v_sub_nc_u32_e32 v117, 29, v117
	s_delay_alu instid0(VALU_DEP_2) | instskip(NEXT) | instid1(VALU_DEP_1)
	v_lshlrev_b32_e32 v118, v118, v13
	v_dual_cndmask_b32 v117, v119, v117 :: v_dual_and_b32 v118, 7, v118
	s_delay_alu instid0(VALU_DEP_1) | instskip(NEXT) | instid1(VALU_DEP_2)
	v_lshl_add_u32 v117, v117, 23, 0x3b800000
	v_cndmask_b32_e32 v16, v16, v118, vcc_lo
	v_and_b32_e32 v118, 0x80000000, v128
	s_delay_alu instid0(VALU_DEP_2) | instskip(NEXT) | instid1(VALU_DEP_1)
	v_lshlrev_b32_e32 v16, 20, v16
	v_or3_b32 v16, v118, v117, v16
.LBB2_1237:                             ;   in Loop: Header=BB2_869 Depth=2
	s_or_b32 exec_lo, exec_lo, s27
	s_delay_alu instid0(VALU_DEP_1) | instskip(SKIP_1) | instid1(VALU_DEP_1)
	v_max_f32_e32 v16, v16, v16
	v_max_f32_e32 v116, v116, v116
	v_min_f32_e32 v116, v116, v16
.LBB2_1238:                             ;   in Loop: Header=BB2_869 Depth=2
	s_delay_alu instid0(VALU_DEP_1) | instskip(NEXT) | instid1(VALU_DEP_1)
	v_and_b32_e32 v16, 0x7f800000, v116
	v_cmp_ne_u32_e32 vcc_lo, 0x7f800000, v16
	v_mov_b32_e32 v16, 0x80
	s_and_saveexec_b32 s27, vcc_lo
	s_cbranch_execz .LBB2_1246
; %bb.1239:                             ;   in Loop: Header=BB2_869 Depth=2
	v_mov_b32_e32 v16, 0
	s_mov_b32 s28, exec_lo
	v_cmpx_ne_u32_e32 0, v116
	s_cbranch_execz .LBB2_1245
; %bb.1240:                             ;   in Loop: Header=BB2_869 Depth=2
	v_bfe_u32 v16, v116, 23, 8
	s_delay_alu instid0(VALU_DEP_1) | instskip(SKIP_1) | instid1(VALU_DEP_2)
	v_sub_nc_u32_e32 v118, 0x78, v16
	v_cmp_gt_u32_e32 vcc_lo, 0x79, v16
	v_dual_cndmask_b32 v118, 0, v118 :: v_dual_and_b32 v117, 0x7fffff, v116
	s_delay_alu instid0(VALU_DEP_1) | instskip(SKIP_2) | instid1(VALU_DEP_4)
	v_or_b32_e32 v119, 0x800000, v117
	v_cmp_eq_u32_e32 vcc_lo, 0, v16
	v_add_nc_u32_e32 v16, 0xffffff89, v16
	v_cndmask_b32_e64 v118, v118, 0x77, vcc_lo
	s_delay_alu instid0(VALU_DEP_4) | instskip(NEXT) | instid1(VALU_DEP_3)
	v_cndmask_b32_e32 v117, v119, v117, vcc_lo
	v_cndmask_b32_e64 v16, v16, 0xffffff8a, vcc_lo
	s_delay_alu instid0(VALU_DEP_3) | instskip(NEXT) | instid1(VALU_DEP_3)
	v_lshl_add_u32 v119, 0x100000, v118, -1
	v_lshrrev_b32_e32 v128, v118, v117
	v_lshlrev_b32_e64 v130, v118, 0x80000
	s_delay_alu instid0(VALU_DEP_4) | instskip(NEXT) | instid1(VALU_DEP_4)
	v_add_nc_u32_e32 v118, v118, v16
	v_and_b32_e32 v117, v119, v117
	s_delay_alu instid0(VALU_DEP_4) | instskip(NEXT) | instid1(VALU_DEP_2)
	v_bfe_u32 v129, v128, 20, 1
	v_cmp_eq_u32_e64 s11, v117, v130
	s_delay_alu instid0(VALU_DEP_2) | instskip(NEXT) | instid1(VALU_DEP_1)
	v_add_nc_u32_e32 v119, -1, v129
	v_cndmask_b32_e64 v117, 0, v119, s11
	v_lshrrev_b32_e32 v119, 23, v128
	s_mov_b32 s11, exec_lo
	s_delay_alu instid0(VALU_DEP_2) | instskip(NEXT) | instid1(VALU_DEP_2)
	v_add_nc_u32_e32 v117, v117, v128
	v_xor_b32_e32 v119, 1, v119
	s_delay_alu instid0(VALU_DEP_2) | instskip(NEXT) | instid1(VALU_DEP_1)
	v_and_b32_e32 v16, 0xfffff, v117
	v_add_nc_u32_e32 v117, v16, v128
                                        ; implicit-def: $vgpr16
	s_delay_alu instid0(VALU_DEP_3)
	v_cmpx_ne_u32_e64 v118, v119
	s_xor_b32 s11, exec_lo, s11
; %bb.1241:                             ;   in Loop: Header=BB2_869 Depth=2
	s_delay_alu instid0(VALU_DEP_2) | instskip(SKIP_2) | instid1(VALU_DEP_2)
	v_cmp_lt_u32_e32 vcc_lo, 0xffffff, v117
	v_sub_nc_u32_e32 v16, v118, v119
	v_cndmask_b32_e64 v118, 0, 1, vcc_lo
	v_add_co_ci_u32_e32 v16, vcc_lo, 0, v16, vcc_lo
	s_delay_alu instid0(VALU_DEP_2)
	v_lshrrev_b32_e32 v117, v118, v117
; %bb.1242:                             ;   in Loop: Header=BB2_869 Depth=2
	s_and_not1_saveexec_b32 s11, s11
; %bb.1243:                             ;   in Loop: Header=BB2_869 Depth=2
	s_delay_alu instid0(VALU_DEP_1)
	v_bfe_u32 v16, v117, 23, 1
; %bb.1244:                             ;   in Loop: Header=BB2_869 Depth=2
	s_or_b32 exec_lo, exec_lo, s11
	v_lshrrev_b32_e32 v117, 20, v117
	s_delay_alu instid0(VALU_DEP_2) | instskip(SKIP_2) | instid1(VALU_DEP_2)
	v_cmp_gt_i32_e32 vcc_lo, 16, v16
	v_lshrrev_b32_e32 v116, 24, v116
	v_min_i32_e32 v118, 15, v16
	v_dual_cndmask_b32 v117, 7, v117 :: v_dual_and_b32 v116, 0x80, v116
	s_delay_alu instid0(VALU_DEP_2) | instskip(NEXT) | instid1(VALU_DEP_2)
	v_lshlrev_b32_e32 v118, 3, v118
	v_or_b32_e32 v16, v16, v117
	s_delay_alu instid0(VALU_DEP_1) | instskip(SKIP_1) | instid1(VALU_DEP_1)
	v_cmp_ne_u32_e32 vcc_lo, 0, v16
	v_and_b32_e32 v119, 7, v117
	v_or3_b32 v116, v118, v116, v119
	s_delay_alu instid0(VALU_DEP_1)
	v_cndmask_b32_e32 v16, 0, v116, vcc_lo
.LBB2_1245:                             ;   in Loop: Header=BB2_869 Depth=2
	s_or_b32 exec_lo, exec_lo, s28
.LBB2_1246:                             ;   in Loop: Header=BB2_869 Depth=2
	s_delay_alu instid0(SALU_CYCLE_1) | instskip(SKIP_3) | instid1(VALU_DEP_2)
	s_or_b32 exec_lo, exec_lo, s27
	v_lshrrev_b16 v117, 8, v17
	v_lshrrev_b16 v116, 8, v13
	s_and_b32 vcc_lo, exec_lo, s26
	v_cmp_lt_i16_e64 s11, 0x7f, v117
	s_cbranch_vccz .LBB2_1256
; %bb.1247:                             ;   in Loop: Header=BB2_869 Depth=2
	s_mov_b32 s27, 0
                                        ; implicit-def: $sgpr28
	s_delay_alu instid0(VALU_DEP_1) | instskip(NEXT) | instid1(SALU_CYCLE_1)
	s_and_saveexec_b32 s29, s11
	s_xor_b32 s11, exec_lo, s29
	s_cbranch_execnz .LBB2_1539
; %bb.1248:                             ;   in Loop: Header=BB2_869 Depth=2
	s_or_saveexec_b32 s11, s11
	v_mov_b32_e32 v118, s28
	s_xor_b32 exec_lo, exec_lo, s11
	s_cbranch_execnz .LBB2_1542
.LBB2_1249:                             ;   in Loop: Header=BB2_869 Depth=2
	s_or_b32 exec_lo, exec_lo, s11
	s_and_saveexec_b32 s11, s27
	s_cbranch_execz .LBB2_1251
.LBB2_1250:                             ;   in Loop: Header=BB2_869 Depth=2
	v_and_b32_e32 v118, 0xffff, v117
	v_lshlrev_b32_e32 v130, 16, v17
	s_delay_alu instid0(VALU_DEP_2) | instskip(NEXT) | instid1(VALU_DEP_1)
	v_and_b32_e32 v119, 7, v118
	v_clz_i32_u32_e32 v128, v119
	s_delay_alu instid0(VALU_DEP_1) | instskip(NEXT) | instid1(VALU_DEP_1)
	v_min_u32_e32 v128, 32, v128
	v_subrev_nc_u32_e32 v129, 28, v128
	v_sub_nc_u32_e32 v128, 29, v128
	s_delay_alu instid0(VALU_DEP_2) | instskip(SKIP_1) | instid1(VALU_DEP_2)
	v_lshlrev_b32_e32 v129, v129, v118
	v_bfe_u32 v118, v118, 3, 4
	v_and_b32_e32 v129, 7, v129
	s_delay_alu instid0(VALU_DEP_2) | instskip(NEXT) | instid1(VALU_DEP_2)
	v_cmp_eq_u32_e32 vcc_lo, 0, v118
	v_dual_cndmask_b32 v118, v118, v128 :: v_dual_cndmask_b32 v119, v119, v129
	v_and_b32_e32 v128, 0x80000000, v130
	s_delay_alu instid0(VALU_DEP_2) | instskip(NEXT) | instid1(VALU_DEP_3)
	v_lshl_add_u32 v118, v118, 23, 0x3b800000
	v_lshlrev_b32_e32 v119, 20, v119
	s_delay_alu instid0(VALU_DEP_1)
	v_or3_b32 v118, v128, v118, v119
.LBB2_1251:                             ;   in Loop: Header=BB2_869 Depth=2
	s_or_b32 exec_lo, exec_lo, s11
	s_mov_b32 s11, 0
	s_mov_b32 s28, exec_lo
                                        ; implicit-def: $sgpr27
	v_cmpx_lt_i16_e32 0x7f, v116
	s_xor_b32 s28, exec_lo, s28
	s_cbranch_execnz .LBB2_1543
; %bb.1252:                             ;   in Loop: Header=BB2_869 Depth=2
	s_or_saveexec_b32 s28, s28
	v_mov_b32_e32 v119, s27
	s_xor_b32 exec_lo, exec_lo, s28
	s_cbranch_execnz .LBB2_1546
.LBB2_1253:                             ;   in Loop: Header=BB2_869 Depth=2
	s_or_b32 exec_lo, exec_lo, s28
	s_and_saveexec_b32 s27, s11
	s_cbranch_execz .LBB2_1255
.LBB2_1254:                             ;   in Loop: Header=BB2_869 Depth=2
	v_and_b32_e32 v119, 0xffff, v116
	v_lshlrev_b32_e32 v131, 16, v13
	s_delay_alu instid0(VALU_DEP_2) | instskip(NEXT) | instid1(VALU_DEP_1)
	v_and_b32_e32 v128, 7, v119
	v_clz_i32_u32_e32 v129, v128
	s_delay_alu instid0(VALU_DEP_1) | instskip(NEXT) | instid1(VALU_DEP_1)
	v_min_u32_e32 v129, 32, v129
	v_subrev_nc_u32_e32 v130, 28, v129
	v_sub_nc_u32_e32 v129, 29, v129
	s_delay_alu instid0(VALU_DEP_2) | instskip(SKIP_1) | instid1(VALU_DEP_2)
	v_lshlrev_b32_e32 v130, v130, v119
	v_bfe_u32 v119, v119, 3, 4
	v_and_b32_e32 v130, 7, v130
	s_delay_alu instid0(VALU_DEP_2) | instskip(NEXT) | instid1(VALU_DEP_2)
	v_cmp_eq_u32_e32 vcc_lo, 0, v119
	v_dual_cndmask_b32 v119, v119, v129 :: v_dual_cndmask_b32 v128, v128, v130
	v_and_b32_e32 v129, 0x80000000, v131
	s_delay_alu instid0(VALU_DEP_2) | instskip(NEXT) | instid1(VALU_DEP_3)
	v_lshl_add_u32 v119, v119, 23, 0x3b800000
	v_lshlrev_b32_e32 v128, 20, v128
	s_delay_alu instid0(VALU_DEP_1)
	v_or3_b32 v119, v129, v119, v128
.LBB2_1255:                             ;   in Loop: Header=BB2_869 Depth=2
	s_or_b32 exec_lo, exec_lo, s27
	s_delay_alu instid0(VALU_DEP_1) | instskip(SKIP_1) | instid1(VALU_DEP_1)
	v_dual_max_f32 v119, v119, v119 :: v_dual_max_f32 v118, v118, v118
	s_mov_b32 s11, 0
	v_max_f32_e32 v118, v118, v119
	s_branch .LBB2_1257
.LBB2_1256:                             ;   in Loop: Header=BB2_869 Depth=2
	s_mov_b32 s11, -1
                                        ; implicit-def: $vgpr118
.LBB2_1257:                             ;   in Loop: Header=BB2_869 Depth=2
	s_delay_alu instid0(SALU_CYCLE_1)
	s_and_b32 vcc_lo, exec_lo, s11
	s_cbranch_vccz .LBB2_1267
; %bb.1258:                             ;   in Loop: Header=BB2_869 Depth=2
	s_mov_b32 s11, 0
	s_mov_b32 s28, exec_lo
                                        ; implicit-def: $sgpr27
	v_cmpx_lt_i16_e32 0x7f, v117
	s_xor_b32 s28, exec_lo, s28
	s_cbranch_execnz .LBB2_1547
; %bb.1259:                             ;   in Loop: Header=BB2_869 Depth=2
	s_or_saveexec_b32 s28, s28
	v_mov_b32_e32 v118, s27
	s_xor_b32 exec_lo, exec_lo, s28
	s_cbranch_execnz .LBB2_1550
.LBB2_1260:                             ;   in Loop: Header=BB2_869 Depth=2
	s_or_b32 exec_lo, exec_lo, s28
	s_and_saveexec_b32 s27, s11
	s_cbranch_execz .LBB2_1262
.LBB2_1261:                             ;   in Loop: Header=BB2_869 Depth=2
	v_and_b32_e32 v117, 0xffff, v117
	v_lshlrev_b32_e32 v129, 16, v17
	s_delay_alu instid0(VALU_DEP_2) | instskip(NEXT) | instid1(VALU_DEP_1)
	v_and_b32_e32 v118, 7, v117
	v_clz_i32_u32_e32 v119, v118
	s_delay_alu instid0(VALU_DEP_1) | instskip(NEXT) | instid1(VALU_DEP_1)
	v_min_u32_e32 v119, 32, v119
	v_subrev_nc_u32_e32 v128, 28, v119
	v_sub_nc_u32_e32 v119, 29, v119
	s_delay_alu instid0(VALU_DEP_2) | instskip(SKIP_1) | instid1(VALU_DEP_2)
	v_lshlrev_b32_e32 v128, v128, v117
	v_bfe_u32 v117, v117, 3, 4
	v_and_b32_e32 v128, 7, v128
	s_delay_alu instid0(VALU_DEP_2) | instskip(NEXT) | instid1(VALU_DEP_2)
	v_cmp_eq_u32_e32 vcc_lo, 0, v117
	v_dual_cndmask_b32 v117, v117, v119 :: v_dual_cndmask_b32 v118, v118, v128
	v_and_b32_e32 v119, 0x80000000, v129
	s_delay_alu instid0(VALU_DEP_2) | instskip(NEXT) | instid1(VALU_DEP_3)
	v_lshl_add_u32 v117, v117, 23, 0x3b800000
	v_lshlrev_b32_e32 v118, 20, v118
	s_delay_alu instid0(VALU_DEP_1)
	v_or3_b32 v118, v119, v117, v118
.LBB2_1262:                             ;   in Loop: Header=BB2_869 Depth=2
	s_or_b32 exec_lo, exec_lo, s27
	s_mov_b32 s11, 0
	s_mov_b32 s28, exec_lo
                                        ; implicit-def: $sgpr27
	v_cmpx_lt_i16_e32 0x7f, v116
	s_xor_b32 s28, exec_lo, s28
	s_cbranch_execnz .LBB2_1551
; %bb.1263:                             ;   in Loop: Header=BB2_869 Depth=2
	s_or_saveexec_b32 s28, s28
	v_mov_b32_e32 v117, s27
	s_xor_b32 exec_lo, exec_lo, s28
	s_cbranch_execnz .LBB2_1554
.LBB2_1264:                             ;   in Loop: Header=BB2_869 Depth=2
	s_or_b32 exec_lo, exec_lo, s28
	s_and_saveexec_b32 s27, s11
	s_cbranch_execz .LBB2_1266
.LBB2_1265:                             ;   in Loop: Header=BB2_869 Depth=2
	v_and_b32_e32 v116, 0xffff, v116
	v_lshlrev_b32_e32 v129, 16, v13
	s_delay_alu instid0(VALU_DEP_2) | instskip(NEXT) | instid1(VALU_DEP_1)
	v_and_b32_e32 v117, 7, v116
	v_clz_i32_u32_e32 v119, v117
	s_delay_alu instid0(VALU_DEP_1) | instskip(NEXT) | instid1(VALU_DEP_1)
	v_min_u32_e32 v119, 32, v119
	v_subrev_nc_u32_e32 v128, 28, v119
	v_sub_nc_u32_e32 v119, 29, v119
	s_delay_alu instid0(VALU_DEP_2) | instskip(SKIP_1) | instid1(VALU_DEP_2)
	v_lshlrev_b32_e32 v128, v128, v116
	v_bfe_u32 v116, v116, 3, 4
	v_and_b32_e32 v128, 7, v128
	s_delay_alu instid0(VALU_DEP_2) | instskip(NEXT) | instid1(VALU_DEP_2)
	v_cmp_eq_u32_e32 vcc_lo, 0, v116
	v_dual_cndmask_b32 v116, v116, v119 :: v_dual_cndmask_b32 v117, v117, v128
	v_and_b32_e32 v119, 0x80000000, v129
	s_delay_alu instid0(VALU_DEP_2) | instskip(NEXT) | instid1(VALU_DEP_3)
	v_lshl_add_u32 v116, v116, 23, 0x3b800000
	v_lshlrev_b32_e32 v117, 20, v117
	s_delay_alu instid0(VALU_DEP_1)
	v_or3_b32 v117, v119, v116, v117
.LBB2_1266:                             ;   in Loop: Header=BB2_869 Depth=2
	s_or_b32 exec_lo, exec_lo, s27
	s_delay_alu instid0(VALU_DEP_1) | instskip(NEXT) | instid1(VALU_DEP_1)
	v_dual_max_f32 v116, v117, v117 :: v_dual_max_f32 v117, v118, v118
	v_min_f32_e32 v118, v117, v116
.LBB2_1267:                             ;   in Loop: Header=BB2_869 Depth=2
	s_delay_alu instid0(VALU_DEP_1) | instskip(NEXT) | instid1(VALU_DEP_1)
	v_and_b32_e32 v116, 0x7f800000, v118
	v_cmp_ne_u32_e32 vcc_lo, 0x7f800000, v116
	v_mov_b32_e32 v116, 0x80
	s_and_saveexec_b32 s27, vcc_lo
	s_cbranch_execz .LBB2_1275
; %bb.1268:                             ;   in Loop: Header=BB2_869 Depth=2
	v_mov_b32_e32 v116, 0
	s_mov_b32 s28, exec_lo
	v_cmpx_ne_u32_e32 0, v118
	s_cbranch_execz .LBB2_1274
; %bb.1269:                             ;   in Loop: Header=BB2_869 Depth=2
	v_bfe_u32 v116, v118, 23, 8
	v_and_b32_e32 v117, 0x7fffff, v118
	s_delay_alu instid0(VALU_DEP_2) | instskip(SKIP_1) | instid1(VALU_DEP_3)
	v_sub_nc_u32_e32 v119, 0x78, v116
	v_cmp_gt_u32_e32 vcc_lo, 0x79, v116
	v_or_b32_e32 v128, 0x800000, v117
	s_delay_alu instid0(VALU_DEP_3) | instskip(SKIP_2) | instid1(VALU_DEP_3)
	v_cndmask_b32_e32 v119, 0, v119, vcc_lo
	v_cmp_eq_u32_e32 vcc_lo, 0, v116
	v_add_nc_u32_e32 v116, 0xffffff89, v116
	v_cndmask_b32_e64 v119, v119, 0x77, vcc_lo
	v_cndmask_b32_e32 v117, v128, v117, vcc_lo
	s_delay_alu instid0(VALU_DEP_3) | instskip(NEXT) | instid1(VALU_DEP_3)
	v_cndmask_b32_e64 v116, v116, 0xffffff8a, vcc_lo
	v_lshl_add_u32 v128, 0x100000, v119, -1
	s_delay_alu instid0(VALU_DEP_3) | instskip(SKIP_1) | instid1(VALU_DEP_4)
	v_lshrrev_b32_e32 v129, v119, v117
	v_lshlrev_b32_e64 v131, v119, 0x80000
	v_add_nc_u32_e32 v119, v119, v116
	s_delay_alu instid0(VALU_DEP_4) | instskip(NEXT) | instid1(VALU_DEP_4)
	v_and_b32_e32 v117, v128, v117
	v_bfe_u32 v130, v129, 20, 1
	s_delay_alu instid0(VALU_DEP_2) | instskip(NEXT) | instid1(VALU_DEP_2)
	v_cmp_eq_u32_e64 s11, v117, v131
	v_add_nc_u32_e32 v128, -1, v130
	s_delay_alu instid0(VALU_DEP_1) | instskip(SKIP_2) | instid1(VALU_DEP_2)
	v_cndmask_b32_e64 v117, 0, v128, s11
	v_lshrrev_b32_e32 v128, 23, v129
	s_mov_b32 s11, exec_lo
	v_add_nc_u32_e32 v117, v117, v129
	s_delay_alu instid0(VALU_DEP_2) | instskip(NEXT) | instid1(VALU_DEP_2)
	v_xor_b32_e32 v128, 1, v128
	v_and_b32_e32 v116, 0xfffff, v117
	s_delay_alu instid0(VALU_DEP_1) | instskip(NEXT) | instid1(VALU_DEP_3)
	v_add_nc_u32_e32 v117, v116, v129
                                        ; implicit-def: $vgpr116
	v_cmpx_ne_u32_e64 v119, v128
	s_xor_b32 s11, exec_lo, s11
; %bb.1270:                             ;   in Loop: Header=BB2_869 Depth=2
	s_delay_alu instid0(VALU_DEP_2) | instskip(SKIP_2) | instid1(VALU_DEP_2)
	v_cmp_lt_u32_e32 vcc_lo, 0xffffff, v117
	v_sub_nc_u32_e32 v116, v119, v128
	v_cndmask_b32_e64 v119, 0, 1, vcc_lo
	v_add_co_ci_u32_e32 v116, vcc_lo, 0, v116, vcc_lo
	s_delay_alu instid0(VALU_DEP_2)
	v_lshrrev_b32_e32 v117, v119, v117
; %bb.1271:                             ;   in Loop: Header=BB2_869 Depth=2
	s_and_not1_saveexec_b32 s11, s11
; %bb.1272:                             ;   in Loop: Header=BB2_869 Depth=2
	s_delay_alu instid0(VALU_DEP_1)
	v_bfe_u32 v116, v117, 23, 1
; %bb.1273:                             ;   in Loop: Header=BB2_869 Depth=2
	s_or_b32 exec_lo, exec_lo, s11
	v_lshrrev_b32_e32 v117, 20, v117
	s_delay_alu instid0(VALU_DEP_2) | instskip(SKIP_2) | instid1(VALU_DEP_2)
	v_cmp_gt_i32_e32 vcc_lo, 16, v116
	v_lshrrev_b32_e32 v118, 24, v118
	v_min_i32_e32 v119, 15, v116
	v_dual_cndmask_b32 v117, 7, v117 :: v_dual_and_b32 v118, 0x80, v118
	s_delay_alu instid0(VALU_DEP_1) | instskip(SKIP_1) | instid1(VALU_DEP_2)
	v_or_b32_e32 v116, v116, v117
	v_and_b32_e32 v128, 7, v117
	v_cmp_ne_u32_e32 vcc_lo, 0, v116
	v_lshlrev_b32_e32 v119, 3, v119
	s_delay_alu instid0(VALU_DEP_1) | instskip(NEXT) | instid1(VALU_DEP_1)
	v_or3_b32 v117, v119, v118, v128
	v_cndmask_b32_e32 v116, 0, v117, vcc_lo
.LBB2_1274:                             ;   in Loop: Header=BB2_869 Depth=2
	s_or_b32 exec_lo, exec_lo, s28
.LBB2_1275:                             ;   in Loop: Header=BB2_869 Depth=2
	s_delay_alu instid0(SALU_CYCLE_1) | instskip(SKIP_3) | instid1(VALU_DEP_2)
	s_or_b32 exec_lo, exec_lo, s27
	v_lshrrev_b32_e32 v118, 16, v17
	v_lshrrev_b32_e32 v117, 16, v13
	s_and_b32 vcc_lo, exec_lo, s26
	v_and_b32_e32 v119, 0xff, v118
	s_delay_alu instid0(VALU_DEP_1)
	v_cmp_lt_i16_e64 s11, 0x7f, v119
	s_cbranch_vccz .LBB2_1285
; %bb.1276:                             ;   in Loop: Header=BB2_869 Depth=2
	s_mov_b32 s27, 0
                                        ; implicit-def: $sgpr28
	s_delay_alu instid0(VALU_DEP_1) | instskip(NEXT) | instid1(SALU_CYCLE_1)
	s_and_saveexec_b32 s29, s11
	s_xor_b32 s11, exec_lo, s29
	s_cbranch_execnz .LBB2_1555
; %bb.1277:                             ;   in Loop: Header=BB2_869 Depth=2
	s_or_saveexec_b32 s11, s11
	v_mov_b32_e32 v128, s28
	s_xor_b32 exec_lo, exec_lo, s11
	s_cbranch_execnz .LBB2_1558
.LBB2_1278:                             ;   in Loop: Header=BB2_869 Depth=2
	s_or_b32 exec_lo, exec_lo, s11
	s_and_saveexec_b32 s11, s27
	s_cbranch_execz .LBB2_1280
.LBB2_1279:                             ;   in Loop: Header=BB2_869 Depth=2
	v_bfe_u32 v128, v17, 16, 3
	v_bfe_u32 v131, v17, 19, 4
	v_lshlrev_b32_e32 v132, 24, v118
	s_delay_alu instid0(VALU_DEP_3) | instskip(NEXT) | instid1(VALU_DEP_3)
	v_clz_i32_u32_e32 v129, v128
	v_cmp_eq_u32_e32 vcc_lo, 0, v131
	s_delay_alu instid0(VALU_DEP_2) | instskip(NEXT) | instid1(VALU_DEP_1)
	v_min_u32_e32 v129, 32, v129
	v_subrev_nc_u32_e32 v130, 28, v129
	v_sub_nc_u32_e32 v129, 29, v129
	s_delay_alu instid0(VALU_DEP_1) | instskip(NEXT) | instid1(VALU_DEP_1)
	v_dual_cndmask_b32 v129, v131, v129 :: v_dual_lshlrev_b32 v130, v130, v118
	v_and_b32_e32 v130, 7, v130
	s_delay_alu instid0(VALU_DEP_2) | instskip(NEXT) | instid1(VALU_DEP_2)
	v_lshl_add_u32 v129, v129, 23, 0x3b800000
	v_cndmask_b32_e32 v128, v128, v130, vcc_lo
	v_and_b32_e32 v130, 0x80000000, v132
	s_delay_alu instid0(VALU_DEP_2) | instskip(NEXT) | instid1(VALU_DEP_1)
	v_lshlrev_b32_e32 v128, 20, v128
	v_or3_b32 v128, v130, v129, v128
.LBB2_1280:                             ;   in Loop: Header=BB2_869 Depth=2
	s_or_b32 exec_lo, exec_lo, s11
	v_and_b32_e32 v130, 0xff, v117
	s_mov_b32 s11, 0
	s_mov_b32 s28, exec_lo
                                        ; implicit-def: $sgpr27
	s_delay_alu instid0(VALU_DEP_1)
	v_cmpx_lt_i16_e64 0x7f, v130
	s_xor_b32 s28, exec_lo, s28
	s_cbranch_execnz .LBB2_1559
; %bb.1281:                             ;   in Loop: Header=BB2_869 Depth=2
	s_or_saveexec_b32 s28, s28
	v_mov_b32_e32 v129, s27
	s_xor_b32 exec_lo, exec_lo, s28
	s_cbranch_execnz .LBB2_1562
.LBB2_1282:                             ;   in Loop: Header=BB2_869 Depth=2
	s_or_b32 exec_lo, exec_lo, s28
	s_and_saveexec_b32 s27, s11
	s_cbranch_execz .LBB2_1284
.LBB2_1283:                             ;   in Loop: Header=BB2_869 Depth=2
	v_bfe_u32 v129, v13, 16, 3
	v_bfe_u32 v132, v13, 19, 4
	v_lshlrev_b32_e32 v133, 24, v117
	s_delay_alu instid0(VALU_DEP_3) | instskip(NEXT) | instid1(VALU_DEP_3)
	v_clz_i32_u32_e32 v130, v129
	v_cmp_eq_u32_e32 vcc_lo, 0, v132
	s_delay_alu instid0(VALU_DEP_2) | instskip(NEXT) | instid1(VALU_DEP_1)
	v_min_u32_e32 v130, 32, v130
	v_subrev_nc_u32_e32 v131, 28, v130
	v_sub_nc_u32_e32 v130, 29, v130
	s_delay_alu instid0(VALU_DEP_1) | instskip(NEXT) | instid1(VALU_DEP_1)
	v_dual_cndmask_b32 v130, v132, v130 :: v_dual_lshlrev_b32 v131, v131, v117
	v_and_b32_e32 v131, 7, v131
	s_delay_alu instid0(VALU_DEP_2) | instskip(NEXT) | instid1(VALU_DEP_2)
	v_lshl_add_u32 v130, v130, 23, 0x3b800000
	v_cndmask_b32_e32 v129, v129, v131, vcc_lo
	v_and_b32_e32 v131, 0x80000000, v133
	s_delay_alu instid0(VALU_DEP_2) | instskip(NEXT) | instid1(VALU_DEP_1)
	v_lshlrev_b32_e32 v129, 20, v129
	v_or3_b32 v129, v131, v130, v129
.LBB2_1284:                             ;   in Loop: Header=BB2_869 Depth=2
	s_or_b32 exec_lo, exec_lo, s27
	s_delay_alu instid0(VALU_DEP_1) | instskip(SKIP_1) | instid1(VALU_DEP_1)
	v_dual_max_f32 v129, v129, v129 :: v_dual_max_f32 v128, v128, v128
	s_mov_b32 s11, 0
	v_max_f32_e32 v128, v128, v129
	s_branch .LBB2_1286
.LBB2_1285:                             ;   in Loop: Header=BB2_869 Depth=2
	s_mov_b32 s11, -1
                                        ; implicit-def: $vgpr128
.LBB2_1286:                             ;   in Loop: Header=BB2_869 Depth=2
	s_delay_alu instid0(SALU_CYCLE_1)
	s_and_b32 vcc_lo, exec_lo, s11
	s_cbranch_vccz .LBB2_1296
; %bb.1287:                             ;   in Loop: Header=BB2_869 Depth=2
	s_mov_b32 s11, 0
	s_mov_b32 s28, exec_lo
                                        ; implicit-def: $sgpr27
	v_cmpx_lt_i16_e32 0x7f, v119
	s_xor_b32 s28, exec_lo, s28
	s_cbranch_execnz .LBB2_1563
; %bb.1288:                             ;   in Loop: Header=BB2_869 Depth=2
	s_or_saveexec_b32 s28, s28
	v_mov_b32_e32 v128, s27
	s_xor_b32 exec_lo, exec_lo, s28
	s_cbranch_execnz .LBB2_1566
.LBB2_1289:                             ;   in Loop: Header=BB2_869 Depth=2
	s_or_b32 exec_lo, exec_lo, s28
	s_and_saveexec_b32 s27, s11
	s_cbranch_execz .LBB2_1291
.LBB2_1290:                             ;   in Loop: Header=BB2_869 Depth=2
	v_bfe_u32 v119, v17, 16, 3
	v_bfe_u32 v130, v17, 19, 4
	s_delay_alu instid0(VALU_DEP_2) | instskip(NEXT) | instid1(VALU_DEP_2)
	v_clz_i32_u32_e32 v128, v119
	v_cmp_eq_u32_e32 vcc_lo, 0, v130
	s_delay_alu instid0(VALU_DEP_2) | instskip(NEXT) | instid1(VALU_DEP_1)
	v_min_u32_e32 v128, 32, v128
	v_subrev_nc_u32_e32 v129, 28, v128
	v_sub_nc_u32_e32 v128, 29, v128
	s_delay_alu instid0(VALU_DEP_1) | instskip(NEXT) | instid1(VALU_DEP_1)
	v_dual_cndmask_b32 v128, v130, v128 :: v_dual_lshlrev_b32 v129, v129, v118
	v_and_b32_e32 v129, 7, v129
	v_lshlrev_b32_e32 v118, 24, v118
	s_delay_alu instid0(VALU_DEP_3) | instskip(NEXT) | instid1(VALU_DEP_2)
	v_lshl_add_u32 v128, v128, 23, 0x3b800000
	v_dual_cndmask_b32 v119, v119, v129 :: v_dual_and_b32 v118, 0x80000000, v118
	s_delay_alu instid0(VALU_DEP_1) | instskip(NEXT) | instid1(VALU_DEP_1)
	v_lshlrev_b32_e32 v119, 20, v119
	v_or3_b32 v128, v118, v128, v119
.LBB2_1291:                             ;   in Loop: Header=BB2_869 Depth=2
	s_or_b32 exec_lo, exec_lo, s27
	v_and_b32_e32 v119, 0xff, v117
	s_mov_b32 s11, 0
	s_mov_b32 s28, exec_lo
                                        ; implicit-def: $sgpr27
	s_delay_alu instid0(VALU_DEP_1)
	v_cmpx_lt_i16_e32 0x7f, v119
	s_xor_b32 s28, exec_lo, s28
	s_cbranch_execnz .LBB2_1567
; %bb.1292:                             ;   in Loop: Header=BB2_869 Depth=2
	s_or_saveexec_b32 s28, s28
	v_mov_b32_e32 v118, s27
	s_xor_b32 exec_lo, exec_lo, s28
	s_cbranch_execnz .LBB2_1570
.LBB2_1293:                             ;   in Loop: Header=BB2_869 Depth=2
	s_or_b32 exec_lo, exec_lo, s28
	s_and_saveexec_b32 s27, s11
	s_cbranch_execz .LBB2_1295
.LBB2_1294:                             ;   in Loop: Header=BB2_869 Depth=2
	v_bfe_u32 v118, v13, 16, 3
	v_bfe_u32 v130, v13, 19, 4
	s_delay_alu instid0(VALU_DEP_2) | instskip(NEXT) | instid1(VALU_DEP_2)
	v_clz_i32_u32_e32 v119, v118
	v_cmp_eq_u32_e32 vcc_lo, 0, v130
	s_delay_alu instid0(VALU_DEP_2) | instskip(NEXT) | instid1(VALU_DEP_1)
	v_min_u32_e32 v119, 32, v119
	v_subrev_nc_u32_e32 v129, 28, v119
	v_sub_nc_u32_e32 v119, 29, v119
	s_delay_alu instid0(VALU_DEP_2) | instskip(SKIP_1) | instid1(VALU_DEP_2)
	v_lshlrev_b32_e32 v129, v129, v117
	v_lshlrev_b32_e32 v117, 24, v117
	v_and_b32_e32 v129, 7, v129
	s_delay_alu instid0(VALU_DEP_2) | instskip(NEXT) | instid1(VALU_DEP_2)
	v_and_b32_e32 v117, 0x80000000, v117
	v_cndmask_b32_e32 v118, v118, v129, vcc_lo
	s_delay_alu instid0(VALU_DEP_1) | instskip(NEXT) | instid1(VALU_DEP_1)
	v_dual_cndmask_b32 v119, v130, v119 :: v_dual_lshlrev_b32 v118, 20, v118
	v_lshl_add_u32 v119, v119, 23, 0x3b800000
	s_delay_alu instid0(VALU_DEP_1)
	v_or3_b32 v118, v117, v119, v118
.LBB2_1295:                             ;   in Loop: Header=BB2_869 Depth=2
	s_or_b32 exec_lo, exec_lo, s27
	s_delay_alu instid0(VALU_DEP_1) | instskip(NEXT) | instid1(VALU_DEP_1)
	v_dual_max_f32 v117, v118, v118 :: v_dual_max_f32 v118, v128, v128
	v_min_f32_e32 v128, v118, v117
.LBB2_1296:                             ;   in Loop: Header=BB2_869 Depth=2
	s_delay_alu instid0(VALU_DEP_1) | instskip(NEXT) | instid1(VALU_DEP_1)
	v_and_b32_e32 v117, 0x7f800000, v128
	v_cmp_ne_u32_e32 vcc_lo, 0x7f800000, v117
	v_mov_b32_e32 v117, 0x80
	s_and_saveexec_b32 s27, vcc_lo
	s_cbranch_execz .LBB2_1304
; %bb.1297:                             ;   in Loop: Header=BB2_869 Depth=2
	v_mov_b32_e32 v117, 0
	s_mov_b32 s28, exec_lo
	v_cmpx_ne_u32_e32 0, v128
	s_cbranch_execz .LBB2_1303
; %bb.1298:                             ;   in Loop: Header=BB2_869 Depth=2
	v_bfe_u32 v117, v128, 23, 8
	s_delay_alu instid0(VALU_DEP_1) | instskip(SKIP_1) | instid1(VALU_DEP_2)
	v_sub_nc_u32_e32 v119, 0x78, v117
	v_cmp_gt_u32_e32 vcc_lo, 0x79, v117
	v_dual_cndmask_b32 v119, 0, v119 :: v_dual_and_b32 v118, 0x7fffff, v128
	s_delay_alu instid0(VALU_DEP_1) | instskip(SKIP_2) | instid1(VALU_DEP_4)
	v_or_b32_e32 v129, 0x800000, v118
	v_cmp_eq_u32_e32 vcc_lo, 0, v117
	v_add_nc_u32_e32 v117, 0xffffff89, v117
	v_cndmask_b32_e64 v119, v119, 0x77, vcc_lo
	s_delay_alu instid0(VALU_DEP_4) | instskip(NEXT) | instid1(VALU_DEP_3)
	v_cndmask_b32_e32 v118, v129, v118, vcc_lo
	v_cndmask_b32_e64 v117, v117, 0xffffff8a, vcc_lo
	s_delay_alu instid0(VALU_DEP_3) | instskip(NEXT) | instid1(VALU_DEP_3)
	v_lshl_add_u32 v129, 0x100000, v119, -1
	v_lshrrev_b32_e32 v130, v119, v118
	v_lshlrev_b32_e64 v132, v119, 0x80000
	s_delay_alu instid0(VALU_DEP_4) | instskip(NEXT) | instid1(VALU_DEP_4)
	v_add_nc_u32_e32 v119, v119, v117
	v_and_b32_e32 v118, v129, v118
	s_delay_alu instid0(VALU_DEP_4) | instskip(NEXT) | instid1(VALU_DEP_2)
	v_bfe_u32 v131, v130, 20, 1
	v_cmp_eq_u32_e64 s11, v118, v132
	s_delay_alu instid0(VALU_DEP_2) | instskip(NEXT) | instid1(VALU_DEP_1)
	v_add_nc_u32_e32 v129, -1, v131
	v_cndmask_b32_e64 v118, 0, v129, s11
	v_lshrrev_b32_e32 v129, 23, v130
	s_mov_b32 s11, exec_lo
	s_delay_alu instid0(VALU_DEP_2) | instskip(NEXT) | instid1(VALU_DEP_2)
	v_add_nc_u32_e32 v118, v118, v130
	v_xor_b32_e32 v129, 1, v129
	s_delay_alu instid0(VALU_DEP_2) | instskip(NEXT) | instid1(VALU_DEP_1)
	v_and_b32_e32 v117, 0xfffff, v118
	v_add_nc_u32_e32 v118, v117, v130
                                        ; implicit-def: $vgpr117
	s_delay_alu instid0(VALU_DEP_3)
	v_cmpx_ne_u32_e64 v119, v129
	s_xor_b32 s11, exec_lo, s11
; %bb.1299:                             ;   in Loop: Header=BB2_869 Depth=2
	s_delay_alu instid0(VALU_DEP_2) | instskip(SKIP_2) | instid1(VALU_DEP_2)
	v_cmp_lt_u32_e32 vcc_lo, 0xffffff, v118
	v_sub_nc_u32_e32 v117, v119, v129
	v_cndmask_b32_e64 v119, 0, 1, vcc_lo
	v_add_co_ci_u32_e32 v117, vcc_lo, 0, v117, vcc_lo
	s_delay_alu instid0(VALU_DEP_2)
	v_lshrrev_b32_e32 v118, v119, v118
; %bb.1300:                             ;   in Loop: Header=BB2_869 Depth=2
	s_and_not1_saveexec_b32 s11, s11
; %bb.1301:                             ;   in Loop: Header=BB2_869 Depth=2
	s_delay_alu instid0(VALU_DEP_1)
	v_bfe_u32 v117, v118, 23, 1
; %bb.1302:                             ;   in Loop: Header=BB2_869 Depth=2
	s_or_b32 exec_lo, exec_lo, s11
	v_lshrrev_b32_e32 v118, 20, v118
	s_delay_alu instid0(VALU_DEP_2) | instskip(SKIP_2) | instid1(VALU_DEP_2)
	v_cmp_gt_i32_e32 vcc_lo, 16, v117
	v_min_i32_e32 v119, 15, v117
	v_lshrrev_b32_e32 v128, 24, v128
	v_dual_cndmask_b32 v118, 7, v118 :: v_dual_lshlrev_b32 v119, 3, v119
	s_delay_alu instid0(VALU_DEP_1) | instskip(SKIP_1) | instid1(VALU_DEP_3)
	v_or_b32_e32 v117, v117, v118
	v_and_b32_e32 v129, 7, v118
	v_and_b32_e32 v119, 0xf8, v119
	s_delay_alu instid0(VALU_DEP_3) | instskip(SKIP_1) | instid1(VALU_DEP_1)
	v_cmp_ne_u32_e32 vcc_lo, 0, v117
	v_and_b32_e32 v128, 0x80, v128
	v_or3_b32 v118, v119, v128, v129
	s_delay_alu instid0(VALU_DEP_1)
	v_cndmask_b32_e32 v117, 0, v118, vcc_lo
.LBB2_1303:                             ;   in Loop: Header=BB2_869 Depth=2
	s_or_b32 exec_lo, exec_lo, s28
.LBB2_1304:                             ;   in Loop: Header=BB2_869 Depth=2
	s_delay_alu instid0(SALU_CYCLE_1) | instskip(SKIP_3) | instid1(VALU_DEP_2)
	s_or_b32 exec_lo, exec_lo, s27
	v_lshrrev_b32_e32 v119, 24, v17
	v_lshrrev_b32_e32 v118, 24, v13
	s_and_b32 vcc_lo, exec_lo, s26
	v_cmp_lt_i16_e64 s11, 0x7f, v119
	s_cbranch_vccz .LBB2_1314
; %bb.1305:                             ;   in Loop: Header=BB2_869 Depth=2
	s_mov_b32 s27, 0
                                        ; implicit-def: $sgpr28
	s_delay_alu instid0(VALU_DEP_1) | instskip(NEXT) | instid1(SALU_CYCLE_1)
	s_and_saveexec_b32 s29, s11
	s_xor_b32 s11, exec_lo, s29
	s_cbranch_execnz .LBB2_1571
; %bb.1306:                             ;   in Loop: Header=BB2_869 Depth=2
	s_or_saveexec_b32 s11, s11
	v_mov_b32_e32 v128, s28
	s_xor_b32 exec_lo, exec_lo, s11
	s_cbranch_execnz .LBB2_1574
.LBB2_1307:                             ;   in Loop: Header=BB2_869 Depth=2
	s_or_b32 exec_lo, exec_lo, s11
	s_and_saveexec_b32 s11, s27
	s_cbranch_execz .LBB2_1309
.LBB2_1308:                             ;   in Loop: Header=BB2_869 Depth=2
	v_bfe_u32 v128, v17, 24, 3
	v_bfe_u32 v131, v17, 27, 4
	s_delay_alu instid0(VALU_DEP_2) | instskip(NEXT) | instid1(VALU_DEP_2)
	v_clz_i32_u32_e32 v129, v128
	v_cmp_eq_u32_e32 vcc_lo, 0, v131
	s_delay_alu instid0(VALU_DEP_2) | instskip(NEXT) | instid1(VALU_DEP_1)
	v_min_u32_e32 v129, 32, v129
	v_subrev_nc_u32_e32 v130, 28, v129
	v_sub_nc_u32_e32 v129, 29, v129
	s_delay_alu instid0(VALU_DEP_1) | instskip(NEXT) | instid1(VALU_DEP_1)
	v_dual_cndmask_b32 v129, v131, v129 :: v_dual_lshlrev_b32 v130, v130, v119
	v_and_b32_e32 v130, 7, v130
	s_delay_alu instid0(VALU_DEP_2) | instskip(NEXT) | instid1(VALU_DEP_2)
	v_lshl_add_u32 v129, v129, 23, 0x3b800000
	v_cndmask_b32_e32 v128, v128, v130, vcc_lo
	v_and_b32_e32 v130, 0x80000000, v17
	s_delay_alu instid0(VALU_DEP_2) | instskip(NEXT) | instid1(VALU_DEP_1)
	v_lshlrev_b32_e32 v128, 20, v128
	v_or3_b32 v128, v130, v129, v128
.LBB2_1309:                             ;   in Loop: Header=BB2_869 Depth=2
	s_or_b32 exec_lo, exec_lo, s11
	s_mov_b32 s11, 0
	s_mov_b32 s28, exec_lo
                                        ; implicit-def: $sgpr27
	v_cmpx_lt_i16_e32 0x7f, v118
	s_xor_b32 s28, exec_lo, s28
	s_cbranch_execnz .LBB2_1575
; %bb.1310:                             ;   in Loop: Header=BB2_869 Depth=2
	s_or_saveexec_b32 s28, s28
	v_mov_b32_e32 v129, s27
	s_xor_b32 exec_lo, exec_lo, s28
	s_cbranch_execnz .LBB2_1578
.LBB2_1311:                             ;   in Loop: Header=BB2_869 Depth=2
	s_or_b32 exec_lo, exec_lo, s28
	s_and_saveexec_b32 s27, s11
	s_cbranch_execz .LBB2_1313
.LBB2_1312:                             ;   in Loop: Header=BB2_869 Depth=2
	v_bfe_u32 v129, v13, 24, 3
	v_bfe_u32 v132, v13, 27, 4
	s_delay_alu instid0(VALU_DEP_2) | instskip(NEXT) | instid1(VALU_DEP_2)
	v_clz_i32_u32_e32 v130, v129
	v_cmp_eq_u32_e32 vcc_lo, 0, v132
	s_delay_alu instid0(VALU_DEP_2) | instskip(NEXT) | instid1(VALU_DEP_1)
	v_min_u32_e32 v130, 32, v130
	v_subrev_nc_u32_e32 v131, 28, v130
	v_sub_nc_u32_e32 v130, 29, v130
	s_delay_alu instid0(VALU_DEP_2) | instskip(NEXT) | instid1(VALU_DEP_1)
	v_lshlrev_b32_e32 v131, v131, v118
	v_dual_cndmask_b32 v130, v132, v130 :: v_dual_and_b32 v131, 7, v131
	s_delay_alu instid0(VALU_DEP_1) | instskip(NEXT) | instid1(VALU_DEP_2)
	v_lshl_add_u32 v130, v130, 23, 0x3b800000
	v_cndmask_b32_e32 v129, v129, v131, vcc_lo
	v_and_b32_e32 v131, 0x80000000, v13
	s_delay_alu instid0(VALU_DEP_2) | instskip(NEXT) | instid1(VALU_DEP_1)
	v_lshlrev_b32_e32 v129, 20, v129
	v_or3_b32 v129, v131, v130, v129
.LBB2_1313:                             ;   in Loop: Header=BB2_869 Depth=2
	s_or_b32 exec_lo, exec_lo, s27
	s_delay_alu instid0(VALU_DEP_1) | instskip(SKIP_1) | instid1(VALU_DEP_1)
	v_dual_max_f32 v129, v129, v129 :: v_dual_max_f32 v128, v128, v128
	s_mov_b32 s11, 0
	v_max_f32_e32 v128, v128, v129
	s_branch .LBB2_1315
.LBB2_1314:                             ;   in Loop: Header=BB2_869 Depth=2
	s_mov_b32 s11, -1
                                        ; implicit-def: $vgpr128
.LBB2_1315:                             ;   in Loop: Header=BB2_869 Depth=2
	s_delay_alu instid0(SALU_CYCLE_1)
	s_and_b32 vcc_lo, exec_lo, s11
	s_cbranch_vccz .LBB2_1325
; %bb.1316:                             ;   in Loop: Header=BB2_869 Depth=2
	s_mov_b32 s11, 0
	s_mov_b32 s28, exec_lo
                                        ; implicit-def: $sgpr27
	v_cmpx_lt_i16_e32 0x7f, v119
	s_xor_b32 s28, exec_lo, s28
	s_cbranch_execnz .LBB2_1579
; %bb.1317:                             ;   in Loop: Header=BB2_869 Depth=2
	s_or_saveexec_b32 s28, s28
	v_mov_b32_e32 v128, s27
	s_xor_b32 exec_lo, exec_lo, s28
	s_cbranch_execnz .LBB2_1582
.LBB2_1318:                             ;   in Loop: Header=BB2_869 Depth=2
	s_or_b32 exec_lo, exec_lo, s28
	s_and_saveexec_b32 s27, s11
	s_cbranch_execz .LBB2_1320
.LBB2_1319:                             ;   in Loop: Header=BB2_869 Depth=2
	v_bfe_u32 v128, v17, 24, 3
	s_delay_alu instid0(VALU_DEP_1) | instskip(NEXT) | instid1(VALU_DEP_1)
	v_clz_i32_u32_e32 v129, v128
	v_min_u32_e32 v129, 32, v129
	s_delay_alu instid0(VALU_DEP_1) | instskip(SKIP_1) | instid1(VALU_DEP_2)
	v_subrev_nc_u32_e32 v130, 28, v129
	v_sub_nc_u32_e32 v129, 29, v129
	v_lshlrev_b32_e32 v119, v130, v119
	v_bfe_u32 v130, v17, 27, 4
	v_and_b32_e32 v17, 0x80000000, v17
	s_delay_alu instid0(VALU_DEP_3) | instskip(NEXT) | instid1(VALU_DEP_3)
	v_and_b32_e32 v119, 7, v119
	v_cmp_eq_u32_e32 vcc_lo, 0, v130
	v_cndmask_b32_e32 v129, v130, v129, vcc_lo
	s_delay_alu instid0(VALU_DEP_3) | instskip(NEXT) | instid1(VALU_DEP_2)
	v_cndmask_b32_e32 v119, v128, v119, vcc_lo
	v_lshl_add_u32 v128, v129, 23, 0x3b800000
	s_delay_alu instid0(VALU_DEP_2) | instskip(NEXT) | instid1(VALU_DEP_1)
	v_lshlrev_b32_e32 v119, 20, v119
	v_or3_b32 v128, v17, v128, v119
.LBB2_1320:                             ;   in Loop: Header=BB2_869 Depth=2
	s_or_b32 exec_lo, exec_lo, s27
	s_mov_b32 s11, 0
	s_mov_b32 s28, exec_lo
                                        ; implicit-def: $sgpr27
	v_cmpx_lt_i16_e32 0x7f, v118
	s_xor_b32 s28, exec_lo, s28
	s_cbranch_execnz .LBB2_1583
; %bb.1321:                             ;   in Loop: Header=BB2_869 Depth=2
	s_or_saveexec_b32 s28, s28
	v_mov_b32_e32 v17, s27
	s_xor_b32 exec_lo, exec_lo, s28
	s_cbranch_execnz .LBB2_1586
.LBB2_1322:                             ;   in Loop: Header=BB2_869 Depth=2
	s_or_b32 exec_lo, exec_lo, s28
	s_and_saveexec_b32 s27, s11
	s_cbranch_execz .LBB2_1324
.LBB2_1323:                             ;   in Loop: Header=BB2_869 Depth=2
	v_bfe_u32 v17, v13, 24, 3
	s_delay_alu instid0(VALU_DEP_1) | instskip(NEXT) | instid1(VALU_DEP_1)
	v_clz_i32_u32_e32 v119, v17
	v_min_u32_e32 v119, 32, v119
	s_delay_alu instid0(VALU_DEP_1) | instskip(SKIP_1) | instid1(VALU_DEP_2)
	v_subrev_nc_u32_e32 v129, 28, v119
	v_sub_nc_u32_e32 v119, 29, v119
	v_lshlrev_b32_e32 v118, v129, v118
	v_bfe_u32 v129, v13, 27, 4
	v_and_b32_e32 v13, 0x80000000, v13
	s_delay_alu instid0(VALU_DEP_2) | instskip(NEXT) | instid1(VALU_DEP_4)
	v_cmp_eq_u32_e32 vcc_lo, 0, v129
	v_dual_cndmask_b32 v119, v129, v119 :: v_dual_and_b32 v118, 7, v118
	s_delay_alu instid0(VALU_DEP_1) | instskip(NEXT) | instid1(VALU_DEP_2)
	v_cndmask_b32_e32 v17, v17, v118, vcc_lo
	v_lshl_add_u32 v118, v119, 23, 0x3b800000
	s_delay_alu instid0(VALU_DEP_2) | instskip(NEXT) | instid1(VALU_DEP_1)
	v_lshlrev_b32_e32 v17, 20, v17
	v_or3_b32 v17, v13, v118, v17
.LBB2_1324:                             ;   in Loop: Header=BB2_869 Depth=2
	s_or_b32 exec_lo, exec_lo, s27
	s_delay_alu instid0(VALU_DEP_1) | instskip(SKIP_1) | instid1(VALU_DEP_1)
	v_max_f32_e32 v13, v17, v17
	v_max_f32_e32 v17, v128, v128
	v_min_f32_e32 v128, v17, v13
.LBB2_1325:                             ;   in Loop: Header=BB2_869 Depth=2
	s_delay_alu instid0(VALU_DEP_1) | instskip(NEXT) | instid1(VALU_DEP_1)
	v_and_b32_e32 v13, 0x7f800000, v128
	v_cmp_ne_u32_e32 vcc_lo, 0x7f800000, v13
	v_mov_b32_e32 v13, 0x8000
	s_and_saveexec_b32 s27, vcc_lo
	s_cbranch_execz .LBB2_868
; %bb.1326:                             ;   in Loop: Header=BB2_869 Depth=2
	v_mov_b32_e32 v13, 0
	s_mov_b32 s28, exec_lo
	v_cmpx_ne_u32_e32 0, v128
	s_cbranch_execz .LBB2_867
; %bb.1327:                             ;   in Loop: Header=BB2_869 Depth=2
	v_bfe_u32 v13, v128, 23, 8
	s_delay_alu instid0(VALU_DEP_1) | instskip(SKIP_1) | instid1(VALU_DEP_2)
	v_sub_nc_u32_e32 v118, 0x78, v13
	v_cmp_gt_u32_e32 vcc_lo, 0x79, v13
	v_dual_cndmask_b32 v118, 0, v118 :: v_dual_and_b32 v17, 0x7fffff, v128
	s_delay_alu instid0(VALU_DEP_1) | instskip(SKIP_2) | instid1(VALU_DEP_4)
	v_or_b32_e32 v119, 0x800000, v17
	v_cmp_eq_u32_e32 vcc_lo, 0, v13
	v_add_nc_u32_e32 v13, 0xffffff89, v13
	v_cndmask_b32_e64 v118, v118, 0x77, vcc_lo
	s_delay_alu instid0(VALU_DEP_4) | instskip(NEXT) | instid1(VALU_DEP_3)
	v_cndmask_b32_e32 v17, v119, v17, vcc_lo
	v_cndmask_b32_e64 v13, v13, 0xffffff8a, vcc_lo
	s_delay_alu instid0(VALU_DEP_3) | instskip(NEXT) | instid1(VALU_DEP_3)
	v_lshl_add_u32 v119, 0x100000, v118, -1
	v_lshrrev_b32_e32 v129, v118, v17
	v_lshlrev_b32_e64 v131, v118, 0x80000
	s_delay_alu instid0(VALU_DEP_4) | instskip(NEXT) | instid1(VALU_DEP_4)
	v_add_nc_u32_e32 v118, v118, v13
	v_and_b32_e32 v17, v119, v17
	s_delay_alu instid0(VALU_DEP_4) | instskip(NEXT) | instid1(VALU_DEP_2)
	v_bfe_u32 v130, v129, 20, 1
	v_cmp_eq_u32_e64 s11, v17, v131
	s_delay_alu instid0(VALU_DEP_2) | instskip(NEXT) | instid1(VALU_DEP_1)
	v_add_nc_u32_e32 v119, -1, v130
	v_cndmask_b32_e64 v17, 0, v119, s11
	v_lshrrev_b32_e32 v119, 23, v129
	s_mov_b32 s11, exec_lo
	s_delay_alu instid0(VALU_DEP_2) | instskip(NEXT) | instid1(VALU_DEP_2)
	v_add_nc_u32_e32 v17, v17, v129
	v_xor_b32_e32 v119, 1, v119
	s_delay_alu instid0(VALU_DEP_2) | instskip(NEXT) | instid1(VALU_DEP_1)
	v_and_b32_e32 v13, 0xfffff, v17
	v_add_nc_u32_e32 v17, v13, v129
                                        ; implicit-def: $vgpr13
	s_delay_alu instid0(VALU_DEP_3)
	v_cmpx_ne_u32_e64 v118, v119
	s_xor_b32 s11, exec_lo, s11
; %bb.1328:                             ;   in Loop: Header=BB2_869 Depth=2
	s_delay_alu instid0(VALU_DEP_2) | instskip(SKIP_2) | instid1(VALU_DEP_2)
	v_cmp_lt_u32_e32 vcc_lo, 0xffffff, v17
	v_sub_nc_u32_e32 v13, v118, v119
	v_cndmask_b32_e64 v118, 0, 1, vcc_lo
	v_add_co_ci_u32_e32 v13, vcc_lo, 0, v13, vcc_lo
	s_delay_alu instid0(VALU_DEP_2)
	v_lshrrev_b32_e32 v17, v118, v17
; %bb.1329:                             ;   in Loop: Header=BB2_869 Depth=2
	s_and_not1_saveexec_b32 s11, s11
	s_cbranch_execz .LBB2_866
; %bb.1330:                             ;   in Loop: Header=BB2_869 Depth=2
	s_delay_alu instid0(VALU_DEP_1)
	v_bfe_u32 v13, v17, 23, 1
	s_branch .LBB2_866
.LBB2_1331:                             ;   in Loop: Header=BB2_869 Depth=2
	s_mov_b32 s27, -1
	s_mov_b32 s29, exec_lo
                                        ; implicit-def: $sgpr28
	v_cmpx_eq_u16_e32 0x80, v101
; %bb.1332:                             ;   in Loop: Header=BB2_869 Depth=2
	s_mov_b32 s28, 0x7f800001
	s_xor_b32 s27, exec_lo, -1
; %bb.1333:                             ;   in Loop: Header=BB2_869 Depth=2
	s_or_b32 exec_lo, exec_lo, s29
	s_delay_alu instid0(SALU_CYCLE_1)
	s_and_b32 s27, s27, exec_lo
	s_or_saveexec_b32 s11, s11
	v_mov_b32_e32 v102, s28
	s_xor_b32 exec_lo, exec_lo, s11
	s_cbranch_execz .LBB2_872
.LBB2_1334:                             ;   in Loop: Header=BB2_869 Depth=2
	v_cmp_ne_u16_e32 vcc_lo, 0, v101
	v_mov_b32_e32 v102, 0
	s_and_not1_b32 s27, s27, exec_lo
	s_and_b32 s28, vcc_lo, exec_lo
	s_delay_alu instid0(SALU_CYCLE_1)
	s_or_b32 s27, s27, s28
	s_or_b32 exec_lo, exec_lo, s11
	s_and_saveexec_b32 s11, s27
	s_cbranch_execnz .LBB2_873
	s_branch .LBB2_874
.LBB2_1335:                             ;   in Loop: Header=BB2_869 Depth=2
	s_mov_b32 s11, -1
	s_mov_b32 s29, exec_lo
                                        ; implicit-def: $sgpr27
	v_cmpx_eq_u16_e32 0x80, v112
; %bb.1336:                             ;   in Loop: Header=BB2_869 Depth=2
	s_mov_b32 s27, 0x7f800001
	s_xor_b32 s11, exec_lo, -1
; %bb.1337:                             ;   in Loop: Header=BB2_869 Depth=2
	s_or_b32 exec_lo, exec_lo, s29
	s_delay_alu instid0(SALU_CYCLE_1)
	s_and_b32 s11, s11, exec_lo
                                        ; implicit-def: $vgpr112
	s_or_saveexec_b32 s28, s28
	v_mov_b32_e32 v103, s27
	s_xor_b32 exec_lo, exec_lo, s28
	s_cbranch_execz .LBB2_876
.LBB2_1338:                             ;   in Loop: Header=BB2_869 Depth=2
	v_cmp_ne_u16_e32 vcc_lo, 0, v112
	v_mov_b32_e32 v103, 0
	s_and_not1_b32 s11, s11, exec_lo
	s_and_b32 s27, vcc_lo, exec_lo
	s_delay_alu instid0(SALU_CYCLE_1)
	s_or_b32 s11, s11, s27
	s_or_b32 exec_lo, exec_lo, s28
	s_and_saveexec_b32 s27, s11
	s_cbranch_execnz .LBB2_877
	s_branch .LBB2_878
.LBB2_1339:                             ;   in Loop: Header=BB2_869 Depth=2
	s_mov_b32 s11, -1
	s_mov_b32 s29, exec_lo
                                        ; implicit-def: $sgpr27
	v_cmpx_eq_u16_e32 0x80, v101
; %bb.1340:                             ;   in Loop: Header=BB2_869 Depth=2
	s_mov_b32 s27, 0x7f800001
	s_xor_b32 s11, exec_lo, -1
; %bb.1341:                             ;   in Loop: Header=BB2_869 Depth=2
	s_or_b32 exec_lo, exec_lo, s29
	s_delay_alu instid0(SALU_CYCLE_1)
	s_and_b32 s11, s11, exec_lo
                                        ; implicit-def: $vgpr101
	s_or_saveexec_b32 s28, s28
	v_mov_b32_e32 v102, s27
	s_xor_b32 exec_lo, exec_lo, s28
	s_cbranch_execz .LBB2_883
.LBB2_1342:                             ;   in Loop: Header=BB2_869 Depth=2
	v_cmp_ne_u16_e32 vcc_lo, 0, v101
	v_mov_b32_e32 v102, 0
	s_and_not1_b32 s11, s11, exec_lo
	s_and_b32 s27, vcc_lo, exec_lo
	s_delay_alu instid0(SALU_CYCLE_1)
	s_or_b32 s11, s11, s27
	s_or_b32 exec_lo, exec_lo, s28
	s_and_saveexec_b32 s27, s11
	s_cbranch_execnz .LBB2_884
	s_branch .LBB2_885
.LBB2_1343:                             ;   in Loop: Header=BB2_869 Depth=2
	s_mov_b32 s11, -1
	s_mov_b32 s29, exec_lo
                                        ; implicit-def: $sgpr27
	v_cmpx_eq_u16_e32 0x80, v103
; %bb.1344:                             ;   in Loop: Header=BB2_869 Depth=2
	s_mov_b32 s27, 0x7f800001
	s_xor_b32 s11, exec_lo, -1
; %bb.1345:                             ;   in Loop: Header=BB2_869 Depth=2
	s_or_b32 exec_lo, exec_lo, s29
	s_delay_alu instid0(SALU_CYCLE_1)
	s_and_b32 s11, s11, exec_lo
                                        ; implicit-def: $vgpr103
	s_or_saveexec_b32 s28, s28
	v_mov_b32_e32 v101, s27
	s_xor_b32 exec_lo, exec_lo, s28
	s_cbranch_execz .LBB2_887
.LBB2_1346:                             ;   in Loop: Header=BB2_869 Depth=2
	v_cmp_ne_u16_e32 vcc_lo, 0, v103
	v_mov_b32_e32 v101, 0
	s_and_not1_b32 s11, s11, exec_lo
	s_and_b32 s27, vcc_lo, exec_lo
	s_delay_alu instid0(SALU_CYCLE_1)
	s_or_b32 s11, s11, s27
	s_or_b32 exec_lo, exec_lo, s28
	s_and_saveexec_b32 s27, s11
	s_cbranch_execnz .LBB2_888
	s_branch .LBB2_889
.LBB2_1347:                             ;   in Loop: Header=BB2_869 Depth=2
	s_mov_b32 s27, -1
	s_mov_b32 s29, exec_lo
                                        ; implicit-def: $sgpr28
	v_cmpx_eq_u16_e32 0x80, v103
; %bb.1348:                             ;   in Loop: Header=BB2_869 Depth=2
	s_mov_b32 s28, 0x7f800001
	s_xor_b32 s27, exec_lo, -1
; %bb.1349:                             ;   in Loop: Header=BB2_869 Depth=2
	s_or_b32 exec_lo, exec_lo, s29
	s_delay_alu instid0(SALU_CYCLE_1)
	s_and_b32 s27, s27, exec_lo
	s_or_saveexec_b32 s11, s11
	v_mov_b32_e32 v112, s28
	s_xor_b32 exec_lo, exec_lo, s11
	s_cbranch_execz .LBB2_901
.LBB2_1350:                             ;   in Loop: Header=BB2_869 Depth=2
	v_cmp_ne_u16_e32 vcc_lo, 0, v103
	v_mov_b32_e32 v112, 0
	s_and_not1_b32 s27, s27, exec_lo
	s_and_b32 s28, vcc_lo, exec_lo
	s_delay_alu instid0(SALU_CYCLE_1)
	s_or_b32 s27, s27, s28
	s_or_b32 exec_lo, exec_lo, s11
	s_and_saveexec_b32 s11, s27
	s_cbranch_execnz .LBB2_902
	s_branch .LBB2_903
.LBB2_1351:                             ;   in Loop: Header=BB2_869 Depth=2
	s_mov_b32 s11, -1
	s_mov_b32 s29, exec_lo
                                        ; implicit-def: $sgpr27
	v_cmpx_eq_u16_e32 0x80, v102
; %bb.1352:                             ;   in Loop: Header=BB2_869 Depth=2
	s_mov_b32 s27, 0x7f800001
	s_xor_b32 s11, exec_lo, -1
; %bb.1353:                             ;   in Loop: Header=BB2_869 Depth=2
	s_or_b32 exec_lo, exec_lo, s29
	s_delay_alu instid0(SALU_CYCLE_1)
	s_and_b32 s11, s11, exec_lo
	s_or_saveexec_b32 s28, s28
	v_mov_b32_e32 v113, s27
	s_xor_b32 exec_lo, exec_lo, s28
	s_cbranch_execz .LBB2_905
.LBB2_1354:                             ;   in Loop: Header=BB2_869 Depth=2
	v_cmp_ne_u16_e32 vcc_lo, 0, v102
	v_mov_b32_e32 v113, 0
	s_and_not1_b32 s11, s11, exec_lo
	s_and_b32 s27, vcc_lo, exec_lo
	s_delay_alu instid0(SALU_CYCLE_1)
	s_or_b32 s11, s11, s27
	s_or_b32 exec_lo, exec_lo, s28
	s_and_saveexec_b32 s27, s11
	s_cbranch_execnz .LBB2_906
	s_branch .LBB2_907
.LBB2_1355:                             ;   in Loop: Header=BB2_869 Depth=2
	s_mov_b32 s11, -1
	s_mov_b32 s29, exec_lo
                                        ; implicit-def: $sgpr27
	v_cmpx_eq_u16_e32 0x80, v103
; %bb.1356:                             ;   in Loop: Header=BB2_869 Depth=2
	s_mov_b32 s27, 0x7f800001
	s_xor_b32 s11, exec_lo, -1
; %bb.1357:                             ;   in Loop: Header=BB2_869 Depth=2
	s_or_b32 exec_lo, exec_lo, s29
	s_delay_alu instid0(SALU_CYCLE_1)
	s_and_b32 s11, s11, exec_lo
	s_or_saveexec_b32 s28, s28
	v_mov_b32_e32 v112, s27
	s_xor_b32 exec_lo, exec_lo, s28
	s_cbranch_execz .LBB2_912
.LBB2_1358:                             ;   in Loop: Header=BB2_869 Depth=2
	v_cmp_ne_u16_e32 vcc_lo, 0, v103
	v_mov_b32_e32 v112, 0
	s_and_not1_b32 s11, s11, exec_lo
	s_and_b32 s27, vcc_lo, exec_lo
	s_delay_alu instid0(SALU_CYCLE_1)
	s_or_b32 s11, s11, s27
	s_or_b32 exec_lo, exec_lo, s28
	s_and_saveexec_b32 s27, s11
	s_cbranch_execnz .LBB2_913
	s_branch .LBB2_914
.LBB2_1359:                             ;   in Loop: Header=BB2_869 Depth=2
	s_mov_b32 s11, -1
	s_mov_b32 s29, exec_lo
                                        ; implicit-def: $sgpr27
	v_cmpx_eq_u16_e32 0x80, v102
; %bb.1360:                             ;   in Loop: Header=BB2_869 Depth=2
	s_mov_b32 s27, 0x7f800001
	s_xor_b32 s11, exec_lo, -1
; %bb.1361:                             ;   in Loop: Header=BB2_869 Depth=2
	s_or_b32 exec_lo, exec_lo, s29
	s_delay_alu instid0(SALU_CYCLE_1)
	s_and_b32 s11, s11, exec_lo
	s_or_saveexec_b32 s28, s28
	v_mov_b32_e32 v103, s27
	s_xor_b32 exec_lo, exec_lo, s28
	s_cbranch_execz .LBB2_916
.LBB2_1362:                             ;   in Loop: Header=BB2_869 Depth=2
	v_cmp_ne_u16_e32 vcc_lo, 0, v102
	v_mov_b32_e32 v103, 0
	s_and_not1_b32 s11, s11, exec_lo
	s_and_b32 s27, vcc_lo, exec_lo
	s_delay_alu instid0(SALU_CYCLE_1)
	s_or_b32 s11, s11, s27
	s_or_b32 exec_lo, exec_lo, s28
	s_and_saveexec_b32 s27, s11
	s_cbranch_execnz .LBB2_917
	s_branch .LBB2_918
.LBB2_1363:                             ;   in Loop: Header=BB2_869 Depth=2
	s_mov_b32 s27, -1
	s_mov_b32 s29, exec_lo
                                        ; implicit-def: $sgpr28
	v_cmpx_eq_u16_e32 0x80, v113
; %bb.1364:                             ;   in Loop: Header=BB2_869 Depth=2
	s_mov_b32 s28, 0x7f800001
	s_xor_b32 s27, exec_lo, -1
; %bb.1365:                             ;   in Loop: Header=BB2_869 Depth=2
	s_or_b32 exec_lo, exec_lo, s29
	s_delay_alu instid0(SALU_CYCLE_1)
	s_and_b32 s27, s27, exec_lo
	s_or_saveexec_b32 s11, s11
	v_mov_b32_e32 v114, s28
	s_xor_b32 exec_lo, exec_lo, s11
	s_cbranch_execz .LBB2_930
.LBB2_1366:                             ;   in Loop: Header=BB2_869 Depth=2
	v_cmp_ne_u16_e32 vcc_lo, 0, v113
	v_mov_b32_e32 v114, 0
	s_and_not1_b32 s27, s27, exec_lo
	s_and_b32 s28, vcc_lo, exec_lo
	s_delay_alu instid0(SALU_CYCLE_1)
	s_or_b32 s27, s27, s28
	s_or_b32 exec_lo, exec_lo, s11
	s_and_saveexec_b32 s11, s27
	s_cbranch_execnz .LBB2_931
	s_branch .LBB2_932
.LBB2_1367:                             ;   in Loop: Header=BB2_869 Depth=2
	s_mov_b32 s11, -1
	s_mov_b32 s29, exec_lo
                                        ; implicit-def: $sgpr27
	v_cmpx_eq_u16_e32 0x80, v116
; %bb.1368:                             ;   in Loop: Header=BB2_869 Depth=2
	s_mov_b32 s27, 0x7f800001
	s_xor_b32 s11, exec_lo, -1
; %bb.1369:                             ;   in Loop: Header=BB2_869 Depth=2
	s_or_b32 exec_lo, exec_lo, s29
	s_delay_alu instid0(SALU_CYCLE_1)
	s_and_b32 s11, s11, exec_lo
                                        ; implicit-def: $vgpr116
	s_or_saveexec_b32 s28, s28
	v_mov_b32_e32 v115, s27
	s_xor_b32 exec_lo, exec_lo, s28
	s_cbranch_execz .LBB2_934
.LBB2_1370:                             ;   in Loop: Header=BB2_869 Depth=2
	v_cmp_ne_u16_e32 vcc_lo, 0, v116
	v_mov_b32_e32 v115, 0
	s_and_not1_b32 s11, s11, exec_lo
	s_and_b32 s27, vcc_lo, exec_lo
	s_delay_alu instid0(SALU_CYCLE_1)
	s_or_b32 s11, s11, s27
	s_or_b32 exec_lo, exec_lo, s28
	s_and_saveexec_b32 s27, s11
	s_cbranch_execnz .LBB2_935
	s_branch .LBB2_936
.LBB2_1371:                             ;   in Loop: Header=BB2_869 Depth=2
	s_mov_b32 s11, -1
	s_mov_b32 s29, exec_lo
                                        ; implicit-def: $sgpr27
	v_cmpx_eq_u16_e32 0x80, v113
; %bb.1372:                             ;   in Loop: Header=BB2_869 Depth=2
	s_mov_b32 s27, 0x7f800001
	s_xor_b32 s11, exec_lo, -1
; %bb.1373:                             ;   in Loop: Header=BB2_869 Depth=2
	s_or_b32 exec_lo, exec_lo, s29
	s_delay_alu instid0(SALU_CYCLE_1)
	s_and_b32 s11, s11, exec_lo
                                        ; implicit-def: $vgpr113
	s_or_saveexec_b32 s28, s28
	v_mov_b32_e32 v114, s27
	s_xor_b32 exec_lo, exec_lo, s28
	s_cbranch_execz .LBB2_941
.LBB2_1374:                             ;   in Loop: Header=BB2_869 Depth=2
	v_cmp_ne_u16_e32 vcc_lo, 0, v113
	v_mov_b32_e32 v114, 0
	s_and_not1_b32 s11, s11, exec_lo
	s_and_b32 s27, vcc_lo, exec_lo
	s_delay_alu instid0(SALU_CYCLE_1)
	s_or_b32 s11, s11, s27
	s_or_b32 exec_lo, exec_lo, s28
	s_and_saveexec_b32 s27, s11
	s_cbranch_execnz .LBB2_942
	s_branch .LBB2_943
.LBB2_1375:                             ;   in Loop: Header=BB2_869 Depth=2
	s_mov_b32 s11, -1
	s_mov_b32 s29, exec_lo
                                        ; implicit-def: $sgpr27
	v_cmpx_eq_u16_e32 0x80, v113
; %bb.1376:                             ;   in Loop: Header=BB2_869 Depth=2
	s_mov_b32 s27, 0x7f800001
	s_xor_b32 s11, exec_lo, -1
; %bb.1377:                             ;   in Loop: Header=BB2_869 Depth=2
	s_or_b32 exec_lo, exec_lo, s29
	s_delay_alu instid0(SALU_CYCLE_1)
	s_and_b32 s11, s11, exec_lo
                                        ; implicit-def: $vgpr113
	s_or_saveexec_b32 s28, s28
	v_mov_b32_e32 v112, s27
	s_xor_b32 exec_lo, exec_lo, s28
	s_cbranch_execz .LBB2_945
.LBB2_1378:                             ;   in Loop: Header=BB2_869 Depth=2
	v_cmp_ne_u16_e32 vcc_lo, 0, v113
	v_mov_b32_e32 v112, 0
	s_and_not1_b32 s11, s11, exec_lo
	s_and_b32 s27, vcc_lo, exec_lo
	s_delay_alu instid0(SALU_CYCLE_1)
	s_or_b32 s11, s11, s27
	s_or_b32 exec_lo, exec_lo, s28
	s_and_saveexec_b32 s27, s11
	s_cbranch_execnz .LBB2_946
	s_branch .LBB2_947
.LBB2_1379:                             ;   in Loop: Header=BB2_869 Depth=2
	s_mov_b32 s27, -1
	s_mov_b32 s29, exec_lo
                                        ; implicit-def: $sgpr28
	v_cmpx_eq_u16_e32 0x80, v113
; %bb.1380:                             ;   in Loop: Header=BB2_869 Depth=2
	s_mov_b32 s28, 0x7f800001
	s_xor_b32 s27, exec_lo, -1
; %bb.1381:                             ;   in Loop: Header=BB2_869 Depth=2
	s_or_b32 exec_lo, exec_lo, s29
	s_delay_alu instid0(SALU_CYCLE_1)
	s_and_b32 s27, s27, exec_lo
	s_or_saveexec_b32 s11, s11
	v_mov_b32_e32 v114, s28
	s_xor_b32 exec_lo, exec_lo, s11
	s_cbranch_execz .LBB2_959
.LBB2_1382:                             ;   in Loop: Header=BB2_869 Depth=2
	v_cmp_ne_u16_e32 vcc_lo, 0, v113
	v_mov_b32_e32 v114, 0
	s_and_not1_b32 s27, s27, exec_lo
	s_and_b32 s28, vcc_lo, exec_lo
	s_delay_alu instid0(SALU_CYCLE_1)
	s_or_b32 s27, s27, s28
	s_or_b32 exec_lo, exec_lo, s11
	s_and_saveexec_b32 s11, s27
	s_cbranch_execnz .LBB2_960
	s_branch .LBB2_961
.LBB2_1383:                             ;   in Loop: Header=BB2_869 Depth=2
	s_mov_b32 s11, -1
	s_mov_b32 s29, exec_lo
                                        ; implicit-def: $sgpr27
	v_cmpx_eq_u16_e32 0x80, v112
; %bb.1384:                             ;   in Loop: Header=BB2_869 Depth=2
	s_mov_b32 s27, 0x7f800001
	s_xor_b32 s11, exec_lo, -1
; %bb.1385:                             ;   in Loop: Header=BB2_869 Depth=2
	s_or_b32 exec_lo, exec_lo, s29
	s_delay_alu instid0(SALU_CYCLE_1)
	s_and_b32 s11, s11, exec_lo
	s_or_saveexec_b32 s28, s28
	v_mov_b32_e32 v115, s27
	s_xor_b32 exec_lo, exec_lo, s28
	s_cbranch_execz .LBB2_963
.LBB2_1386:                             ;   in Loop: Header=BB2_869 Depth=2
	v_cmp_ne_u16_e32 vcc_lo, 0, v112
	v_mov_b32_e32 v115, 0
	s_and_not1_b32 s11, s11, exec_lo
	s_and_b32 s27, vcc_lo, exec_lo
	s_delay_alu instid0(SALU_CYCLE_1)
	s_or_b32 s11, s11, s27
	s_or_b32 exec_lo, exec_lo, s28
	s_and_saveexec_b32 s27, s11
	s_cbranch_execnz .LBB2_964
	s_branch .LBB2_965
.LBB2_1387:                             ;   in Loop: Header=BB2_869 Depth=2
	s_mov_b32 s11, -1
	s_mov_b32 s29, exec_lo
                                        ; implicit-def: $sgpr27
	v_cmpx_eq_u16_e32 0x80, v113
; %bb.1388:                             ;   in Loop: Header=BB2_869 Depth=2
	s_mov_b32 s27, 0x7f800001
	s_xor_b32 s11, exec_lo, -1
; %bb.1389:                             ;   in Loop: Header=BB2_869 Depth=2
	s_or_b32 exec_lo, exec_lo, s29
	s_delay_alu instid0(SALU_CYCLE_1)
	s_and_b32 s11, s11, exec_lo
	s_or_saveexec_b32 s28, s28
	v_mov_b32_e32 v114, s27
	s_xor_b32 exec_lo, exec_lo, s28
	s_cbranch_execz .LBB2_970
.LBB2_1390:                             ;   in Loop: Header=BB2_869 Depth=2
	v_cmp_ne_u16_e32 vcc_lo, 0, v113
	v_mov_b32_e32 v114, 0
	s_and_not1_b32 s11, s11, exec_lo
	s_and_b32 s27, vcc_lo, exec_lo
	s_delay_alu instid0(SALU_CYCLE_1)
	s_or_b32 s11, s11, s27
	s_or_b32 exec_lo, exec_lo, s28
	s_and_saveexec_b32 s27, s11
	s_cbranch_execnz .LBB2_971
	s_branch .LBB2_972
.LBB2_1391:                             ;   in Loop: Header=BB2_869 Depth=2
	s_mov_b32 s11, -1
	s_mov_b32 s29, exec_lo
                                        ; implicit-def: $sgpr27
	v_cmpx_eq_u16_e32 0x80, v112
; %bb.1392:                             ;   in Loop: Header=BB2_869 Depth=2
	s_mov_b32 s27, 0x7f800001
	s_xor_b32 s11, exec_lo, -1
; %bb.1393:                             ;   in Loop: Header=BB2_869 Depth=2
	s_or_b32 exec_lo, exec_lo, s29
	s_delay_alu instid0(SALU_CYCLE_1)
	s_and_b32 s11, s11, exec_lo
	s_or_saveexec_b32 s28, s28
	v_mov_b32_e32 v14, s27
	s_xor_b32 exec_lo, exec_lo, s28
	s_cbranch_execz .LBB2_974
.LBB2_1394:                             ;   in Loop: Header=BB2_869 Depth=2
	v_cmp_ne_u16_e32 vcc_lo, 0, v112
	v_mov_b32_e32 v14, 0
	s_and_not1_b32 s11, s11, exec_lo
	s_and_b32 s27, vcc_lo, exec_lo
	s_delay_alu instid0(SALU_CYCLE_1)
	s_or_b32 s11, s11, s27
	s_or_b32 exec_lo, exec_lo, s28
	s_and_saveexec_b32 s27, s11
	s_cbranch_execnz .LBB2_975
	s_branch .LBB2_976
.LBB2_1395:                             ;   in Loop: Header=BB2_869 Depth=2
	s_mov_b32 s27, -1
	s_mov_b32 s29, exec_lo
                                        ; implicit-def: $sgpr28
	v_cmpx_eq_u16_e32 0x80, v14
; %bb.1396:                             ;   in Loop: Header=BB2_869 Depth=2
	s_mov_b32 s28, 0x7f800001
	s_xor_b32 s27, exec_lo, -1
; %bb.1397:                             ;   in Loop: Header=BB2_869 Depth=2
	s_or_b32 exec_lo, exec_lo, s29
	s_delay_alu instid0(SALU_CYCLE_1)
	s_and_b32 s27, s27, exec_lo
	s_or_saveexec_b32 s11, s11
	v_mov_b32_e32 v112, s28
	s_xor_b32 exec_lo, exec_lo, s11
	s_cbranch_execz .LBB2_988
.LBB2_1398:                             ;   in Loop: Header=BB2_869 Depth=2
	v_cmp_ne_u16_e32 vcc_lo, 0, v14
	v_mov_b32_e32 v112, 0
	s_and_not1_b32 s27, s27, exec_lo
	s_and_b32 s28, vcc_lo, exec_lo
	s_delay_alu instid0(SALU_CYCLE_1)
	s_or_b32 s27, s27, s28
	s_or_b32 exec_lo, exec_lo, s11
	s_and_saveexec_b32 s11, s27
	s_cbranch_execnz .LBB2_989
	s_branch .LBB2_990
.LBB2_1399:                             ;   in Loop: Header=BB2_869 Depth=2
	s_mov_b32 s11, -1
	s_mov_b32 s29, exec_lo
                                        ; implicit-def: $sgpr27
	v_cmpx_eq_u16_e32 0x80, v114
; %bb.1400:                             ;   in Loop: Header=BB2_869 Depth=2
	s_mov_b32 s27, 0x7f800001
	s_xor_b32 s11, exec_lo, -1
; %bb.1401:                             ;   in Loop: Header=BB2_869 Depth=2
	s_or_b32 exec_lo, exec_lo, s29
	s_delay_alu instid0(SALU_CYCLE_1)
	s_and_b32 s11, s11, exec_lo
                                        ; implicit-def: $vgpr114
	s_or_saveexec_b32 s28, s28
	v_mov_b32_e32 v113, s27
	s_xor_b32 exec_lo, exec_lo, s28
	s_cbranch_execz .LBB2_992
.LBB2_1402:                             ;   in Loop: Header=BB2_869 Depth=2
	v_cmp_ne_u16_e32 vcc_lo, 0, v114
	v_mov_b32_e32 v113, 0
	s_and_not1_b32 s11, s11, exec_lo
	s_and_b32 s27, vcc_lo, exec_lo
	s_delay_alu instid0(SALU_CYCLE_1)
	s_or_b32 s11, s11, s27
	s_or_b32 exec_lo, exec_lo, s28
	s_and_saveexec_b32 s27, s11
	s_cbranch_execnz .LBB2_993
	s_branch .LBB2_994
.LBB2_1403:                             ;   in Loop: Header=BB2_869 Depth=2
	s_mov_b32 s11, -1
	s_mov_b32 s29, exec_lo
                                        ; implicit-def: $sgpr27
	v_cmpx_eq_u16_e32 0x80, v14
; %bb.1404:                             ;   in Loop: Header=BB2_869 Depth=2
	s_mov_b32 s27, 0x7f800001
	s_xor_b32 s11, exec_lo, -1
; %bb.1405:                             ;   in Loop: Header=BB2_869 Depth=2
	s_or_b32 exec_lo, exec_lo, s29
	s_delay_alu instid0(SALU_CYCLE_1)
	s_and_b32 s11, s11, exec_lo
                                        ; implicit-def: $vgpr14
	s_or_saveexec_b32 s28, s28
	v_mov_b32_e32 v112, s27
	s_xor_b32 exec_lo, exec_lo, s28
	s_cbranch_execz .LBB2_999
.LBB2_1406:                             ;   in Loop: Header=BB2_869 Depth=2
	v_cmp_ne_u16_e32 vcc_lo, 0, v14
	v_mov_b32_e32 v112, 0
	s_and_not1_b32 s11, s11, exec_lo
	s_and_b32 s27, vcc_lo, exec_lo
	s_delay_alu instid0(SALU_CYCLE_1)
	s_or_b32 s11, s11, s27
	s_or_b32 exec_lo, exec_lo, s28
	s_and_saveexec_b32 s27, s11
	s_cbranch_execnz .LBB2_1000
	s_branch .LBB2_1001
.LBB2_1407:                             ;   in Loop: Header=BB2_869 Depth=2
	s_mov_b32 s11, -1
	s_mov_b32 s29, exec_lo
                                        ; implicit-def: $sgpr27
	v_cmpx_eq_u16_e32 0x80, v113
; %bb.1408:                             ;   in Loop: Header=BB2_869 Depth=2
	s_mov_b32 s27, 0x7f800001
	s_xor_b32 s11, exec_lo, -1
; %bb.1409:                             ;   in Loop: Header=BB2_869 Depth=2
	s_or_b32 exec_lo, exec_lo, s29
	s_delay_alu instid0(SALU_CYCLE_1)
	s_and_b32 s11, s11, exec_lo
                                        ; implicit-def: $vgpr113
	s_or_saveexec_b32 s28, s28
	v_mov_b32_e32 v14, s27
	s_xor_b32 exec_lo, exec_lo, s28
	s_cbranch_execz .LBB2_1003
.LBB2_1410:                             ;   in Loop: Header=BB2_869 Depth=2
	v_cmp_ne_u16_e32 vcc_lo, 0, v113
	v_mov_b32_e32 v14, 0
	s_and_not1_b32 s11, s11, exec_lo
	s_and_b32 s27, vcc_lo, exec_lo
	s_delay_alu instid0(SALU_CYCLE_1)
	s_or_b32 s11, s11, s27
	s_or_b32 exec_lo, exec_lo, s28
	s_and_saveexec_b32 s27, s11
	s_cbranch_execnz .LBB2_1004
	s_branch .LBB2_1005
.LBB2_1411:                             ;   in Loop: Header=BB2_869 Depth=2
	s_mov_b32 s27, -1
	s_mov_b32 s29, exec_lo
                                        ; implicit-def: $sgpr28
	v_cmpx_eq_u16_e32 0x80, v113
; %bb.1412:                             ;   in Loop: Header=BB2_869 Depth=2
	s_mov_b32 s28, 0x7f800001
	s_xor_b32 s27, exec_lo, -1
; %bb.1413:                             ;   in Loop: Header=BB2_869 Depth=2
	s_or_b32 exec_lo, exec_lo, s29
	s_delay_alu instid0(SALU_CYCLE_1)
	s_and_b32 s27, s27, exec_lo
	s_or_saveexec_b32 s11, s11
	v_mov_b32_e32 v114, s28
	s_xor_b32 exec_lo, exec_lo, s11
	s_cbranch_execz .LBB2_1017
.LBB2_1414:                             ;   in Loop: Header=BB2_869 Depth=2
	v_cmp_ne_u16_e32 vcc_lo, 0, v113
	v_mov_b32_e32 v114, 0
	s_and_not1_b32 s27, s27, exec_lo
	s_and_b32 s28, vcc_lo, exec_lo
	s_delay_alu instid0(SALU_CYCLE_1)
	s_or_b32 s27, s27, s28
	s_or_b32 exec_lo, exec_lo, s11
	s_and_saveexec_b32 s11, s27
	s_cbranch_execnz .LBB2_1018
	s_branch .LBB2_1019
.LBB2_1415:                             ;   in Loop: Header=BB2_869 Depth=2
	s_mov_b32 s11, -1
	s_mov_b32 s29, exec_lo
                                        ; implicit-def: $sgpr27
	v_cmpx_eq_u16_e32 0x80, v112
; %bb.1416:                             ;   in Loop: Header=BB2_869 Depth=2
	s_mov_b32 s27, 0x7f800001
	s_xor_b32 s11, exec_lo, -1
; %bb.1417:                             ;   in Loop: Header=BB2_869 Depth=2
	s_or_b32 exec_lo, exec_lo, s29
	s_delay_alu instid0(SALU_CYCLE_1)
	s_and_b32 s11, s11, exec_lo
	s_or_saveexec_b32 s28, s28
	v_mov_b32_e32 v115, s27
	s_xor_b32 exec_lo, exec_lo, s28
	s_cbranch_execz .LBB2_1021
.LBB2_1418:                             ;   in Loop: Header=BB2_869 Depth=2
	v_cmp_ne_u16_e32 vcc_lo, 0, v112
	v_mov_b32_e32 v115, 0
	s_and_not1_b32 s11, s11, exec_lo
	s_and_b32 s27, vcc_lo, exec_lo
	s_delay_alu instid0(SALU_CYCLE_1)
	s_or_b32 s11, s11, s27
	s_or_b32 exec_lo, exec_lo, s28
	s_and_saveexec_b32 s27, s11
	s_cbranch_execnz .LBB2_1022
	s_branch .LBB2_1023
.LBB2_1419:                             ;   in Loop: Header=BB2_869 Depth=2
	s_mov_b32 s11, -1
	s_mov_b32 s29, exec_lo
                                        ; implicit-def: $sgpr27
	v_cmpx_eq_u16_e32 0x80, v113
; %bb.1420:                             ;   in Loop: Header=BB2_869 Depth=2
	s_mov_b32 s27, 0x7f800001
	s_xor_b32 s11, exec_lo, -1
; %bb.1421:                             ;   in Loop: Header=BB2_869 Depth=2
	s_or_b32 exec_lo, exec_lo, s29
	s_delay_alu instid0(SALU_CYCLE_1)
	s_and_b32 s11, s11, exec_lo
	s_or_saveexec_b32 s28, s28
	v_mov_b32_e32 v114, s27
	s_xor_b32 exec_lo, exec_lo, s28
	s_cbranch_execz .LBB2_1028
.LBB2_1422:                             ;   in Loop: Header=BB2_869 Depth=2
	v_cmp_ne_u16_e32 vcc_lo, 0, v113
	v_mov_b32_e32 v114, 0
	s_and_not1_b32 s11, s11, exec_lo
	s_and_b32 s27, vcc_lo, exec_lo
	s_delay_alu instid0(SALU_CYCLE_1)
	s_or_b32 s11, s11, s27
	s_or_b32 exec_lo, exec_lo, s28
	s_and_saveexec_b32 s27, s11
	s_cbranch_execnz .LBB2_1029
	s_branch .LBB2_1030
.LBB2_1423:                             ;   in Loop: Header=BB2_869 Depth=2
	s_mov_b32 s11, -1
	s_mov_b32 s29, exec_lo
                                        ; implicit-def: $sgpr27
	v_cmpx_eq_u16_e32 0x80, v112
; %bb.1424:                             ;   in Loop: Header=BB2_869 Depth=2
	s_mov_b32 s27, 0x7f800001
	s_xor_b32 s11, exec_lo, -1
; %bb.1425:                             ;   in Loop: Header=BB2_869 Depth=2
	s_or_b32 exec_lo, exec_lo, s29
	s_delay_alu instid0(SALU_CYCLE_1)
	s_and_b32 s11, s11, exec_lo
	s_or_saveexec_b32 s28, s28
	v_mov_b32_e32 v113, s27
	s_xor_b32 exec_lo, exec_lo, s28
	s_cbranch_execz .LBB2_1032
.LBB2_1426:                             ;   in Loop: Header=BB2_869 Depth=2
	v_cmp_ne_u16_e32 vcc_lo, 0, v112
	v_mov_b32_e32 v113, 0
	s_and_not1_b32 s11, s11, exec_lo
	s_and_b32 s27, vcc_lo, exec_lo
	s_delay_alu instid0(SALU_CYCLE_1)
	s_or_b32 s11, s11, s27
	s_or_b32 exec_lo, exec_lo, s28
	s_and_saveexec_b32 s27, s11
	s_cbranch_execnz .LBB2_1033
	s_branch .LBB2_1034
.LBB2_1427:                             ;   in Loop: Header=BB2_869 Depth=2
	s_mov_b32 s27, -1
	s_mov_b32 s29, exec_lo
                                        ; implicit-def: $sgpr28
	v_cmpx_eq_u16_e32 0x80, v115
; %bb.1428:                             ;   in Loop: Header=BB2_869 Depth=2
	s_mov_b32 s28, 0x7f800001
	s_xor_b32 s27, exec_lo, -1
; %bb.1429:                             ;   in Loop: Header=BB2_869 Depth=2
	s_or_b32 exec_lo, exec_lo, s29
	s_delay_alu instid0(SALU_CYCLE_1)
	s_and_b32 s27, s27, exec_lo
	s_or_saveexec_b32 s11, s11
	v_mov_b32_e32 v116, s28
	s_xor_b32 exec_lo, exec_lo, s11
	s_cbranch_execz .LBB2_1046
.LBB2_1430:                             ;   in Loop: Header=BB2_869 Depth=2
	v_cmp_ne_u16_e32 vcc_lo, 0, v115
	v_mov_b32_e32 v116, 0
	s_and_not1_b32 s27, s27, exec_lo
	s_and_b32 s28, vcc_lo, exec_lo
	s_delay_alu instid0(SALU_CYCLE_1)
	s_or_b32 s27, s27, s28
	s_or_b32 exec_lo, exec_lo, s11
	s_and_saveexec_b32 s11, s27
	s_cbranch_execnz .LBB2_1047
	s_branch .LBB2_1048
.LBB2_1431:                             ;   in Loop: Header=BB2_869 Depth=2
	s_mov_b32 s11, -1
	s_mov_b32 s29, exec_lo
                                        ; implicit-def: $sgpr27
	v_cmpx_eq_u16_e32 0x80, v118
; %bb.1432:                             ;   in Loop: Header=BB2_869 Depth=2
	s_mov_b32 s27, 0x7f800001
	s_xor_b32 s11, exec_lo, -1
; %bb.1433:                             ;   in Loop: Header=BB2_869 Depth=2
	s_or_b32 exec_lo, exec_lo, s29
	s_delay_alu instid0(SALU_CYCLE_1)
	s_and_b32 s11, s11, exec_lo
                                        ; implicit-def: $vgpr118
	s_or_saveexec_b32 s28, s28
	v_mov_b32_e32 v117, s27
	s_xor_b32 exec_lo, exec_lo, s28
	s_cbranch_execz .LBB2_1050
.LBB2_1434:                             ;   in Loop: Header=BB2_869 Depth=2
	v_cmp_ne_u16_e32 vcc_lo, 0, v118
	v_mov_b32_e32 v117, 0
	s_and_not1_b32 s11, s11, exec_lo
	s_and_b32 s27, vcc_lo, exec_lo
	s_delay_alu instid0(SALU_CYCLE_1)
	s_or_b32 s11, s11, s27
	s_or_b32 exec_lo, exec_lo, s28
	s_and_saveexec_b32 s27, s11
	s_cbranch_execnz .LBB2_1051
	s_branch .LBB2_1052
.LBB2_1435:                             ;   in Loop: Header=BB2_869 Depth=2
	s_mov_b32 s11, -1
	s_mov_b32 s29, exec_lo
                                        ; implicit-def: $sgpr27
	v_cmpx_eq_u16_e32 0x80, v115
; %bb.1436:                             ;   in Loop: Header=BB2_869 Depth=2
	s_mov_b32 s27, 0x7f800001
	s_xor_b32 s11, exec_lo, -1
; %bb.1437:                             ;   in Loop: Header=BB2_869 Depth=2
	s_or_b32 exec_lo, exec_lo, s29
	s_delay_alu instid0(SALU_CYCLE_1)
	s_and_b32 s11, s11, exec_lo
                                        ; implicit-def: $vgpr115
	s_or_saveexec_b32 s28, s28
	v_mov_b32_e32 v116, s27
	s_xor_b32 exec_lo, exec_lo, s28
	s_cbranch_execz .LBB2_1057
.LBB2_1438:                             ;   in Loop: Header=BB2_869 Depth=2
	v_cmp_ne_u16_e32 vcc_lo, 0, v115
	v_mov_b32_e32 v116, 0
	s_and_not1_b32 s11, s11, exec_lo
	s_and_b32 s27, vcc_lo, exec_lo
	s_delay_alu instid0(SALU_CYCLE_1)
	s_or_b32 s11, s11, s27
	s_or_b32 exec_lo, exec_lo, s28
	s_and_saveexec_b32 s27, s11
	s_cbranch_execnz .LBB2_1058
	s_branch .LBB2_1059
.LBB2_1439:                             ;   in Loop: Header=BB2_869 Depth=2
	s_mov_b32 s11, -1
	s_mov_b32 s29, exec_lo
                                        ; implicit-def: $sgpr27
	v_cmpx_eq_u16_e32 0x80, v115
; %bb.1440:                             ;   in Loop: Header=BB2_869 Depth=2
	s_mov_b32 s27, 0x7f800001
	s_xor_b32 s11, exec_lo, -1
; %bb.1441:                             ;   in Loop: Header=BB2_869 Depth=2
	s_or_b32 exec_lo, exec_lo, s29
	s_delay_alu instid0(SALU_CYCLE_1)
	s_and_b32 s11, s11, exec_lo
                                        ; implicit-def: $vgpr115
	s_or_saveexec_b32 s28, s28
	v_mov_b32_e32 v114, s27
	s_xor_b32 exec_lo, exec_lo, s28
	s_cbranch_execz .LBB2_1061
.LBB2_1442:                             ;   in Loop: Header=BB2_869 Depth=2
	v_cmp_ne_u16_e32 vcc_lo, 0, v115
	v_mov_b32_e32 v114, 0
	s_and_not1_b32 s11, s11, exec_lo
	s_and_b32 s27, vcc_lo, exec_lo
	s_delay_alu instid0(SALU_CYCLE_1)
	s_or_b32 s11, s11, s27
	s_or_b32 exec_lo, exec_lo, s28
	s_and_saveexec_b32 s27, s11
	s_cbranch_execnz .LBB2_1062
	s_branch .LBB2_1063
.LBB2_1443:                             ;   in Loop: Header=BB2_869 Depth=2
	s_mov_b32 s27, -1
	s_mov_b32 s29, exec_lo
                                        ; implicit-def: $sgpr28
	v_cmpx_eq_u16_e32 0x80, v115
; %bb.1444:                             ;   in Loop: Header=BB2_869 Depth=2
	s_mov_b32 s28, 0x7f800001
	s_xor_b32 s27, exec_lo, -1
; %bb.1445:                             ;   in Loop: Header=BB2_869 Depth=2
	s_or_b32 exec_lo, exec_lo, s29
	s_delay_alu instid0(SALU_CYCLE_1)
	s_and_b32 s27, s27, exec_lo
	s_or_saveexec_b32 s11, s11
	v_mov_b32_e32 v116, s28
	s_xor_b32 exec_lo, exec_lo, s11
	s_cbranch_execz .LBB2_1075
.LBB2_1446:                             ;   in Loop: Header=BB2_869 Depth=2
	v_cmp_ne_u16_e32 vcc_lo, 0, v115
	v_mov_b32_e32 v116, 0
	s_and_not1_b32 s27, s27, exec_lo
	s_and_b32 s28, vcc_lo, exec_lo
	s_delay_alu instid0(SALU_CYCLE_1)
	s_or_b32 s27, s27, s28
	s_or_b32 exec_lo, exec_lo, s11
	s_and_saveexec_b32 s11, s27
	s_cbranch_execnz .LBB2_1076
	s_branch .LBB2_1077
.LBB2_1447:                             ;   in Loop: Header=BB2_869 Depth=2
	s_mov_b32 s11, -1
	s_mov_b32 s29, exec_lo
                                        ; implicit-def: $sgpr27
	v_cmpx_eq_u16_e32 0x80, v114
; %bb.1448:                             ;   in Loop: Header=BB2_869 Depth=2
	s_mov_b32 s27, 0x7f800001
	s_xor_b32 s11, exec_lo, -1
; %bb.1449:                             ;   in Loop: Header=BB2_869 Depth=2
	s_or_b32 exec_lo, exec_lo, s29
	s_delay_alu instid0(SALU_CYCLE_1)
	s_and_b32 s11, s11, exec_lo
	s_or_saveexec_b32 s28, s28
	v_mov_b32_e32 v117, s27
	s_xor_b32 exec_lo, exec_lo, s28
	s_cbranch_execz .LBB2_1079
.LBB2_1450:                             ;   in Loop: Header=BB2_869 Depth=2
	v_cmp_ne_u16_e32 vcc_lo, 0, v114
	v_mov_b32_e32 v117, 0
	s_and_not1_b32 s11, s11, exec_lo
	s_and_b32 s27, vcc_lo, exec_lo
	s_delay_alu instid0(SALU_CYCLE_1)
	s_or_b32 s11, s11, s27
	s_or_b32 exec_lo, exec_lo, s28
	s_and_saveexec_b32 s27, s11
	s_cbranch_execnz .LBB2_1080
	s_branch .LBB2_1081
.LBB2_1451:                             ;   in Loop: Header=BB2_869 Depth=2
	s_mov_b32 s11, -1
	s_mov_b32 s29, exec_lo
                                        ; implicit-def: $sgpr27
	v_cmpx_eq_u16_e32 0x80, v115
; %bb.1452:                             ;   in Loop: Header=BB2_869 Depth=2
	s_mov_b32 s27, 0x7f800001
	s_xor_b32 s11, exec_lo, -1
; %bb.1453:                             ;   in Loop: Header=BB2_869 Depth=2
	s_or_b32 exec_lo, exec_lo, s29
	s_delay_alu instid0(SALU_CYCLE_1)
	s_and_b32 s11, s11, exec_lo
	s_or_saveexec_b32 s28, s28
	v_mov_b32_e32 v116, s27
	s_xor_b32 exec_lo, exec_lo, s28
	s_cbranch_execz .LBB2_1086
.LBB2_1454:                             ;   in Loop: Header=BB2_869 Depth=2
	v_cmp_ne_u16_e32 vcc_lo, 0, v115
	v_mov_b32_e32 v116, 0
	s_and_not1_b32 s11, s11, exec_lo
	s_and_b32 s27, vcc_lo, exec_lo
	s_delay_alu instid0(SALU_CYCLE_1)
	s_or_b32 s11, s11, s27
	s_or_b32 exec_lo, exec_lo, s28
	s_and_saveexec_b32 s27, s11
	s_cbranch_execnz .LBB2_1087
	s_branch .LBB2_1088
.LBB2_1455:                             ;   in Loop: Header=BB2_869 Depth=2
	s_mov_b32 s11, -1
	s_mov_b32 s29, exec_lo
                                        ; implicit-def: $sgpr27
	v_cmpx_eq_u16_e32 0x80, v114
; %bb.1456:                             ;   in Loop: Header=BB2_869 Depth=2
	s_mov_b32 s27, 0x7f800001
	s_xor_b32 s11, exec_lo, -1
; %bb.1457:                             ;   in Loop: Header=BB2_869 Depth=2
	s_or_b32 exec_lo, exec_lo, s29
	s_delay_alu instid0(SALU_CYCLE_1)
	s_and_b32 s11, s11, exec_lo
	s_or_saveexec_b32 s28, s28
	v_mov_b32_e32 v15, s27
	s_xor_b32 exec_lo, exec_lo, s28
	s_cbranch_execz .LBB2_1090
.LBB2_1458:                             ;   in Loop: Header=BB2_869 Depth=2
	v_cmp_ne_u16_e32 vcc_lo, 0, v114
	v_mov_b32_e32 v15, 0
	s_and_not1_b32 s11, s11, exec_lo
	s_and_b32 s27, vcc_lo, exec_lo
	s_delay_alu instid0(SALU_CYCLE_1)
	s_or_b32 s11, s11, s27
	s_or_b32 exec_lo, exec_lo, s28
	s_and_saveexec_b32 s27, s11
	s_cbranch_execnz .LBB2_1091
	s_branch .LBB2_1092
.LBB2_1459:                             ;   in Loop: Header=BB2_869 Depth=2
	s_mov_b32 s27, -1
	s_mov_b32 s29, exec_lo
                                        ; implicit-def: $sgpr28
	v_cmpx_eq_u16_e32 0x80, v15
; %bb.1460:                             ;   in Loop: Header=BB2_869 Depth=2
	s_mov_b32 s28, 0x7f800001
	s_xor_b32 s27, exec_lo, -1
; %bb.1461:                             ;   in Loop: Header=BB2_869 Depth=2
	s_or_b32 exec_lo, exec_lo, s29
	s_delay_alu instid0(SALU_CYCLE_1)
	s_and_b32 s27, s27, exec_lo
	s_or_saveexec_b32 s11, s11
	v_mov_b32_e32 v114, s28
	s_xor_b32 exec_lo, exec_lo, s11
	s_cbranch_execz .LBB2_1104
.LBB2_1462:                             ;   in Loop: Header=BB2_869 Depth=2
	v_cmp_ne_u16_e32 vcc_lo, 0, v15
	v_mov_b32_e32 v114, 0
	s_and_not1_b32 s27, s27, exec_lo
	s_and_b32 s28, vcc_lo, exec_lo
	s_delay_alu instid0(SALU_CYCLE_1)
	s_or_b32 s27, s27, s28
	s_or_b32 exec_lo, exec_lo, s11
	s_and_saveexec_b32 s11, s27
	s_cbranch_execnz .LBB2_1105
	s_branch .LBB2_1106
.LBB2_1463:                             ;   in Loop: Header=BB2_869 Depth=2
	s_mov_b32 s11, -1
	s_mov_b32 s29, exec_lo
                                        ; implicit-def: $sgpr27
	v_cmpx_eq_u16_e32 0x80, v116
; %bb.1464:                             ;   in Loop: Header=BB2_869 Depth=2
	s_mov_b32 s27, 0x7f800001
	s_xor_b32 s11, exec_lo, -1
; %bb.1465:                             ;   in Loop: Header=BB2_869 Depth=2
	s_or_b32 exec_lo, exec_lo, s29
	s_delay_alu instid0(SALU_CYCLE_1)
	s_and_b32 s11, s11, exec_lo
                                        ; implicit-def: $vgpr116
	s_or_saveexec_b32 s28, s28
	v_mov_b32_e32 v115, s27
	s_xor_b32 exec_lo, exec_lo, s28
	s_cbranch_execz .LBB2_1108
.LBB2_1466:                             ;   in Loop: Header=BB2_869 Depth=2
	v_cmp_ne_u16_e32 vcc_lo, 0, v116
	v_mov_b32_e32 v115, 0
	s_and_not1_b32 s11, s11, exec_lo
	s_and_b32 s27, vcc_lo, exec_lo
	s_delay_alu instid0(SALU_CYCLE_1)
	s_or_b32 s11, s11, s27
	s_or_b32 exec_lo, exec_lo, s28
	s_and_saveexec_b32 s27, s11
	s_cbranch_execnz .LBB2_1109
	s_branch .LBB2_1110
.LBB2_1467:                             ;   in Loop: Header=BB2_869 Depth=2
	s_mov_b32 s11, -1
	s_mov_b32 s29, exec_lo
                                        ; implicit-def: $sgpr27
	v_cmpx_eq_u16_e32 0x80, v15
; %bb.1468:                             ;   in Loop: Header=BB2_869 Depth=2
	s_mov_b32 s27, 0x7f800001
	s_xor_b32 s11, exec_lo, -1
; %bb.1469:                             ;   in Loop: Header=BB2_869 Depth=2
	s_or_b32 exec_lo, exec_lo, s29
	s_delay_alu instid0(SALU_CYCLE_1)
	s_and_b32 s11, s11, exec_lo
                                        ; implicit-def: $vgpr15
	s_or_saveexec_b32 s28, s28
	v_mov_b32_e32 v114, s27
	s_xor_b32 exec_lo, exec_lo, s28
	s_cbranch_execz .LBB2_1115
.LBB2_1470:                             ;   in Loop: Header=BB2_869 Depth=2
	v_cmp_ne_u16_e32 vcc_lo, 0, v15
	v_mov_b32_e32 v114, 0
	s_and_not1_b32 s11, s11, exec_lo
	s_and_b32 s27, vcc_lo, exec_lo
	s_delay_alu instid0(SALU_CYCLE_1)
	s_or_b32 s11, s11, s27
	s_or_b32 exec_lo, exec_lo, s28
	s_and_saveexec_b32 s27, s11
	s_cbranch_execnz .LBB2_1116
	s_branch .LBB2_1117
.LBB2_1471:                             ;   in Loop: Header=BB2_869 Depth=2
	s_mov_b32 s11, -1
	s_mov_b32 s29, exec_lo
                                        ; implicit-def: $sgpr27
	v_cmpx_eq_u16_e32 0x80, v115
; %bb.1472:                             ;   in Loop: Header=BB2_869 Depth=2
	s_mov_b32 s27, 0x7f800001
	s_xor_b32 s11, exec_lo, -1
; %bb.1473:                             ;   in Loop: Header=BB2_869 Depth=2
	s_or_b32 exec_lo, exec_lo, s29
	s_delay_alu instid0(SALU_CYCLE_1)
	s_and_b32 s11, s11, exec_lo
                                        ; implicit-def: $vgpr115
	s_or_saveexec_b32 s28, s28
	v_mov_b32_e32 v15, s27
	s_xor_b32 exec_lo, exec_lo, s28
	s_cbranch_execz .LBB2_1119
.LBB2_1474:                             ;   in Loop: Header=BB2_869 Depth=2
	v_cmp_ne_u16_e32 vcc_lo, 0, v115
	v_mov_b32_e32 v15, 0
	s_and_not1_b32 s11, s11, exec_lo
	s_and_b32 s27, vcc_lo, exec_lo
	s_delay_alu instid0(SALU_CYCLE_1)
	s_or_b32 s11, s11, s27
	s_or_b32 exec_lo, exec_lo, s28
	s_and_saveexec_b32 s27, s11
	s_cbranch_execnz .LBB2_1120
	s_branch .LBB2_1121
.LBB2_1475:                             ;   in Loop: Header=BB2_869 Depth=2
	s_mov_b32 s27, -1
	s_mov_b32 s29, exec_lo
                                        ; implicit-def: $sgpr28
	v_cmpx_eq_u16_e32 0x80, v115
; %bb.1476:                             ;   in Loop: Header=BB2_869 Depth=2
	s_mov_b32 s28, 0x7f800001
	s_xor_b32 s27, exec_lo, -1
; %bb.1477:                             ;   in Loop: Header=BB2_869 Depth=2
	s_or_b32 exec_lo, exec_lo, s29
	s_delay_alu instid0(SALU_CYCLE_1)
	s_and_b32 s27, s27, exec_lo
	s_or_saveexec_b32 s11, s11
	v_mov_b32_e32 v116, s28
	s_xor_b32 exec_lo, exec_lo, s11
	s_cbranch_execz .LBB2_1133
.LBB2_1478:                             ;   in Loop: Header=BB2_869 Depth=2
	v_cmp_ne_u16_e32 vcc_lo, 0, v115
	v_mov_b32_e32 v116, 0
	s_and_not1_b32 s27, s27, exec_lo
	s_and_b32 s28, vcc_lo, exec_lo
	s_delay_alu instid0(SALU_CYCLE_1)
	s_or_b32 s27, s27, s28
	s_or_b32 exec_lo, exec_lo, s11
	s_and_saveexec_b32 s11, s27
	s_cbranch_execnz .LBB2_1134
	s_branch .LBB2_1135
.LBB2_1479:                             ;   in Loop: Header=BB2_869 Depth=2
	s_mov_b32 s11, -1
	s_mov_b32 s29, exec_lo
                                        ; implicit-def: $sgpr27
	v_cmpx_eq_u16_e32 0x80, v114
; %bb.1480:                             ;   in Loop: Header=BB2_869 Depth=2
	s_mov_b32 s27, 0x7f800001
	s_xor_b32 s11, exec_lo, -1
; %bb.1481:                             ;   in Loop: Header=BB2_869 Depth=2
	s_or_b32 exec_lo, exec_lo, s29
	s_delay_alu instid0(SALU_CYCLE_1)
	s_and_b32 s11, s11, exec_lo
	s_or_saveexec_b32 s28, s28
	v_mov_b32_e32 v117, s27
	s_xor_b32 exec_lo, exec_lo, s28
	s_cbranch_execz .LBB2_1137
.LBB2_1482:                             ;   in Loop: Header=BB2_869 Depth=2
	v_cmp_ne_u16_e32 vcc_lo, 0, v114
	v_mov_b32_e32 v117, 0
	s_and_not1_b32 s11, s11, exec_lo
	s_and_b32 s27, vcc_lo, exec_lo
	s_delay_alu instid0(SALU_CYCLE_1)
	s_or_b32 s11, s11, s27
	s_or_b32 exec_lo, exec_lo, s28
	s_and_saveexec_b32 s27, s11
	s_cbranch_execnz .LBB2_1138
	s_branch .LBB2_1139
.LBB2_1483:                             ;   in Loop: Header=BB2_869 Depth=2
	s_mov_b32 s11, -1
	s_mov_b32 s29, exec_lo
                                        ; implicit-def: $sgpr27
	v_cmpx_eq_u16_e32 0x80, v115
; %bb.1484:                             ;   in Loop: Header=BB2_869 Depth=2
	s_mov_b32 s27, 0x7f800001
	s_xor_b32 s11, exec_lo, -1
; %bb.1485:                             ;   in Loop: Header=BB2_869 Depth=2
	s_or_b32 exec_lo, exec_lo, s29
	s_delay_alu instid0(SALU_CYCLE_1)
	s_and_b32 s11, s11, exec_lo
	s_or_saveexec_b32 s28, s28
	v_mov_b32_e32 v116, s27
	s_xor_b32 exec_lo, exec_lo, s28
	s_cbranch_execz .LBB2_1144
.LBB2_1486:                             ;   in Loop: Header=BB2_869 Depth=2
	v_cmp_ne_u16_e32 vcc_lo, 0, v115
	v_mov_b32_e32 v116, 0
	s_and_not1_b32 s11, s11, exec_lo
	s_and_b32 s27, vcc_lo, exec_lo
	s_delay_alu instid0(SALU_CYCLE_1)
	s_or_b32 s11, s11, s27
	s_or_b32 exec_lo, exec_lo, s28
	s_and_saveexec_b32 s27, s11
	s_cbranch_execnz .LBB2_1145
	s_branch .LBB2_1146
.LBB2_1487:                             ;   in Loop: Header=BB2_869 Depth=2
	s_mov_b32 s11, -1
	s_mov_b32 s29, exec_lo
                                        ; implicit-def: $sgpr27
	v_cmpx_eq_u16_e32 0x80, v114
; %bb.1488:                             ;   in Loop: Header=BB2_869 Depth=2
	s_mov_b32 s27, 0x7f800001
	s_xor_b32 s11, exec_lo, -1
; %bb.1489:                             ;   in Loop: Header=BB2_869 Depth=2
	s_or_b32 exec_lo, exec_lo, s29
	s_delay_alu instid0(SALU_CYCLE_1)
	s_and_b32 s11, s11, exec_lo
	s_or_saveexec_b32 s28, s28
	v_mov_b32_e32 v115, s27
	s_xor_b32 exec_lo, exec_lo, s28
	s_cbranch_execz .LBB2_1148
.LBB2_1490:                             ;   in Loop: Header=BB2_869 Depth=2
	v_cmp_ne_u16_e32 vcc_lo, 0, v114
	v_mov_b32_e32 v115, 0
	s_and_not1_b32 s11, s11, exec_lo
	s_and_b32 s27, vcc_lo, exec_lo
	s_delay_alu instid0(SALU_CYCLE_1)
	s_or_b32 s11, s11, s27
	s_or_b32 exec_lo, exec_lo, s28
	s_and_saveexec_b32 s27, s11
	s_cbranch_execnz .LBB2_1149
	s_branch .LBB2_1150
.LBB2_1491:                             ;   in Loop: Header=BB2_869 Depth=2
	s_mov_b32 s27, -1
	s_mov_b32 s29, exec_lo
                                        ; implicit-def: $sgpr28
	v_cmpx_eq_u16_e32 0x80, v117
; %bb.1492:                             ;   in Loop: Header=BB2_869 Depth=2
	s_mov_b32 s28, 0x7f800001
	s_xor_b32 s27, exec_lo, -1
; %bb.1493:                             ;   in Loop: Header=BB2_869 Depth=2
	s_or_b32 exec_lo, exec_lo, s29
	s_delay_alu instid0(SALU_CYCLE_1)
	s_and_b32 s27, s27, exec_lo
	s_or_saveexec_b32 s11, s11
	v_mov_b32_e32 v118, s28
	s_xor_b32 exec_lo, exec_lo, s11
	s_cbranch_execz .LBB2_1162
.LBB2_1494:                             ;   in Loop: Header=BB2_869 Depth=2
	v_cmp_ne_u16_e32 vcc_lo, 0, v117
	v_mov_b32_e32 v118, 0
	s_and_not1_b32 s27, s27, exec_lo
	s_and_b32 s28, vcc_lo, exec_lo
	s_delay_alu instid0(SALU_CYCLE_1)
	s_or_b32 s27, s27, s28
	s_or_b32 exec_lo, exec_lo, s11
	s_and_saveexec_b32 s11, s27
	s_cbranch_execnz .LBB2_1163
	s_branch .LBB2_1164
.LBB2_1495:                             ;   in Loop: Header=BB2_869 Depth=2
	s_mov_b32 s11, -1
	s_mov_b32 s29, exec_lo
                                        ; implicit-def: $sgpr27
	v_cmpx_eq_u16_e64 0x80, v128
; %bb.1496:                             ;   in Loop: Header=BB2_869 Depth=2
	s_mov_b32 s27, 0x7f800001
	s_xor_b32 s11, exec_lo, -1
; %bb.1497:                             ;   in Loop: Header=BB2_869 Depth=2
	s_or_b32 exec_lo, exec_lo, s29
	s_delay_alu instid0(SALU_CYCLE_1)
	s_and_b32 s11, s11, exec_lo
                                        ; implicit-def: $vgpr128
	s_or_saveexec_b32 s28, s28
	v_mov_b32_e32 v119, s27
	s_xor_b32 exec_lo, exec_lo, s28
	s_cbranch_execz .LBB2_1166
.LBB2_1498:                             ;   in Loop: Header=BB2_869 Depth=2
	v_cmp_ne_u16_e64 vcc_lo, 0, v128
	v_mov_b32_e32 v119, 0
	s_and_not1_b32 s11, s11, exec_lo
	s_delay_alu instid0(VALU_DEP_2) | instskip(NEXT) | instid1(SALU_CYCLE_1)
	s_and_b32 s27, vcc_lo, exec_lo
	s_or_b32 s11, s11, s27
	s_or_b32 exec_lo, exec_lo, s28
	s_and_saveexec_b32 s27, s11
	s_cbranch_execnz .LBB2_1167
	s_branch .LBB2_1168
.LBB2_1499:                             ;   in Loop: Header=BB2_869 Depth=2
	s_mov_b32 s11, -1
	s_mov_b32 s29, exec_lo
                                        ; implicit-def: $sgpr27
	v_cmpx_eq_u16_e32 0x80, v117
; %bb.1500:                             ;   in Loop: Header=BB2_869 Depth=2
	s_mov_b32 s27, 0x7f800001
	s_xor_b32 s11, exec_lo, -1
; %bb.1501:                             ;   in Loop: Header=BB2_869 Depth=2
	s_or_b32 exec_lo, exec_lo, s29
	s_delay_alu instid0(SALU_CYCLE_1)
	s_and_b32 s11, s11, exec_lo
                                        ; implicit-def: $vgpr117
	s_or_saveexec_b32 s28, s28
	v_mov_b32_e32 v118, s27
	s_xor_b32 exec_lo, exec_lo, s28
	s_cbranch_execz .LBB2_1173
.LBB2_1502:                             ;   in Loop: Header=BB2_869 Depth=2
	v_cmp_ne_u16_e32 vcc_lo, 0, v117
	v_mov_b32_e32 v118, 0
	s_and_not1_b32 s11, s11, exec_lo
	s_and_b32 s27, vcc_lo, exec_lo
	s_delay_alu instid0(SALU_CYCLE_1)
	s_or_b32 s11, s11, s27
	s_or_b32 exec_lo, exec_lo, s28
	s_and_saveexec_b32 s27, s11
	s_cbranch_execnz .LBB2_1174
	s_branch .LBB2_1175
.LBB2_1503:                             ;   in Loop: Header=BB2_869 Depth=2
	s_mov_b32 s11, -1
	s_mov_b32 s29, exec_lo
                                        ; implicit-def: $sgpr27
	v_cmpx_eq_u16_e32 0x80, v117
; %bb.1504:                             ;   in Loop: Header=BB2_869 Depth=2
	s_mov_b32 s27, 0x7f800001
	s_xor_b32 s11, exec_lo, -1
; %bb.1505:                             ;   in Loop: Header=BB2_869 Depth=2
	s_or_b32 exec_lo, exec_lo, s29
	s_delay_alu instid0(SALU_CYCLE_1)
	s_and_b32 s11, s11, exec_lo
                                        ; implicit-def: $vgpr117
	s_or_saveexec_b32 s28, s28
	v_mov_b32_e32 v116, s27
	s_xor_b32 exec_lo, exec_lo, s28
	s_cbranch_execz .LBB2_1177
.LBB2_1506:                             ;   in Loop: Header=BB2_869 Depth=2
	v_cmp_ne_u16_e32 vcc_lo, 0, v117
	v_mov_b32_e32 v116, 0
	s_and_not1_b32 s11, s11, exec_lo
	s_and_b32 s27, vcc_lo, exec_lo
	s_delay_alu instid0(SALU_CYCLE_1)
	s_or_b32 s11, s11, s27
	s_or_b32 exec_lo, exec_lo, s28
	s_and_saveexec_b32 s27, s11
	s_cbranch_execnz .LBB2_1178
	s_branch .LBB2_1179
.LBB2_1507:                             ;   in Loop: Header=BB2_869 Depth=2
	s_mov_b32 s27, -1
	s_mov_b32 s29, exec_lo
                                        ; implicit-def: $sgpr28
	v_cmpx_eq_u16_e32 0x80, v117
; %bb.1508:                             ;   in Loop: Header=BB2_869 Depth=2
	s_mov_b32 s28, 0x7f800001
	s_xor_b32 s27, exec_lo, -1
; %bb.1509:                             ;   in Loop: Header=BB2_869 Depth=2
	s_or_b32 exec_lo, exec_lo, s29
	s_delay_alu instid0(SALU_CYCLE_1)
	s_and_b32 s27, s27, exec_lo
	s_or_saveexec_b32 s11, s11
	v_mov_b32_e32 v118, s28
	s_xor_b32 exec_lo, exec_lo, s11
	s_cbranch_execz .LBB2_1191
.LBB2_1510:                             ;   in Loop: Header=BB2_869 Depth=2
	v_cmp_ne_u16_e32 vcc_lo, 0, v117
	v_mov_b32_e32 v118, 0
	s_and_not1_b32 s27, s27, exec_lo
	s_and_b32 s28, vcc_lo, exec_lo
	s_delay_alu instid0(SALU_CYCLE_1)
	s_or_b32 s27, s27, s28
	s_or_b32 exec_lo, exec_lo, s11
	s_and_saveexec_b32 s11, s27
	s_cbranch_execnz .LBB2_1192
	s_branch .LBB2_1193
.LBB2_1511:                             ;   in Loop: Header=BB2_869 Depth=2
	s_mov_b32 s11, -1
	s_mov_b32 s29, exec_lo
                                        ; implicit-def: $sgpr27
	v_cmpx_eq_u16_e32 0x80, v116
; %bb.1512:                             ;   in Loop: Header=BB2_869 Depth=2
	s_mov_b32 s27, 0x7f800001
	s_xor_b32 s11, exec_lo, -1
; %bb.1513:                             ;   in Loop: Header=BB2_869 Depth=2
	s_or_b32 exec_lo, exec_lo, s29
	s_delay_alu instid0(SALU_CYCLE_1)
	s_and_b32 s11, s11, exec_lo
	s_or_saveexec_b32 s28, s28
	v_mov_b32_e32 v119, s27
	s_xor_b32 exec_lo, exec_lo, s28
	s_cbranch_execz .LBB2_1195
.LBB2_1514:                             ;   in Loop: Header=BB2_869 Depth=2
	v_cmp_ne_u16_e32 vcc_lo, 0, v116
	v_mov_b32_e32 v119, 0
	s_and_not1_b32 s11, s11, exec_lo
	s_and_b32 s27, vcc_lo, exec_lo
	s_delay_alu instid0(SALU_CYCLE_1)
	s_or_b32 s11, s11, s27
	s_or_b32 exec_lo, exec_lo, s28
	s_and_saveexec_b32 s27, s11
	s_cbranch_execnz .LBB2_1196
	s_branch .LBB2_1197
.LBB2_1515:                             ;   in Loop: Header=BB2_869 Depth=2
	s_mov_b32 s11, -1
	s_mov_b32 s29, exec_lo
                                        ; implicit-def: $sgpr27
	v_cmpx_eq_u16_e32 0x80, v117
; %bb.1516:                             ;   in Loop: Header=BB2_869 Depth=2
	s_mov_b32 s27, 0x7f800001
	s_xor_b32 s11, exec_lo, -1
; %bb.1517:                             ;   in Loop: Header=BB2_869 Depth=2
	s_or_b32 exec_lo, exec_lo, s29
	s_delay_alu instid0(SALU_CYCLE_1)
	s_and_b32 s11, s11, exec_lo
	s_or_saveexec_b32 s28, s28
	v_mov_b32_e32 v118, s27
	s_xor_b32 exec_lo, exec_lo, s28
	s_cbranch_execz .LBB2_1202
.LBB2_1518:                             ;   in Loop: Header=BB2_869 Depth=2
	v_cmp_ne_u16_e32 vcc_lo, 0, v117
	v_mov_b32_e32 v118, 0
	s_and_not1_b32 s11, s11, exec_lo
	s_and_b32 s27, vcc_lo, exec_lo
	s_delay_alu instid0(SALU_CYCLE_1)
	s_or_b32 s11, s11, s27
	s_or_b32 exec_lo, exec_lo, s28
	s_and_saveexec_b32 s27, s11
	s_cbranch_execnz .LBB2_1203
	s_branch .LBB2_1204
.LBB2_1519:                             ;   in Loop: Header=BB2_869 Depth=2
	s_mov_b32 s11, -1
	s_mov_b32 s29, exec_lo
                                        ; implicit-def: $sgpr27
	v_cmpx_eq_u16_e32 0x80, v116
; %bb.1520:                             ;   in Loop: Header=BB2_869 Depth=2
	s_mov_b32 s27, 0x7f800001
	s_xor_b32 s11, exec_lo, -1
; %bb.1521:                             ;   in Loop: Header=BB2_869 Depth=2
	s_or_b32 exec_lo, exec_lo, s29
	s_delay_alu instid0(SALU_CYCLE_1)
	s_and_b32 s11, s11, exec_lo
	s_or_saveexec_b32 s28, s28
	v_mov_b32_e32 v16, s27
	s_xor_b32 exec_lo, exec_lo, s28
	s_cbranch_execz .LBB2_1206
.LBB2_1522:                             ;   in Loop: Header=BB2_869 Depth=2
	v_cmp_ne_u16_e32 vcc_lo, 0, v116
	v_mov_b32_e32 v16, 0
	s_and_not1_b32 s11, s11, exec_lo
	s_and_b32 s27, vcc_lo, exec_lo
	s_delay_alu instid0(SALU_CYCLE_1)
	s_or_b32 s11, s11, s27
	s_or_b32 exec_lo, exec_lo, s28
	s_and_saveexec_b32 s27, s11
	s_cbranch_execnz .LBB2_1207
	s_branch .LBB2_1208
.LBB2_1523:                             ;   in Loop: Header=BB2_869 Depth=2
	s_mov_b32 s27, -1
	s_mov_b32 s29, exec_lo
                                        ; implicit-def: $sgpr28
	v_cmpx_eq_u16_e32 0x80, v16
; %bb.1524:                             ;   in Loop: Header=BB2_869 Depth=2
	s_mov_b32 s28, 0x7f800001
	s_xor_b32 s27, exec_lo, -1
; %bb.1525:                             ;   in Loop: Header=BB2_869 Depth=2
	s_or_b32 exec_lo, exec_lo, s29
	s_delay_alu instid0(SALU_CYCLE_1)
	s_and_b32 s27, s27, exec_lo
	s_or_saveexec_b32 s11, s11
	v_mov_b32_e32 v116, s28
	s_xor_b32 exec_lo, exec_lo, s11
	s_cbranch_execz .LBB2_1220
.LBB2_1526:                             ;   in Loop: Header=BB2_869 Depth=2
	v_cmp_ne_u16_e32 vcc_lo, 0, v16
	v_mov_b32_e32 v116, 0
	s_and_not1_b32 s27, s27, exec_lo
	s_and_b32 s28, vcc_lo, exec_lo
	s_delay_alu instid0(SALU_CYCLE_1)
	s_or_b32 s27, s27, s28
	s_or_b32 exec_lo, exec_lo, s11
	s_and_saveexec_b32 s11, s27
	s_cbranch_execnz .LBB2_1221
	s_branch .LBB2_1222
.LBB2_1527:                             ;   in Loop: Header=BB2_869 Depth=2
	s_mov_b32 s11, -1
	s_mov_b32 s29, exec_lo
                                        ; implicit-def: $sgpr27
	v_cmpx_eq_u16_e32 0x80, v118
; %bb.1528:                             ;   in Loop: Header=BB2_869 Depth=2
	s_mov_b32 s27, 0x7f800001
	s_xor_b32 s11, exec_lo, -1
; %bb.1529:                             ;   in Loop: Header=BB2_869 Depth=2
	s_or_b32 exec_lo, exec_lo, s29
	s_delay_alu instid0(SALU_CYCLE_1)
	s_and_b32 s11, s11, exec_lo
                                        ; implicit-def: $vgpr118
	s_or_saveexec_b32 s28, s28
	v_mov_b32_e32 v117, s27
	s_xor_b32 exec_lo, exec_lo, s28
	s_cbranch_execz .LBB2_1224
.LBB2_1530:                             ;   in Loop: Header=BB2_869 Depth=2
	v_cmp_ne_u16_e32 vcc_lo, 0, v118
	v_mov_b32_e32 v117, 0
	s_and_not1_b32 s11, s11, exec_lo
	s_and_b32 s27, vcc_lo, exec_lo
	s_delay_alu instid0(SALU_CYCLE_1)
	s_or_b32 s11, s11, s27
	s_or_b32 exec_lo, exec_lo, s28
	s_and_saveexec_b32 s27, s11
	s_cbranch_execnz .LBB2_1225
	s_branch .LBB2_1226
.LBB2_1531:                             ;   in Loop: Header=BB2_869 Depth=2
	s_mov_b32 s11, -1
	s_mov_b32 s29, exec_lo
                                        ; implicit-def: $sgpr27
	v_cmpx_eq_u16_e32 0x80, v16
; %bb.1532:                             ;   in Loop: Header=BB2_869 Depth=2
	s_mov_b32 s27, 0x7f800001
	s_xor_b32 s11, exec_lo, -1
; %bb.1533:                             ;   in Loop: Header=BB2_869 Depth=2
	s_or_b32 exec_lo, exec_lo, s29
	s_delay_alu instid0(SALU_CYCLE_1)
	s_and_b32 s11, s11, exec_lo
                                        ; implicit-def: $vgpr16
	s_or_saveexec_b32 s28, s28
	v_mov_b32_e32 v116, s27
	s_xor_b32 exec_lo, exec_lo, s28
	s_cbranch_execz .LBB2_1231
.LBB2_1534:                             ;   in Loop: Header=BB2_869 Depth=2
	v_cmp_ne_u16_e32 vcc_lo, 0, v16
	v_mov_b32_e32 v116, 0
	s_and_not1_b32 s11, s11, exec_lo
	s_and_b32 s27, vcc_lo, exec_lo
	s_delay_alu instid0(SALU_CYCLE_1)
	s_or_b32 s11, s11, s27
	s_or_b32 exec_lo, exec_lo, s28
	s_and_saveexec_b32 s27, s11
	s_cbranch_execnz .LBB2_1232
	s_branch .LBB2_1233
.LBB2_1535:                             ;   in Loop: Header=BB2_869 Depth=2
	s_mov_b32 s11, -1
	s_mov_b32 s29, exec_lo
                                        ; implicit-def: $sgpr27
	v_cmpx_eq_u16_e32 0x80, v117
; %bb.1536:                             ;   in Loop: Header=BB2_869 Depth=2
	s_mov_b32 s27, 0x7f800001
	s_xor_b32 s11, exec_lo, -1
; %bb.1537:                             ;   in Loop: Header=BB2_869 Depth=2
	s_or_b32 exec_lo, exec_lo, s29
	s_delay_alu instid0(SALU_CYCLE_1)
	s_and_b32 s11, s11, exec_lo
                                        ; implicit-def: $vgpr117
	s_or_saveexec_b32 s28, s28
	v_mov_b32_e32 v16, s27
	s_xor_b32 exec_lo, exec_lo, s28
	s_cbranch_execz .LBB2_1235
.LBB2_1538:                             ;   in Loop: Header=BB2_869 Depth=2
	v_cmp_ne_u16_e32 vcc_lo, 0, v117
	v_mov_b32_e32 v16, 0
	s_and_not1_b32 s11, s11, exec_lo
	s_and_b32 s27, vcc_lo, exec_lo
	s_delay_alu instid0(SALU_CYCLE_1)
	s_or_b32 s11, s11, s27
	s_or_b32 exec_lo, exec_lo, s28
	s_and_saveexec_b32 s27, s11
	s_cbranch_execnz .LBB2_1236
	s_branch .LBB2_1237
.LBB2_1539:                             ;   in Loop: Header=BB2_869 Depth=2
	s_mov_b32 s27, -1
	s_mov_b32 s29, exec_lo
                                        ; implicit-def: $sgpr28
	v_cmpx_eq_u16_e32 0x80, v117
; %bb.1540:                             ;   in Loop: Header=BB2_869 Depth=2
	s_mov_b32 s28, 0x7f800001
	s_xor_b32 s27, exec_lo, -1
; %bb.1541:                             ;   in Loop: Header=BB2_869 Depth=2
	s_or_b32 exec_lo, exec_lo, s29
	s_delay_alu instid0(SALU_CYCLE_1)
	s_and_b32 s27, s27, exec_lo
	s_or_saveexec_b32 s11, s11
	v_mov_b32_e32 v118, s28
	s_xor_b32 exec_lo, exec_lo, s11
	s_cbranch_execz .LBB2_1249
.LBB2_1542:                             ;   in Loop: Header=BB2_869 Depth=2
	v_cmp_ne_u16_e32 vcc_lo, 0, v117
	v_mov_b32_e32 v118, 0
	s_and_not1_b32 s27, s27, exec_lo
	s_and_b32 s28, vcc_lo, exec_lo
	s_delay_alu instid0(SALU_CYCLE_1)
	s_or_b32 s27, s27, s28
	s_or_b32 exec_lo, exec_lo, s11
	s_and_saveexec_b32 s11, s27
	s_cbranch_execnz .LBB2_1250
	s_branch .LBB2_1251
.LBB2_1543:                             ;   in Loop: Header=BB2_869 Depth=2
	s_mov_b32 s11, -1
	s_mov_b32 s29, exec_lo
                                        ; implicit-def: $sgpr27
	v_cmpx_eq_u16_e32 0x80, v116
; %bb.1544:                             ;   in Loop: Header=BB2_869 Depth=2
	s_mov_b32 s27, 0x7f800001
	s_xor_b32 s11, exec_lo, -1
; %bb.1545:                             ;   in Loop: Header=BB2_869 Depth=2
	s_or_b32 exec_lo, exec_lo, s29
	s_delay_alu instid0(SALU_CYCLE_1)
	s_and_b32 s11, s11, exec_lo
	s_or_saveexec_b32 s28, s28
	v_mov_b32_e32 v119, s27
	s_xor_b32 exec_lo, exec_lo, s28
	s_cbranch_execz .LBB2_1253
.LBB2_1546:                             ;   in Loop: Header=BB2_869 Depth=2
	v_cmp_ne_u16_e32 vcc_lo, 0, v116
	v_mov_b32_e32 v119, 0
	s_and_not1_b32 s11, s11, exec_lo
	s_and_b32 s27, vcc_lo, exec_lo
	s_delay_alu instid0(SALU_CYCLE_1)
	s_or_b32 s11, s11, s27
	s_or_b32 exec_lo, exec_lo, s28
	s_and_saveexec_b32 s27, s11
	s_cbranch_execnz .LBB2_1254
	s_branch .LBB2_1255
.LBB2_1547:                             ;   in Loop: Header=BB2_869 Depth=2
	s_mov_b32 s11, -1
	s_mov_b32 s29, exec_lo
                                        ; implicit-def: $sgpr27
	v_cmpx_eq_u16_e32 0x80, v117
; %bb.1548:                             ;   in Loop: Header=BB2_869 Depth=2
	s_mov_b32 s27, 0x7f800001
	s_xor_b32 s11, exec_lo, -1
; %bb.1549:                             ;   in Loop: Header=BB2_869 Depth=2
	s_or_b32 exec_lo, exec_lo, s29
	s_delay_alu instid0(SALU_CYCLE_1)
	s_and_b32 s11, s11, exec_lo
	s_or_saveexec_b32 s28, s28
	v_mov_b32_e32 v118, s27
	s_xor_b32 exec_lo, exec_lo, s28
	s_cbranch_execz .LBB2_1260
.LBB2_1550:                             ;   in Loop: Header=BB2_869 Depth=2
	v_cmp_ne_u16_e32 vcc_lo, 0, v117
	v_mov_b32_e32 v118, 0
	s_and_not1_b32 s11, s11, exec_lo
	s_and_b32 s27, vcc_lo, exec_lo
	s_delay_alu instid0(SALU_CYCLE_1)
	s_or_b32 s11, s11, s27
	s_or_b32 exec_lo, exec_lo, s28
	s_and_saveexec_b32 s27, s11
	s_cbranch_execnz .LBB2_1261
	s_branch .LBB2_1262
.LBB2_1551:                             ;   in Loop: Header=BB2_869 Depth=2
	s_mov_b32 s11, -1
	s_mov_b32 s29, exec_lo
                                        ; implicit-def: $sgpr27
	v_cmpx_eq_u16_e32 0x80, v116
; %bb.1552:                             ;   in Loop: Header=BB2_869 Depth=2
	s_mov_b32 s27, 0x7f800001
	s_xor_b32 s11, exec_lo, -1
; %bb.1553:                             ;   in Loop: Header=BB2_869 Depth=2
	s_or_b32 exec_lo, exec_lo, s29
	s_delay_alu instid0(SALU_CYCLE_1)
	s_and_b32 s11, s11, exec_lo
	s_or_saveexec_b32 s28, s28
	v_mov_b32_e32 v117, s27
	s_xor_b32 exec_lo, exec_lo, s28
	s_cbranch_execz .LBB2_1264
.LBB2_1554:                             ;   in Loop: Header=BB2_869 Depth=2
	v_cmp_ne_u16_e32 vcc_lo, 0, v116
	v_mov_b32_e32 v117, 0
	s_and_not1_b32 s11, s11, exec_lo
	s_and_b32 s27, vcc_lo, exec_lo
	s_delay_alu instid0(SALU_CYCLE_1)
	s_or_b32 s11, s11, s27
	s_or_b32 exec_lo, exec_lo, s28
	s_and_saveexec_b32 s27, s11
	s_cbranch_execnz .LBB2_1265
	s_branch .LBB2_1266
.LBB2_1555:                             ;   in Loop: Header=BB2_869 Depth=2
	s_mov_b32 s27, -1
	s_mov_b32 s29, exec_lo
                                        ; implicit-def: $sgpr28
	v_cmpx_eq_u16_e32 0x80, v119
; %bb.1556:                             ;   in Loop: Header=BB2_869 Depth=2
	s_mov_b32 s28, 0x7f800001
	s_xor_b32 s27, exec_lo, -1
; %bb.1557:                             ;   in Loop: Header=BB2_869 Depth=2
	s_or_b32 exec_lo, exec_lo, s29
	s_delay_alu instid0(SALU_CYCLE_1)
	s_and_b32 s27, s27, exec_lo
	s_or_saveexec_b32 s11, s11
	v_mov_b32_e32 v128, s28
	s_xor_b32 exec_lo, exec_lo, s11
	s_cbranch_execz .LBB2_1278
.LBB2_1558:                             ;   in Loop: Header=BB2_869 Depth=2
	v_cmp_ne_u16_e32 vcc_lo, 0, v119
	v_mov_b32_e32 v128, 0
	s_and_not1_b32 s27, s27, exec_lo
	s_and_b32 s28, vcc_lo, exec_lo
	s_delay_alu instid0(SALU_CYCLE_1)
	s_or_b32 s27, s27, s28
	s_or_b32 exec_lo, exec_lo, s11
	s_and_saveexec_b32 s11, s27
	s_cbranch_execnz .LBB2_1279
	s_branch .LBB2_1280
.LBB2_1559:                             ;   in Loop: Header=BB2_869 Depth=2
	s_mov_b32 s11, -1
	s_mov_b32 s29, exec_lo
                                        ; implicit-def: $sgpr27
	v_cmpx_eq_u16_e64 0x80, v130
; %bb.1560:                             ;   in Loop: Header=BB2_869 Depth=2
	s_mov_b32 s27, 0x7f800001
	s_xor_b32 s11, exec_lo, -1
; %bb.1561:                             ;   in Loop: Header=BB2_869 Depth=2
	s_or_b32 exec_lo, exec_lo, s29
	s_delay_alu instid0(SALU_CYCLE_1)
	s_and_b32 s11, s11, exec_lo
                                        ; implicit-def: $vgpr130
	s_or_saveexec_b32 s28, s28
	v_mov_b32_e32 v129, s27
	s_xor_b32 exec_lo, exec_lo, s28
	s_cbranch_execz .LBB2_1282
.LBB2_1562:                             ;   in Loop: Header=BB2_869 Depth=2
	v_cmp_ne_u16_e64 vcc_lo, 0, v130
	v_mov_b32_e32 v129, 0
	s_and_not1_b32 s11, s11, exec_lo
	s_delay_alu instid0(VALU_DEP_2) | instskip(NEXT) | instid1(SALU_CYCLE_1)
	s_and_b32 s27, vcc_lo, exec_lo
	s_or_b32 s11, s11, s27
	s_or_b32 exec_lo, exec_lo, s28
	s_and_saveexec_b32 s27, s11
	s_cbranch_execnz .LBB2_1283
	s_branch .LBB2_1284
.LBB2_1563:                             ;   in Loop: Header=BB2_869 Depth=2
	s_mov_b32 s11, -1
	s_mov_b32 s29, exec_lo
                                        ; implicit-def: $sgpr27
	v_cmpx_eq_u16_e32 0x80, v119
; %bb.1564:                             ;   in Loop: Header=BB2_869 Depth=2
	s_mov_b32 s27, 0x7f800001
	s_xor_b32 s11, exec_lo, -1
; %bb.1565:                             ;   in Loop: Header=BB2_869 Depth=2
	s_or_b32 exec_lo, exec_lo, s29
	s_delay_alu instid0(SALU_CYCLE_1)
	s_and_b32 s11, s11, exec_lo
                                        ; implicit-def: $vgpr119
	s_or_saveexec_b32 s28, s28
	v_mov_b32_e32 v128, s27
	s_xor_b32 exec_lo, exec_lo, s28
	s_cbranch_execz .LBB2_1289
.LBB2_1566:                             ;   in Loop: Header=BB2_869 Depth=2
	v_cmp_ne_u16_e32 vcc_lo, 0, v119
	v_mov_b32_e32 v128, 0
	s_and_not1_b32 s11, s11, exec_lo
	s_and_b32 s27, vcc_lo, exec_lo
	s_delay_alu instid0(SALU_CYCLE_1)
	s_or_b32 s11, s11, s27
	s_or_b32 exec_lo, exec_lo, s28
	s_and_saveexec_b32 s27, s11
	s_cbranch_execnz .LBB2_1290
	s_branch .LBB2_1291
.LBB2_1567:                             ;   in Loop: Header=BB2_869 Depth=2
	s_mov_b32 s11, -1
	s_mov_b32 s29, exec_lo
                                        ; implicit-def: $sgpr27
	v_cmpx_eq_u16_e32 0x80, v119
; %bb.1568:                             ;   in Loop: Header=BB2_869 Depth=2
	s_mov_b32 s27, 0x7f800001
	s_xor_b32 s11, exec_lo, -1
; %bb.1569:                             ;   in Loop: Header=BB2_869 Depth=2
	s_or_b32 exec_lo, exec_lo, s29
	s_delay_alu instid0(SALU_CYCLE_1)
	s_and_b32 s11, s11, exec_lo
                                        ; implicit-def: $vgpr119
	s_or_saveexec_b32 s28, s28
	v_mov_b32_e32 v118, s27
	s_xor_b32 exec_lo, exec_lo, s28
	s_cbranch_execz .LBB2_1293
.LBB2_1570:                             ;   in Loop: Header=BB2_869 Depth=2
	v_cmp_ne_u16_e32 vcc_lo, 0, v119
	v_mov_b32_e32 v118, 0
	s_and_not1_b32 s11, s11, exec_lo
	s_and_b32 s27, vcc_lo, exec_lo
	s_delay_alu instid0(SALU_CYCLE_1)
	s_or_b32 s11, s11, s27
	s_or_b32 exec_lo, exec_lo, s28
	s_and_saveexec_b32 s27, s11
	s_cbranch_execnz .LBB2_1294
	s_branch .LBB2_1295
.LBB2_1571:                             ;   in Loop: Header=BB2_869 Depth=2
	s_mov_b32 s27, -1
	s_mov_b32 s29, exec_lo
                                        ; implicit-def: $sgpr28
	v_cmpx_eq_u16_e32 0x80, v119
; %bb.1572:                             ;   in Loop: Header=BB2_869 Depth=2
	s_mov_b32 s28, 0x7f800001
	s_xor_b32 s27, exec_lo, -1
; %bb.1573:                             ;   in Loop: Header=BB2_869 Depth=2
	s_or_b32 exec_lo, exec_lo, s29
	s_delay_alu instid0(SALU_CYCLE_1)
	s_and_b32 s27, s27, exec_lo
	s_or_saveexec_b32 s11, s11
	v_mov_b32_e32 v128, s28
	s_xor_b32 exec_lo, exec_lo, s11
	s_cbranch_execz .LBB2_1307
.LBB2_1574:                             ;   in Loop: Header=BB2_869 Depth=2
	v_cmp_ne_u16_e32 vcc_lo, 0, v119
	v_mov_b32_e32 v128, 0
	s_and_not1_b32 s27, s27, exec_lo
	s_and_b32 s28, vcc_lo, exec_lo
	s_delay_alu instid0(SALU_CYCLE_1)
	s_or_b32 s27, s27, s28
	s_or_b32 exec_lo, exec_lo, s11
	s_and_saveexec_b32 s11, s27
	s_cbranch_execnz .LBB2_1308
	s_branch .LBB2_1309
.LBB2_1575:                             ;   in Loop: Header=BB2_869 Depth=2
	s_mov_b32 s11, -1
	s_mov_b32 s29, exec_lo
                                        ; implicit-def: $sgpr27
	v_cmpx_eq_u16_e32 0x80, v118
; %bb.1576:                             ;   in Loop: Header=BB2_869 Depth=2
	s_mov_b32 s27, 0x7f800001
	s_xor_b32 s11, exec_lo, -1
; %bb.1577:                             ;   in Loop: Header=BB2_869 Depth=2
	s_or_b32 exec_lo, exec_lo, s29
	s_delay_alu instid0(SALU_CYCLE_1)
	s_and_b32 s11, s11, exec_lo
	s_or_saveexec_b32 s28, s28
	v_mov_b32_e32 v129, s27
	s_xor_b32 exec_lo, exec_lo, s28
	s_cbranch_execz .LBB2_1311
.LBB2_1578:                             ;   in Loop: Header=BB2_869 Depth=2
	v_cmp_ne_u16_e32 vcc_lo, 0, v118
	v_mov_b32_e32 v129, 0
	s_and_not1_b32 s11, s11, exec_lo
	s_and_b32 s27, vcc_lo, exec_lo
	s_delay_alu instid0(SALU_CYCLE_1)
	s_or_b32 s11, s11, s27
	s_or_b32 exec_lo, exec_lo, s28
	s_and_saveexec_b32 s27, s11
	s_cbranch_execnz .LBB2_1312
	s_branch .LBB2_1313
.LBB2_1579:                             ;   in Loop: Header=BB2_869 Depth=2
	s_mov_b32 s11, -1
	s_mov_b32 s29, exec_lo
                                        ; implicit-def: $sgpr27
	v_cmpx_eq_u16_e32 0x80, v119
; %bb.1580:                             ;   in Loop: Header=BB2_869 Depth=2
	s_mov_b32 s27, 0x7f800001
	s_xor_b32 s11, exec_lo, -1
; %bb.1581:                             ;   in Loop: Header=BB2_869 Depth=2
	s_or_b32 exec_lo, exec_lo, s29
	s_delay_alu instid0(SALU_CYCLE_1)
	s_and_b32 s11, s11, exec_lo
	s_or_saveexec_b32 s28, s28
	v_mov_b32_e32 v128, s27
	s_xor_b32 exec_lo, exec_lo, s28
	s_cbranch_execz .LBB2_1318
.LBB2_1582:                             ;   in Loop: Header=BB2_869 Depth=2
	v_cmp_ne_u16_e32 vcc_lo, 0, v119
	v_mov_b32_e32 v128, 0
	s_and_not1_b32 s11, s11, exec_lo
	s_and_b32 s27, vcc_lo, exec_lo
	s_delay_alu instid0(SALU_CYCLE_1)
	s_or_b32 s11, s11, s27
	s_or_b32 exec_lo, exec_lo, s28
	s_and_saveexec_b32 s27, s11
	s_cbranch_execnz .LBB2_1319
	s_branch .LBB2_1320
.LBB2_1583:                             ;   in Loop: Header=BB2_869 Depth=2
	s_mov_b32 s11, -1
	s_mov_b32 s29, exec_lo
                                        ; implicit-def: $sgpr27
	v_cmpx_eq_u16_e32 0x80, v118
; %bb.1584:                             ;   in Loop: Header=BB2_869 Depth=2
	s_mov_b32 s27, 0x7f800001
	s_xor_b32 s11, exec_lo, -1
; %bb.1585:                             ;   in Loop: Header=BB2_869 Depth=2
	s_or_b32 exec_lo, exec_lo, s29
	s_delay_alu instid0(SALU_CYCLE_1)
	s_and_b32 s11, s11, exec_lo
	s_or_saveexec_b32 s28, s28
	v_mov_b32_e32 v17, s27
	s_xor_b32 exec_lo, exec_lo, s28
	s_cbranch_execz .LBB2_1322
.LBB2_1586:                             ;   in Loop: Header=BB2_869 Depth=2
	v_cmp_ne_u16_e32 vcc_lo, 0, v118
	v_mov_b32_e32 v17, 0
	s_and_not1_b32 s11, s11, exec_lo
	s_and_b32 s27, vcc_lo, exec_lo
	s_delay_alu instid0(SALU_CYCLE_1)
	s_or_b32 s11, s11, s27
	s_or_b32 exec_lo, exec_lo, s28
	s_and_saveexec_b32 s27, s11
	s_cbranch_execnz .LBB2_1323
	s_branch .LBB2_1324
.LBB2_1587:                             ;   in Loop: Header=BB2_53 Depth=1
	s_or_b32 exec_lo, exec_lo, s25
.LBB2_1588:                             ;   in Loop: Header=BB2_53 Depth=1
	s_delay_alu instid0(SALU_CYCLE_1) | instskip(SKIP_3) | instid1(VALU_DEP_1)
	s_or_b32 exec_lo, exec_lo, s24
	v_cmp_lt_i32_e32 vcc_lo, 0, v98
	s_mov_b32 s24, exec_lo
	v_cndmask_b32_e32 v10, 0, v67, vcc_lo
	v_sub_nc_u32_e32 v10, v10, v98
	s_delay_alu instid0(VALU_DEP_1)
	v_lshl_add_u32 v16, v10, 5, v99
.LBB2_1589:                             ;   in Loop: Header=BB2_53 Depth=1
	s_or_b32 exec_lo, exec_lo, s12
.LBB2_1590:                             ;   in Loop: Header=BB2_53 Depth=1
	s_and_saveexec_b32 s12, s24
	s_cbranch_execz .LBB2_2006
; %bb.1591:                             ;   in Loop: Header=BB2_53 Depth=1
	s_delay_alu instid0(VALU_DEP_1) | instskip(SKIP_2) | instid1(VALU_DEP_2)
	v_ashrrev_i32_e32 v10, 31, v16
	v_lshrrev_b32_e32 v11, 8, v97
	s_mov_b32 s24, exec_lo
	v_lshrrev_b32_e32 v10, 27, v10
	s_delay_alu instid0(VALU_DEP_1) | instskip(NEXT) | instid1(VALU_DEP_1)
	v_add_nc_u32_e32 v10, v16, v10
	v_ashrrev_i32_e32 v17, 5, v10
	s_delay_alu instid0(VALU_DEP_1) | instskip(NEXT) | instid1(VALU_DEP_1)
	v_sub_nc_u32_e32 v50, v11, v17
	v_cmpx_lt_i32_e32 0, v50
	s_cbranch_execz .LBB2_1956
; %bb.1592:                             ;   in Loop: Header=BB2_53 Depth=1
	s_cbranch_execnz .LBB2_4571
; %bb.1593:                             ;   in Loop: Header=BB2_53 Depth=1
	ds_load_b128 v[11:14], v0
	s_waitcnt vmcnt(0)
	ds_load_b64 v[51:52], v0
	v_and_b32_e32 v10, 0xffffffe0, v10
	v_lshlrev_b32_e32 v15, 8, v17
	s_bitcmp1_b32 s23, 0
	s_mov_b32 s26, 0
	s_cselect_b32 s25, -1, 0
	v_sub_nc_u32_e32 v10, v16, v10
	s_delay_alu instid0(VALU_DEP_1) | instskip(NEXT) | instid1(VALU_DEP_1)
	v_add3_u32 v15, v96, v10, v15
	v_ashrrev_i32_e32 v53, 31, v15
	s_waitcnt lgkmcnt(1)
	v_add_co_u32 v10, vcc_lo, v11, v15
	s_delay_alu instid0(VALU_DEP_2)
	v_add_co_ci_u32_e32 v11, vcc_lo, v12, v53, vcc_lo
	s_waitcnt lgkmcnt(0)
	v_add_co_u32 v51, vcc_lo, 0xe0, v51
	v_add_co_ci_u32_e32 v52, vcc_lo, 0, v52, vcc_lo
	v_add_co_u32 v12, vcc_lo, v13, v15
	v_add_co_ci_u32_e32 v13, vcc_lo, v14, v53, vcc_lo
	s_delay_alu instid0(VALU_DEP_4) | instskip(NEXT) | instid1(VALU_DEP_4)
	v_add_co_u32 v14, vcc_lo, v51, v15
	v_add_co_ci_u32_e32 v15, vcc_lo, v52, v53, vcc_lo
	s_branch .LBB2_1597
.LBB2_1594:                             ;   in Loop: Header=BB2_1597 Depth=2
	s_or_b32 exec_lo, exec_lo, s11
	s_delay_alu instid0(VALU_DEP_1) | instskip(NEXT) | instid1(VALU_DEP_2)
	v_lshrrev_b32_e32 v52, 20, v52
	v_cmp_gt_i32_e32 vcc_lo, 16, v51
	v_lshrrev_b32_e32 v55, 24, v55
	v_min_i32_e32 v100, 15, v51
	s_delay_alu instid0(VALU_DEP_2) | instskip(NEXT) | instid1(VALU_DEP_2)
	v_dual_cndmask_b32 v52, 7, v52 :: v_dual_and_b32 v55, 0x80, v55
	v_lshlrev_b32_e32 v100, 3, v100
	s_delay_alu instid0(VALU_DEP_2) | instskip(SKIP_1) | instid1(VALU_DEP_2)
	v_and_b32_e32 v103, 7, v52
	v_or_b32_e32 v51, v51, v52
	v_or3_b32 v52, v100, v55, v103
	s_delay_alu instid0(VALU_DEP_2) | instskip(NEXT) | instid1(VALU_DEP_2)
	v_cmp_ne_u32_e32 vcc_lo, 0, v51
	v_cndmask_b32_e32 v51, 0, v52, vcc_lo
.LBB2_1595:                             ;   in Loop: Header=BB2_1597 Depth=2
	s_or_b32 exec_lo, exec_lo, s28
.LBB2_1596:                             ;   in Loop: Header=BB2_1597 Depth=2
	s_delay_alu instid0(SALU_CYCLE_1)
	s_or_b32 exec_lo, exec_lo, s27
	v_add_co_u32 v113, vcc_lo, 0xffffff20, v14
	v_add_co_ci_u32_e32 v114, vcc_lo, -1, v15, vcc_lo
	v_add_co_u32 v115, vcc_lo, 0xffffff40, v14
	v_add_co_ci_u32_e32 v116, vcc_lo, -1, v15, vcc_lo
	v_add_co_u32 v52, vcc_lo, 0xffffff60, v14
	flat_store_b8 v[113:114], v53 glc slc dlc
	flat_store_b8 v[115:116], v98 glc slc dlc
	v_add_co_ci_u32_e32 v53, vcc_lo, -1, v15, vcc_lo
	v_add_co_u32 v113, vcc_lo, 0xffffff80, v14
	v_add_co_ci_u32_e32 v114, vcc_lo, -1, v15, vcc_lo
	v_add_co_u32 v115, vcc_lo, 0xffffffa0, v14
	;; [unrolled: 2-line block ×5, first 2 shown]
	v_sub_nc_u32_e32 v50, v50, v67
	v_add_co_ci_u32_e32 v11, vcc_lo, v11, v85, vcc_lo
	v_add_co_u32 v12, vcc_lo, v12, v84
	v_add_co_ci_u32_e32 v13, vcc_lo, v13, v85, vcc_lo
	flat_store_b8 v[52:53], v101 glc slc dlc
	flat_store_b8 v[113:114], v112 glc slc dlc
	;; [unrolled: 1-line block ×6, first 2 shown]
	v_cmp_gt_i32_e32 vcc_lo, 1, v50
	v_add_co_u32 v14, s11, v14, v84
	s_delay_alu instid0(VALU_DEP_1) | instskip(SKIP_1) | instid1(SALU_CYCLE_1)
	v_add_co_ci_u32_e64 v15, s11, v15, v85, s11
	s_or_b32 s26, vcc_lo, s26
	s_and_not1_b32 exec_lo, exec_lo, s26
	s_cbranch_execz .LBB2_1955
.LBB2_1597:                             ;   Parent Loop BB2_53 Depth=1
                                        ; =>  This Inner Loop Header: Depth=2
	s_clause 0x7
	flat_load_u8 v116, v[10:11] slc dlc
	flat_load_u8 v115, v[10:11] offset:32 slc dlc
	flat_load_u8 v114, v[10:11] offset:64 slc dlc
	;; [unrolled: 1-line block ×7, first 2 shown]
	s_clause 0x7
	flat_load_u8 v53, v[12:13] slc dlc
	flat_load_u8 v98, v[12:13] offset:32 slc dlc
	flat_load_u8 v101, v[12:13] offset:64 slc dlc
	;; [unrolled: 1-line block ×7, first 2 shown]
	s_and_b32 vcc_lo, exec_lo, s25
	s_cbranch_vccz .LBB2_1607
; %bb.1598:                             ;   in Loop: Header=BB2_1597 Depth=2
	s_waitcnt vmcnt(15) lgkmcnt(15)
	v_and_b32_e32 v118, 0xff, v116
	s_mov_b32 s11, 0
	s_mov_b32 s28, exec_lo
                                        ; implicit-def: $sgpr27
	s_delay_alu instid0(VALU_DEP_1)
	v_cmpx_lt_i16_e32 0x7f, v118
	s_xor_b32 s28, exec_lo, s28
	s_cbranch_execnz .LBB2_1827
; %bb.1599:                             ;   in Loop: Header=BB2_1597 Depth=2
	s_or_saveexec_b32 s28, s28
	v_mov_b32_e32 v117, s27
	s_xor_b32 exec_lo, exec_lo, s28
	s_cbranch_execnz .LBB2_1830
.LBB2_1600:                             ;   in Loop: Header=BB2_1597 Depth=2
	s_or_b32 exec_lo, exec_lo, s28
	s_and_saveexec_b32 s27, s11
	s_cbranch_execz .LBB2_1602
.LBB2_1601:                             ;   in Loop: Header=BB2_1597 Depth=2
	v_lshrrev_b16 v128, 3, v116
	v_lshlrev_b32_e32 v129, 24, v116
	s_delay_alu instid0(VALU_DEP_2) | instskip(NEXT) | instid1(VALU_DEP_1)
	v_and_b32_e32 v128, 15, v128
	v_cmp_eq_u32_e32 vcc_lo, 0, v128
	v_and_b32_e32 v117, 7, v116
	s_delay_alu instid0(VALU_DEP_1) | instskip(NEXT) | instid1(VALU_DEP_1)
	v_clz_i32_u32_e32 v118, v117
	v_min_u32_e32 v118, 32, v118
	s_delay_alu instid0(VALU_DEP_1) | instskip(SKIP_1) | instid1(VALU_DEP_1)
	v_subrev_nc_u32_e32 v119, 28, v118
	v_sub_nc_u32_e32 v118, 29, v118
	v_dual_cndmask_b32 v118, v128, v118 :: v_dual_lshlrev_b32 v119, v119, v116
	s_delay_alu instid0(VALU_DEP_1) | instskip(NEXT) | instid1(VALU_DEP_2)
	v_and_b32_e32 v119, 7, v119
	v_lshl_add_u32 v118, v118, 23, 0x3b800000
	s_delay_alu instid0(VALU_DEP_2) | instskip(SKIP_1) | instid1(VALU_DEP_2)
	v_cndmask_b32_e32 v117, v117, v119, vcc_lo
	v_and_b32_e32 v119, 0x80000000, v129
	v_lshlrev_b32_e32 v117, 20, v117
	s_delay_alu instid0(VALU_DEP_1)
	v_or3_b32 v117, v119, v118, v117
.LBB2_1602:                             ;   in Loop: Header=BB2_1597 Depth=2
	s_or_b32 exec_lo, exec_lo, s27
	s_waitcnt vmcnt(7) lgkmcnt(7)
	v_and_b32_e32 v119, 0xff, v53
	s_mov_b32 s11, 0
	s_mov_b32 s28, exec_lo
                                        ; implicit-def: $sgpr27
	s_delay_alu instid0(VALU_DEP_1)
	v_cmpx_lt_i16_e32 0x7f, v119
	s_xor_b32 s28, exec_lo, s28
	s_cbranch_execnz .LBB2_1831
; %bb.1603:                             ;   in Loop: Header=BB2_1597 Depth=2
	s_or_saveexec_b32 s28, s28
	v_mov_b32_e32 v118, s27
	s_xor_b32 exec_lo, exec_lo, s28
	s_cbranch_execnz .LBB2_1834
.LBB2_1604:                             ;   in Loop: Header=BB2_1597 Depth=2
	s_or_b32 exec_lo, exec_lo, s28
	s_and_saveexec_b32 s27, s11
	s_cbranch_execz .LBB2_1606
.LBB2_1605:                             ;   in Loop: Header=BB2_1597 Depth=2
	v_lshrrev_b16 v129, 3, v53
	v_lshlrev_b32_e32 v130, 24, v53
	s_delay_alu instid0(VALU_DEP_2) | instskip(NEXT) | instid1(VALU_DEP_1)
	v_and_b32_e32 v129, 15, v129
	v_cmp_eq_u32_e32 vcc_lo, 0, v129
	v_and_b32_e32 v118, 7, v53
	s_delay_alu instid0(VALU_DEP_1) | instskip(NEXT) | instid1(VALU_DEP_1)
	v_clz_i32_u32_e32 v119, v118
	v_min_u32_e32 v119, 32, v119
	s_delay_alu instid0(VALU_DEP_1) | instskip(SKIP_1) | instid1(VALU_DEP_1)
	v_subrev_nc_u32_e32 v128, 28, v119
	v_sub_nc_u32_e32 v119, 29, v119
	v_dual_cndmask_b32 v119, v129, v119 :: v_dual_lshlrev_b32 v128, v128, v53
	s_delay_alu instid0(VALU_DEP_1) | instskip(NEXT) | instid1(VALU_DEP_2)
	v_and_b32_e32 v128, 7, v128
	v_lshl_add_u32 v119, v119, 23, 0x3b800000
	s_delay_alu instid0(VALU_DEP_2) | instskip(SKIP_1) | instid1(VALU_DEP_2)
	v_cndmask_b32_e32 v118, v118, v128, vcc_lo
	v_and_b32_e32 v128, 0x80000000, v130
	v_lshlrev_b32_e32 v118, 20, v118
	s_delay_alu instid0(VALU_DEP_1)
	v_or3_b32 v118, v128, v119, v118
.LBB2_1606:                             ;   in Loop: Header=BB2_1597 Depth=2
	s_or_b32 exec_lo, exec_lo, s27
	s_delay_alu instid0(VALU_DEP_1) | instskip(SKIP_1) | instid1(VALU_DEP_1)
	v_dual_max_f32 v118, v118, v118 :: v_dual_max_f32 v117, v117, v117
	s_mov_b32 s11, 0
	v_max_f32_e32 v117, v117, v118
	s_branch .LBB2_1608
.LBB2_1607:                             ;   in Loop: Header=BB2_1597 Depth=2
	s_mov_b32 s11, -1
                                        ; implicit-def: $vgpr117
.LBB2_1608:                             ;   in Loop: Header=BB2_1597 Depth=2
	s_delay_alu instid0(SALU_CYCLE_1)
	s_and_b32 vcc_lo, exec_lo, s11
	s_cbranch_vccz .LBB2_1618
; %bb.1609:                             ;   in Loop: Header=BB2_1597 Depth=2
	s_waitcnt vmcnt(15) lgkmcnt(15)
	v_and_b32_e32 v118, 0xff, v116
	s_mov_b32 s11, 0
	s_mov_b32 s28, exec_lo
                                        ; implicit-def: $sgpr27
	s_delay_alu instid0(VALU_DEP_1)
	v_cmpx_lt_i16_e32 0x7f, v118
	s_xor_b32 s28, exec_lo, s28
	s_cbranch_execnz .LBB2_1835
; %bb.1610:                             ;   in Loop: Header=BB2_1597 Depth=2
	s_or_saveexec_b32 s28, s28
	v_mov_b32_e32 v117, s27
	s_xor_b32 exec_lo, exec_lo, s28
	s_cbranch_execnz .LBB2_1838
.LBB2_1611:                             ;   in Loop: Header=BB2_1597 Depth=2
	s_or_b32 exec_lo, exec_lo, s28
	s_and_saveexec_b32 s27, s11
	s_cbranch_execz .LBB2_1613
.LBB2_1612:                             ;   in Loop: Header=BB2_1597 Depth=2
	v_lshrrev_b16 v128, 3, v116
	s_delay_alu instid0(VALU_DEP_1) | instskip(NEXT) | instid1(VALU_DEP_1)
	v_and_b32_e32 v128, 15, v128
	v_cmp_eq_u32_e32 vcc_lo, 0, v128
	v_and_b32_e32 v117, 7, v116
	s_delay_alu instid0(VALU_DEP_1) | instskip(NEXT) | instid1(VALU_DEP_1)
	v_clz_i32_u32_e32 v118, v117
	v_min_u32_e32 v118, 32, v118
	s_delay_alu instid0(VALU_DEP_1) | instskip(SKIP_1) | instid1(VALU_DEP_1)
	v_subrev_nc_u32_e32 v119, 28, v118
	v_sub_nc_u32_e32 v118, 29, v118
	v_dual_cndmask_b32 v118, v128, v118 :: v_dual_lshlrev_b32 v119, v119, v116
	v_lshlrev_b32_e32 v116, 24, v116
	s_delay_alu instid0(VALU_DEP_2) | instskip(NEXT) | instid1(VALU_DEP_3)
	v_and_b32_e32 v119, 7, v119
	v_lshl_add_u32 v118, v118, 23, 0x3b800000
	s_delay_alu instid0(VALU_DEP_2) | instskip(NEXT) | instid1(VALU_DEP_1)
	v_dual_cndmask_b32 v117, v117, v119 :: v_dual_and_b32 v116, 0x80000000, v116
	v_lshlrev_b32_e32 v117, 20, v117
	s_delay_alu instid0(VALU_DEP_1)
	v_or3_b32 v117, v116, v118, v117
.LBB2_1613:                             ;   in Loop: Header=BB2_1597 Depth=2
	s_or_b32 exec_lo, exec_lo, s27
	s_waitcnt vmcnt(7) lgkmcnt(7)
	v_and_b32_e32 v118, 0xff, v53
	s_mov_b32 s11, 0
	s_mov_b32 s28, exec_lo
                                        ; implicit-def: $sgpr27
	s_delay_alu instid0(VALU_DEP_1)
	v_cmpx_lt_i16_e32 0x7f, v118
	s_xor_b32 s28, exec_lo, s28
	s_cbranch_execnz .LBB2_1839
; %bb.1614:                             ;   in Loop: Header=BB2_1597 Depth=2
	s_or_saveexec_b32 s28, s28
	v_mov_b32_e32 v116, s27
	s_xor_b32 exec_lo, exec_lo, s28
	s_cbranch_execnz .LBB2_1842
.LBB2_1615:                             ;   in Loop: Header=BB2_1597 Depth=2
	s_or_b32 exec_lo, exec_lo, s28
	s_and_saveexec_b32 s27, s11
	s_cbranch_execz .LBB2_1617
.LBB2_1616:                             ;   in Loop: Header=BB2_1597 Depth=2
	v_and_b32_e32 v116, 7, v53
	v_lshrrev_b16 v128, 3, v53
	s_delay_alu instid0(VALU_DEP_2) | instskip(NEXT) | instid1(VALU_DEP_2)
	v_clz_i32_u32_e32 v118, v116
	v_and_b32_e32 v128, 15, v128
	s_delay_alu instid0(VALU_DEP_2) | instskip(NEXT) | instid1(VALU_DEP_2)
	v_min_u32_e32 v118, 32, v118
	v_cmp_eq_u32_e32 vcc_lo, 0, v128
	s_delay_alu instid0(VALU_DEP_2) | instskip(SKIP_1) | instid1(VALU_DEP_1)
	v_subrev_nc_u32_e32 v119, 28, v118
	v_sub_nc_u32_e32 v118, 29, v118
	v_dual_cndmask_b32 v118, v128, v118 :: v_dual_lshlrev_b32 v119, v119, v53
	s_delay_alu instid0(VALU_DEP_1) | instskip(SKIP_1) | instid1(VALU_DEP_3)
	v_and_b32_e32 v119, 7, v119
	v_lshlrev_b32_e32 v53, 24, v53
	v_lshl_add_u32 v118, v118, 23, 0x3b800000
	s_delay_alu instid0(VALU_DEP_2) | instskip(NEXT) | instid1(VALU_DEP_1)
	v_dual_cndmask_b32 v116, v116, v119 :: v_dual_and_b32 v53, 0x80000000, v53
	v_lshlrev_b32_e32 v116, 20, v116
	s_delay_alu instid0(VALU_DEP_1)
	v_or3_b32 v116, v53, v118, v116
.LBB2_1617:                             ;   in Loop: Header=BB2_1597 Depth=2
	s_or_b32 exec_lo, exec_lo, s27
	s_delay_alu instid0(VALU_DEP_1) | instskip(NEXT) | instid1(VALU_DEP_1)
	v_dual_max_f32 v53, v116, v116 :: v_dual_max_f32 v116, v117, v117
	v_min_f32_e32 v117, v116, v53
.LBB2_1618:                             ;   in Loop: Header=BB2_1597 Depth=2
	s_waitcnt vmcnt(7) lgkmcnt(7)
	s_delay_alu instid0(VALU_DEP_1) | instskip(NEXT) | instid1(VALU_DEP_1)
	v_and_b32_e32 v53, 0x7f800000, v117
	v_cmp_ne_u32_e32 vcc_lo, 0x7f800000, v53
	v_mov_b32_e32 v53, 0x80
	s_and_saveexec_b32 s27, vcc_lo
	s_cbranch_execz .LBB2_1626
; %bb.1619:                             ;   in Loop: Header=BB2_1597 Depth=2
	v_mov_b32_e32 v53, 0
	s_mov_b32 s28, exec_lo
	v_cmpx_ne_u32_e32 0, v117
	s_cbranch_execz .LBB2_1625
; %bb.1620:                             ;   in Loop: Header=BB2_1597 Depth=2
	v_bfe_u32 v53, v117, 23, 8
	v_and_b32_e32 v116, 0x7fffff, v117
	s_delay_alu instid0(VALU_DEP_2) | instskip(SKIP_1) | instid1(VALU_DEP_3)
	v_sub_nc_u32_e32 v118, 0x78, v53
	v_cmp_gt_u32_e32 vcc_lo, 0x79, v53
	v_or_b32_e32 v119, 0x800000, v116
	s_delay_alu instid0(VALU_DEP_3) | instskip(SKIP_2) | instid1(VALU_DEP_3)
	v_cndmask_b32_e32 v118, 0, v118, vcc_lo
	v_cmp_eq_u32_e32 vcc_lo, 0, v53
	v_add_nc_u32_e32 v53, 0xffffff89, v53
	v_cndmask_b32_e64 v118, v118, 0x77, vcc_lo
	v_cndmask_b32_e32 v116, v119, v116, vcc_lo
	s_delay_alu instid0(VALU_DEP_3) | instskip(NEXT) | instid1(VALU_DEP_3)
	v_cndmask_b32_e64 v53, v53, 0xffffff8a, vcc_lo
	v_lshl_add_u32 v119, 0x100000, v118, -1
	s_delay_alu instid0(VALU_DEP_3) | instskip(SKIP_1) | instid1(VALU_DEP_4)
	v_lshrrev_b32_e32 v128, v118, v116
	v_lshlrev_b32_e64 v130, v118, 0x80000
	v_add_nc_u32_e32 v118, v118, v53
	s_delay_alu instid0(VALU_DEP_4) | instskip(NEXT) | instid1(VALU_DEP_4)
	v_and_b32_e32 v116, v119, v116
	v_bfe_u32 v129, v128, 20, 1
	s_delay_alu instid0(VALU_DEP_2) | instskip(NEXT) | instid1(VALU_DEP_2)
	v_cmp_eq_u32_e64 s11, v116, v130
	v_add_nc_u32_e32 v119, -1, v129
	s_delay_alu instid0(VALU_DEP_1) | instskip(SKIP_2) | instid1(VALU_DEP_2)
	v_cndmask_b32_e64 v116, 0, v119, s11
	v_lshrrev_b32_e32 v119, 23, v128
	s_mov_b32 s11, exec_lo
	v_add_nc_u32_e32 v116, v116, v128
	s_delay_alu instid0(VALU_DEP_2) | instskip(NEXT) | instid1(VALU_DEP_2)
	v_xor_b32_e32 v119, 1, v119
	v_and_b32_e32 v53, 0xfffff, v116
	s_delay_alu instid0(VALU_DEP_1) | instskip(NEXT) | instid1(VALU_DEP_3)
	v_add_nc_u32_e32 v116, v53, v128
                                        ; implicit-def: $vgpr53
	v_cmpx_ne_u32_e64 v118, v119
	s_xor_b32 s11, exec_lo, s11
; %bb.1621:                             ;   in Loop: Header=BB2_1597 Depth=2
	s_delay_alu instid0(VALU_DEP_2) | instskip(SKIP_2) | instid1(VALU_DEP_2)
	v_cmp_lt_u32_e32 vcc_lo, 0xffffff, v116
	v_sub_nc_u32_e32 v53, v118, v119
	v_cndmask_b32_e64 v118, 0, 1, vcc_lo
	v_add_co_ci_u32_e32 v53, vcc_lo, 0, v53, vcc_lo
	s_delay_alu instid0(VALU_DEP_2)
	v_lshrrev_b32_e32 v116, v118, v116
; %bb.1622:                             ;   in Loop: Header=BB2_1597 Depth=2
	s_and_not1_saveexec_b32 s11, s11
; %bb.1623:                             ;   in Loop: Header=BB2_1597 Depth=2
	s_delay_alu instid0(VALU_DEP_1)
	v_bfe_u32 v53, v116, 23, 1
; %bb.1624:                             ;   in Loop: Header=BB2_1597 Depth=2
	s_or_b32 exec_lo, exec_lo, s11
	v_lshrrev_b32_e32 v116, 20, v116
	s_delay_alu instid0(VALU_DEP_2) | instskip(SKIP_2) | instid1(VALU_DEP_2)
	v_cmp_gt_i32_e32 vcc_lo, 16, v53
	v_lshrrev_b32_e32 v117, 24, v117
	v_min_i32_e32 v118, 15, v53
	v_dual_cndmask_b32 v116, 7, v116 :: v_dual_and_b32 v117, 0x80, v117
	s_delay_alu instid0(VALU_DEP_1) | instskip(SKIP_1) | instid1(VALU_DEP_2)
	v_or_b32_e32 v53, v53, v116
	v_and_b32_e32 v119, 7, v116
	v_cmp_ne_u32_e32 vcc_lo, 0, v53
	v_lshlrev_b32_e32 v118, 3, v118
	s_delay_alu instid0(VALU_DEP_1) | instskip(NEXT) | instid1(VALU_DEP_1)
	v_or3_b32 v116, v118, v117, v119
	v_cndmask_b32_e32 v53, 0, v116, vcc_lo
.LBB2_1625:                             ;   in Loop: Header=BB2_1597 Depth=2
	s_or_b32 exec_lo, exec_lo, s28
.LBB2_1626:                             ;   in Loop: Header=BB2_1597 Depth=2
	s_delay_alu instid0(SALU_CYCLE_1) | instskip(NEXT) | instid1(SALU_CYCLE_1)
	s_or_b32 exec_lo, exec_lo, s27
	s_and_not1_b32 vcc_lo, exec_lo, s25
	s_cbranch_vccnz .LBB2_1636
; %bb.1627:                             ;   in Loop: Header=BB2_1597 Depth=2
	v_and_b32_e32 v117, 0xff, v115
	s_mov_b32 s11, 0
	s_mov_b32 s28, exec_lo
                                        ; implicit-def: $sgpr27
	s_delay_alu instid0(VALU_DEP_1)
	v_cmpx_lt_i16_e32 0x7f, v117
	s_xor_b32 s28, exec_lo, s28
	s_cbranch_execnz .LBB2_1843
; %bb.1628:                             ;   in Loop: Header=BB2_1597 Depth=2
	s_or_saveexec_b32 s28, s28
	v_mov_b32_e32 v116, s27
	s_xor_b32 exec_lo, exec_lo, s28
	s_cbranch_execnz .LBB2_1846
.LBB2_1629:                             ;   in Loop: Header=BB2_1597 Depth=2
	s_or_b32 exec_lo, exec_lo, s28
	s_and_saveexec_b32 s27, s11
	s_cbranch_execz .LBB2_1631
.LBB2_1630:                             ;   in Loop: Header=BB2_1597 Depth=2
	v_lshrrev_b16 v119, 3, v115
	v_lshlrev_b32_e32 v128, 24, v115
	s_delay_alu instid0(VALU_DEP_2) | instskip(NEXT) | instid1(VALU_DEP_1)
	v_and_b32_e32 v119, 15, v119
	v_cmp_eq_u32_e32 vcc_lo, 0, v119
	v_and_b32_e32 v116, 7, v115
	s_delay_alu instid0(VALU_DEP_1) | instskip(NEXT) | instid1(VALU_DEP_1)
	v_clz_i32_u32_e32 v117, v116
	v_min_u32_e32 v117, 32, v117
	s_delay_alu instid0(VALU_DEP_1) | instskip(SKIP_1) | instid1(VALU_DEP_1)
	v_subrev_nc_u32_e32 v118, 28, v117
	v_sub_nc_u32_e32 v117, 29, v117
	v_dual_cndmask_b32 v117, v119, v117 :: v_dual_lshlrev_b32 v118, v118, v115
	s_delay_alu instid0(VALU_DEP_1) | instskip(NEXT) | instid1(VALU_DEP_2)
	v_and_b32_e32 v118, 7, v118
	v_lshl_add_u32 v117, v117, 23, 0x3b800000
	s_delay_alu instid0(VALU_DEP_2) | instskip(SKIP_1) | instid1(VALU_DEP_2)
	v_cndmask_b32_e32 v116, v116, v118, vcc_lo
	v_and_b32_e32 v118, 0x80000000, v128
	v_lshlrev_b32_e32 v116, 20, v116
	s_delay_alu instid0(VALU_DEP_1)
	v_or3_b32 v116, v118, v117, v116
.LBB2_1631:                             ;   in Loop: Header=BB2_1597 Depth=2
	s_or_b32 exec_lo, exec_lo, s27
	s_waitcnt vmcnt(6) lgkmcnt(6)
	v_and_b32_e32 v118, 0xff, v98
	s_mov_b32 s11, 0
	s_mov_b32 s28, exec_lo
                                        ; implicit-def: $sgpr27
	s_delay_alu instid0(VALU_DEP_1)
	v_cmpx_lt_i16_e32 0x7f, v118
	s_xor_b32 s28, exec_lo, s28
	s_cbranch_execnz .LBB2_1847
; %bb.1632:                             ;   in Loop: Header=BB2_1597 Depth=2
	s_or_saveexec_b32 s28, s28
	v_mov_b32_e32 v117, s27
	s_xor_b32 exec_lo, exec_lo, s28
	s_cbranch_execnz .LBB2_1850
.LBB2_1633:                             ;   in Loop: Header=BB2_1597 Depth=2
	s_or_b32 exec_lo, exec_lo, s28
	s_and_saveexec_b32 s27, s11
	s_cbranch_execz .LBB2_1635
.LBB2_1634:                             ;   in Loop: Header=BB2_1597 Depth=2
	v_and_b32_e32 v117, 7, v98
	v_lshrrev_b16 v128, 3, v98
	v_lshlrev_b32_e32 v129, 24, v98
	s_delay_alu instid0(VALU_DEP_3) | instskip(NEXT) | instid1(VALU_DEP_1)
	v_clz_i32_u32_e32 v118, v117
	v_min_u32_e32 v118, 32, v118
	s_delay_alu instid0(VALU_DEP_1) | instskip(SKIP_1) | instid1(VALU_DEP_2)
	v_subrev_nc_u32_e32 v119, 28, v118
	v_sub_nc_u32_e32 v118, 29, v118
	v_lshlrev_b32_e32 v119, v119, v98
	s_delay_alu instid0(VALU_DEP_1) | instskip(SKIP_1) | instid1(VALU_DEP_1)
	v_and_b32_e32 v119, 7, v119
	v_and_b32_e32 v128, 15, v128
	v_cmp_eq_u32_e32 vcc_lo, 0, v128
	s_delay_alu instid0(VALU_DEP_3) | instskip(SKIP_1) | instid1(VALU_DEP_2)
	v_dual_cndmask_b32 v117, v117, v119 :: v_dual_cndmask_b32 v118, v128, v118
	v_and_b32_e32 v119, 0x80000000, v129
	v_lshlrev_b32_e32 v117, 20, v117
	s_delay_alu instid0(VALU_DEP_3) | instskip(NEXT) | instid1(VALU_DEP_1)
	v_lshl_add_u32 v118, v118, 23, 0x3b800000
	v_or3_b32 v117, v119, v118, v117
.LBB2_1635:                             ;   in Loop: Header=BB2_1597 Depth=2
	s_or_b32 exec_lo, exec_lo, s27
	s_delay_alu instid0(VALU_DEP_1) | instskip(SKIP_1) | instid1(VALU_DEP_1)
	v_dual_max_f32 v117, v117, v117 :: v_dual_max_f32 v116, v116, v116
	s_mov_b32 s11, 0
	v_max_f32_e32 v116, v116, v117
	s_branch .LBB2_1637
.LBB2_1636:                             ;   in Loop: Header=BB2_1597 Depth=2
	s_mov_b32 s11, -1
                                        ; implicit-def: $vgpr116
.LBB2_1637:                             ;   in Loop: Header=BB2_1597 Depth=2
	s_delay_alu instid0(SALU_CYCLE_1)
	s_and_b32 vcc_lo, exec_lo, s11
	s_cbranch_vccz .LBB2_1647
; %bb.1638:                             ;   in Loop: Header=BB2_1597 Depth=2
	v_and_b32_e32 v117, 0xff, v115
	s_mov_b32 s11, 0
	s_mov_b32 s28, exec_lo
                                        ; implicit-def: $sgpr27
	s_delay_alu instid0(VALU_DEP_1)
	v_cmpx_lt_i16_e32 0x7f, v117
	s_xor_b32 s28, exec_lo, s28
	s_cbranch_execnz .LBB2_1851
; %bb.1639:                             ;   in Loop: Header=BB2_1597 Depth=2
	s_or_saveexec_b32 s28, s28
	v_mov_b32_e32 v116, s27
	s_xor_b32 exec_lo, exec_lo, s28
	s_cbranch_execnz .LBB2_1854
.LBB2_1640:                             ;   in Loop: Header=BB2_1597 Depth=2
	s_or_b32 exec_lo, exec_lo, s28
	s_and_saveexec_b32 s27, s11
	s_cbranch_execz .LBB2_1642
.LBB2_1641:                             ;   in Loop: Header=BB2_1597 Depth=2
	v_lshrrev_b16 v119, 3, v115
	s_delay_alu instid0(VALU_DEP_1) | instskip(NEXT) | instid1(VALU_DEP_1)
	v_and_b32_e32 v119, 15, v119
	v_cmp_eq_u32_e32 vcc_lo, 0, v119
	v_and_b32_e32 v116, 7, v115
	s_delay_alu instid0(VALU_DEP_1) | instskip(NEXT) | instid1(VALU_DEP_1)
	v_clz_i32_u32_e32 v117, v116
	v_min_u32_e32 v117, 32, v117
	s_delay_alu instid0(VALU_DEP_1) | instskip(SKIP_1) | instid1(VALU_DEP_1)
	v_subrev_nc_u32_e32 v118, 28, v117
	v_sub_nc_u32_e32 v117, 29, v117
	v_dual_cndmask_b32 v117, v119, v117 :: v_dual_lshlrev_b32 v118, v118, v115
	v_lshlrev_b32_e32 v115, 24, v115
	s_delay_alu instid0(VALU_DEP_2) | instskip(NEXT) | instid1(VALU_DEP_3)
	v_and_b32_e32 v118, 7, v118
	v_lshl_add_u32 v117, v117, 23, 0x3b800000
	s_delay_alu instid0(VALU_DEP_2) | instskip(NEXT) | instid1(VALU_DEP_1)
	v_dual_cndmask_b32 v116, v116, v118 :: v_dual_and_b32 v115, 0x80000000, v115
	v_lshlrev_b32_e32 v116, 20, v116
	s_delay_alu instid0(VALU_DEP_1)
	v_or3_b32 v116, v115, v117, v116
.LBB2_1642:                             ;   in Loop: Header=BB2_1597 Depth=2
	s_or_b32 exec_lo, exec_lo, s27
	s_waitcnt vmcnt(6) lgkmcnt(6)
	v_and_b32_e32 v117, 0xff, v98
	s_mov_b32 s11, 0
	s_mov_b32 s28, exec_lo
                                        ; implicit-def: $sgpr27
	s_delay_alu instid0(VALU_DEP_1)
	v_cmpx_lt_i16_e32 0x7f, v117
	s_xor_b32 s28, exec_lo, s28
	s_cbranch_execnz .LBB2_1855
; %bb.1643:                             ;   in Loop: Header=BB2_1597 Depth=2
	s_or_saveexec_b32 s28, s28
	v_mov_b32_e32 v115, s27
	s_xor_b32 exec_lo, exec_lo, s28
	s_cbranch_execnz .LBB2_1858
.LBB2_1644:                             ;   in Loop: Header=BB2_1597 Depth=2
	s_or_b32 exec_lo, exec_lo, s28
	s_and_saveexec_b32 s27, s11
	s_cbranch_execz .LBB2_1646
.LBB2_1645:                             ;   in Loop: Header=BB2_1597 Depth=2
	v_and_b32_e32 v115, 7, v98
	v_lshrrev_b16 v119, 3, v98
	s_delay_alu instid0(VALU_DEP_2) | instskip(NEXT) | instid1(VALU_DEP_2)
	v_clz_i32_u32_e32 v117, v115
	v_and_b32_e32 v119, 15, v119
	s_delay_alu instid0(VALU_DEP_2) | instskip(NEXT) | instid1(VALU_DEP_2)
	v_min_u32_e32 v117, 32, v117
	v_cmp_eq_u32_e32 vcc_lo, 0, v119
	s_delay_alu instid0(VALU_DEP_2) | instskip(SKIP_1) | instid1(VALU_DEP_1)
	v_subrev_nc_u32_e32 v118, 28, v117
	v_sub_nc_u32_e32 v117, 29, v117
	v_dual_cndmask_b32 v117, v119, v117 :: v_dual_lshlrev_b32 v118, v118, v98
	v_lshlrev_b32_e32 v98, 24, v98
	s_delay_alu instid0(VALU_DEP_2) | instskip(NEXT) | instid1(VALU_DEP_3)
	v_and_b32_e32 v118, 7, v118
	v_lshl_add_u32 v117, v117, 23, 0x3b800000
	s_delay_alu instid0(VALU_DEP_3) | instskip(NEXT) | instid1(VALU_DEP_3)
	v_and_b32_e32 v98, 0x80000000, v98
	v_cndmask_b32_e32 v115, v115, v118, vcc_lo
	s_delay_alu instid0(VALU_DEP_1) | instskip(NEXT) | instid1(VALU_DEP_1)
	v_lshlrev_b32_e32 v115, 20, v115
	v_or3_b32 v115, v98, v117, v115
.LBB2_1646:                             ;   in Loop: Header=BB2_1597 Depth=2
	s_or_b32 exec_lo, exec_lo, s27
	s_delay_alu instid0(VALU_DEP_1) | instskip(NEXT) | instid1(VALU_DEP_1)
	v_dual_max_f32 v98, v115, v115 :: v_dual_max_f32 v115, v116, v116
	v_min_f32_e32 v116, v115, v98
.LBB2_1647:                             ;   in Loop: Header=BB2_1597 Depth=2
	s_waitcnt vmcnt(6) lgkmcnt(6)
	s_delay_alu instid0(VALU_DEP_1) | instskip(NEXT) | instid1(VALU_DEP_1)
	v_and_b32_e32 v98, 0x7f800000, v116
	v_cmp_ne_u32_e32 vcc_lo, 0x7f800000, v98
	v_mov_b32_e32 v98, 0x80
	s_and_saveexec_b32 s27, vcc_lo
	s_cbranch_execz .LBB2_1655
; %bb.1648:                             ;   in Loop: Header=BB2_1597 Depth=2
	v_mov_b32_e32 v98, 0
	s_mov_b32 s28, exec_lo
	v_cmpx_ne_u32_e32 0, v116
	s_cbranch_execz .LBB2_1654
; %bb.1649:                             ;   in Loop: Header=BB2_1597 Depth=2
	v_bfe_u32 v98, v116, 23, 8
	v_and_b32_e32 v115, 0x7fffff, v116
	s_delay_alu instid0(VALU_DEP_2) | instskip(SKIP_1) | instid1(VALU_DEP_3)
	v_sub_nc_u32_e32 v117, 0x78, v98
	v_cmp_gt_u32_e32 vcc_lo, 0x79, v98
	v_or_b32_e32 v118, 0x800000, v115
	s_delay_alu instid0(VALU_DEP_3) | instskip(SKIP_2) | instid1(VALU_DEP_3)
	v_cndmask_b32_e32 v117, 0, v117, vcc_lo
	v_cmp_eq_u32_e32 vcc_lo, 0, v98
	v_add_nc_u32_e32 v98, 0xffffff89, v98
	v_cndmask_b32_e64 v117, v117, 0x77, vcc_lo
	v_cndmask_b32_e32 v115, v118, v115, vcc_lo
	s_delay_alu instid0(VALU_DEP_3) | instskip(NEXT) | instid1(VALU_DEP_3)
	v_cndmask_b32_e64 v98, v98, 0xffffff8a, vcc_lo
	v_lshl_add_u32 v118, 0x100000, v117, -1
	s_delay_alu instid0(VALU_DEP_3) | instskip(SKIP_1) | instid1(VALU_DEP_4)
	v_lshrrev_b32_e32 v119, v117, v115
	v_lshlrev_b32_e64 v129, v117, 0x80000
	v_add_nc_u32_e32 v117, v117, v98
	s_delay_alu instid0(VALU_DEP_4) | instskip(NEXT) | instid1(VALU_DEP_4)
	v_and_b32_e32 v115, v118, v115
	v_bfe_u32 v128, v119, 20, 1
	s_delay_alu instid0(VALU_DEP_2) | instskip(NEXT) | instid1(VALU_DEP_2)
	v_cmp_eq_u32_e64 s11, v115, v129
	v_add_nc_u32_e32 v118, -1, v128
	s_delay_alu instid0(VALU_DEP_1) | instskip(SKIP_2) | instid1(VALU_DEP_2)
	v_cndmask_b32_e64 v115, 0, v118, s11
	v_lshrrev_b32_e32 v118, 23, v119
	s_mov_b32 s11, exec_lo
	v_add_nc_u32_e32 v115, v115, v119
	s_delay_alu instid0(VALU_DEP_2) | instskip(NEXT) | instid1(VALU_DEP_2)
	v_xor_b32_e32 v118, 1, v118
	v_and_b32_e32 v98, 0xfffff, v115
	s_delay_alu instid0(VALU_DEP_1) | instskip(NEXT) | instid1(VALU_DEP_3)
	v_add_nc_u32_e32 v115, v98, v119
                                        ; implicit-def: $vgpr98
	v_cmpx_ne_u32_e64 v117, v118
	s_xor_b32 s11, exec_lo, s11
; %bb.1650:                             ;   in Loop: Header=BB2_1597 Depth=2
	s_delay_alu instid0(VALU_DEP_2) | instskip(SKIP_2) | instid1(VALU_DEP_2)
	v_cmp_lt_u32_e32 vcc_lo, 0xffffff, v115
	v_sub_nc_u32_e32 v98, v117, v118
	v_cndmask_b32_e64 v117, 0, 1, vcc_lo
	v_add_co_ci_u32_e32 v98, vcc_lo, 0, v98, vcc_lo
	s_delay_alu instid0(VALU_DEP_2)
	v_lshrrev_b32_e32 v115, v117, v115
; %bb.1651:                             ;   in Loop: Header=BB2_1597 Depth=2
	s_and_not1_saveexec_b32 s11, s11
; %bb.1652:                             ;   in Loop: Header=BB2_1597 Depth=2
	s_delay_alu instid0(VALU_DEP_1)
	v_bfe_u32 v98, v115, 23, 1
; %bb.1653:                             ;   in Loop: Header=BB2_1597 Depth=2
	s_or_b32 exec_lo, exec_lo, s11
	v_lshrrev_b32_e32 v115, 20, v115
	s_delay_alu instid0(VALU_DEP_2) | instskip(SKIP_2) | instid1(VALU_DEP_2)
	v_cmp_gt_i32_e32 vcc_lo, 16, v98
	v_lshrrev_b32_e32 v116, 24, v116
	v_min_i32_e32 v117, 15, v98
	v_dual_cndmask_b32 v115, 7, v115 :: v_dual_and_b32 v116, 0x80, v116
	s_delay_alu instid0(VALU_DEP_1) | instskip(SKIP_1) | instid1(VALU_DEP_2)
	v_or_b32_e32 v98, v98, v115
	v_and_b32_e32 v118, 7, v115
	v_cmp_ne_u32_e32 vcc_lo, 0, v98
	v_lshlrev_b32_e32 v117, 3, v117
	s_delay_alu instid0(VALU_DEP_1) | instskip(NEXT) | instid1(VALU_DEP_1)
	v_or3_b32 v115, v117, v116, v118
	v_cndmask_b32_e32 v98, 0, v115, vcc_lo
.LBB2_1654:                             ;   in Loop: Header=BB2_1597 Depth=2
	s_or_b32 exec_lo, exec_lo, s28
.LBB2_1655:                             ;   in Loop: Header=BB2_1597 Depth=2
	s_delay_alu instid0(SALU_CYCLE_1) | instskip(NEXT) | instid1(SALU_CYCLE_1)
	s_or_b32 exec_lo, exec_lo, s27
	s_and_not1_b32 vcc_lo, exec_lo, s25
	s_cbranch_vccnz .LBB2_1665
; %bb.1656:                             ;   in Loop: Header=BB2_1597 Depth=2
	v_and_b32_e32 v116, 0xff, v114
	s_mov_b32 s11, 0
	s_mov_b32 s28, exec_lo
                                        ; implicit-def: $sgpr27
	s_delay_alu instid0(VALU_DEP_1)
	v_cmpx_lt_i16_e32 0x7f, v116
	s_xor_b32 s28, exec_lo, s28
	s_cbranch_execnz .LBB2_1859
; %bb.1657:                             ;   in Loop: Header=BB2_1597 Depth=2
	s_or_saveexec_b32 s28, s28
	v_mov_b32_e32 v115, s27
	s_xor_b32 exec_lo, exec_lo, s28
	s_cbranch_execnz .LBB2_1862
.LBB2_1658:                             ;   in Loop: Header=BB2_1597 Depth=2
	s_or_b32 exec_lo, exec_lo, s28
	s_and_saveexec_b32 s27, s11
	s_cbranch_execz .LBB2_1660
.LBB2_1659:                             ;   in Loop: Header=BB2_1597 Depth=2
	v_lshrrev_b16 v118, 3, v114
	v_lshlrev_b32_e32 v119, 24, v114
	s_delay_alu instid0(VALU_DEP_2) | instskip(NEXT) | instid1(VALU_DEP_1)
	v_and_b32_e32 v118, 15, v118
	v_cmp_eq_u32_e32 vcc_lo, 0, v118
	v_and_b32_e32 v115, 7, v114
	s_delay_alu instid0(VALU_DEP_1) | instskip(NEXT) | instid1(VALU_DEP_1)
	v_clz_i32_u32_e32 v116, v115
	v_min_u32_e32 v116, 32, v116
	s_delay_alu instid0(VALU_DEP_1) | instskip(SKIP_1) | instid1(VALU_DEP_1)
	v_subrev_nc_u32_e32 v117, 28, v116
	v_sub_nc_u32_e32 v116, 29, v116
	v_dual_cndmask_b32 v116, v118, v116 :: v_dual_lshlrev_b32 v117, v117, v114
	s_delay_alu instid0(VALU_DEP_1) | instskip(NEXT) | instid1(VALU_DEP_2)
	v_and_b32_e32 v117, 7, v117
	v_lshl_add_u32 v116, v116, 23, 0x3b800000
	s_delay_alu instid0(VALU_DEP_2) | instskip(SKIP_1) | instid1(VALU_DEP_2)
	v_cndmask_b32_e32 v115, v115, v117, vcc_lo
	v_and_b32_e32 v117, 0x80000000, v119
	v_lshlrev_b32_e32 v115, 20, v115
	s_delay_alu instid0(VALU_DEP_1)
	v_or3_b32 v115, v117, v116, v115
.LBB2_1660:                             ;   in Loop: Header=BB2_1597 Depth=2
	s_or_b32 exec_lo, exec_lo, s27
	s_waitcnt vmcnt(5) lgkmcnt(5)
	v_and_b32_e32 v117, 0xff, v101
	s_mov_b32 s11, 0
	s_mov_b32 s28, exec_lo
                                        ; implicit-def: $sgpr27
	s_delay_alu instid0(VALU_DEP_1)
	v_cmpx_lt_i16_e32 0x7f, v117
	s_xor_b32 s28, exec_lo, s28
	s_cbranch_execnz .LBB2_1863
; %bb.1661:                             ;   in Loop: Header=BB2_1597 Depth=2
	s_or_saveexec_b32 s28, s28
	v_mov_b32_e32 v116, s27
	s_xor_b32 exec_lo, exec_lo, s28
	s_cbranch_execnz .LBB2_1866
.LBB2_1662:                             ;   in Loop: Header=BB2_1597 Depth=2
	s_or_b32 exec_lo, exec_lo, s28
	s_and_saveexec_b32 s27, s11
	s_cbranch_execz .LBB2_1664
.LBB2_1663:                             ;   in Loop: Header=BB2_1597 Depth=2
	v_and_b32_e32 v116, 7, v101
	v_lshrrev_b16 v119, 3, v101
	v_lshlrev_b32_e32 v128, 24, v101
	s_delay_alu instid0(VALU_DEP_3) | instskip(NEXT) | instid1(VALU_DEP_1)
	v_clz_i32_u32_e32 v117, v116
	v_min_u32_e32 v117, 32, v117
	s_delay_alu instid0(VALU_DEP_1) | instskip(SKIP_1) | instid1(VALU_DEP_2)
	v_subrev_nc_u32_e32 v118, 28, v117
	v_sub_nc_u32_e32 v117, 29, v117
	v_lshlrev_b32_e32 v118, v118, v101
	s_delay_alu instid0(VALU_DEP_1) | instskip(SKIP_1) | instid1(VALU_DEP_1)
	v_and_b32_e32 v118, 7, v118
	v_and_b32_e32 v119, 15, v119
	v_cmp_eq_u32_e32 vcc_lo, 0, v119
	s_delay_alu instid0(VALU_DEP_3) | instskip(SKIP_1) | instid1(VALU_DEP_2)
	v_dual_cndmask_b32 v116, v116, v118 :: v_dual_cndmask_b32 v117, v119, v117
	v_and_b32_e32 v118, 0x80000000, v128
	v_lshlrev_b32_e32 v116, 20, v116
	s_delay_alu instid0(VALU_DEP_3) | instskip(NEXT) | instid1(VALU_DEP_1)
	v_lshl_add_u32 v117, v117, 23, 0x3b800000
	v_or3_b32 v116, v118, v117, v116
.LBB2_1664:                             ;   in Loop: Header=BB2_1597 Depth=2
	s_or_b32 exec_lo, exec_lo, s27
	s_delay_alu instid0(VALU_DEP_1) | instskip(SKIP_1) | instid1(VALU_DEP_1)
	v_dual_max_f32 v116, v116, v116 :: v_dual_max_f32 v115, v115, v115
	s_mov_b32 s11, 0
	v_max_f32_e32 v115, v115, v116
	s_branch .LBB2_1666
.LBB2_1665:                             ;   in Loop: Header=BB2_1597 Depth=2
	s_mov_b32 s11, -1
                                        ; implicit-def: $vgpr115
.LBB2_1666:                             ;   in Loop: Header=BB2_1597 Depth=2
	s_delay_alu instid0(SALU_CYCLE_1)
	s_and_b32 vcc_lo, exec_lo, s11
	s_cbranch_vccz .LBB2_1676
; %bb.1667:                             ;   in Loop: Header=BB2_1597 Depth=2
	v_and_b32_e32 v116, 0xff, v114
	s_mov_b32 s11, 0
	s_mov_b32 s28, exec_lo
                                        ; implicit-def: $sgpr27
	s_delay_alu instid0(VALU_DEP_1)
	v_cmpx_lt_i16_e32 0x7f, v116
	s_xor_b32 s28, exec_lo, s28
	s_cbranch_execnz .LBB2_1867
; %bb.1668:                             ;   in Loop: Header=BB2_1597 Depth=2
	s_or_saveexec_b32 s28, s28
	v_mov_b32_e32 v115, s27
	s_xor_b32 exec_lo, exec_lo, s28
	s_cbranch_execnz .LBB2_1870
.LBB2_1669:                             ;   in Loop: Header=BB2_1597 Depth=2
	s_or_b32 exec_lo, exec_lo, s28
	s_and_saveexec_b32 s27, s11
	s_cbranch_execz .LBB2_1671
.LBB2_1670:                             ;   in Loop: Header=BB2_1597 Depth=2
	v_lshrrev_b16 v118, 3, v114
	s_delay_alu instid0(VALU_DEP_1) | instskip(NEXT) | instid1(VALU_DEP_1)
	v_and_b32_e32 v118, 15, v118
	v_cmp_eq_u32_e32 vcc_lo, 0, v118
	v_and_b32_e32 v115, 7, v114
	s_delay_alu instid0(VALU_DEP_1) | instskip(NEXT) | instid1(VALU_DEP_1)
	v_clz_i32_u32_e32 v116, v115
	v_min_u32_e32 v116, 32, v116
	s_delay_alu instid0(VALU_DEP_1) | instskip(SKIP_1) | instid1(VALU_DEP_1)
	v_subrev_nc_u32_e32 v117, 28, v116
	v_sub_nc_u32_e32 v116, 29, v116
	v_dual_cndmask_b32 v116, v118, v116 :: v_dual_lshlrev_b32 v117, v117, v114
	v_lshlrev_b32_e32 v114, 24, v114
	s_delay_alu instid0(VALU_DEP_2) | instskip(NEXT) | instid1(VALU_DEP_3)
	v_and_b32_e32 v117, 7, v117
	v_lshl_add_u32 v116, v116, 23, 0x3b800000
	s_delay_alu instid0(VALU_DEP_2) | instskip(NEXT) | instid1(VALU_DEP_1)
	v_dual_cndmask_b32 v115, v115, v117 :: v_dual_and_b32 v114, 0x80000000, v114
	v_lshlrev_b32_e32 v115, 20, v115
	s_delay_alu instid0(VALU_DEP_1)
	v_or3_b32 v115, v114, v116, v115
.LBB2_1671:                             ;   in Loop: Header=BB2_1597 Depth=2
	s_or_b32 exec_lo, exec_lo, s27
	s_waitcnt vmcnt(5) lgkmcnt(5)
	v_and_b32_e32 v116, 0xff, v101
	s_mov_b32 s11, 0
	s_mov_b32 s28, exec_lo
                                        ; implicit-def: $sgpr27
	s_delay_alu instid0(VALU_DEP_1)
	v_cmpx_lt_i16_e32 0x7f, v116
	s_xor_b32 s28, exec_lo, s28
	s_cbranch_execnz .LBB2_1871
; %bb.1672:                             ;   in Loop: Header=BB2_1597 Depth=2
	s_or_saveexec_b32 s28, s28
	v_mov_b32_e32 v114, s27
	s_xor_b32 exec_lo, exec_lo, s28
	s_cbranch_execnz .LBB2_1874
.LBB2_1673:                             ;   in Loop: Header=BB2_1597 Depth=2
	s_or_b32 exec_lo, exec_lo, s28
	s_and_saveexec_b32 s27, s11
	s_cbranch_execz .LBB2_1675
.LBB2_1674:                             ;   in Loop: Header=BB2_1597 Depth=2
	v_and_b32_e32 v114, 7, v101
	v_lshrrev_b16 v118, 3, v101
	s_delay_alu instid0(VALU_DEP_2) | instskip(NEXT) | instid1(VALU_DEP_2)
	v_clz_i32_u32_e32 v116, v114
	v_and_b32_e32 v118, 15, v118
	s_delay_alu instid0(VALU_DEP_2) | instskip(NEXT) | instid1(VALU_DEP_2)
	v_min_u32_e32 v116, 32, v116
	v_cmp_eq_u32_e32 vcc_lo, 0, v118
	s_delay_alu instid0(VALU_DEP_2) | instskip(SKIP_1) | instid1(VALU_DEP_1)
	v_subrev_nc_u32_e32 v117, 28, v116
	v_sub_nc_u32_e32 v116, 29, v116
	v_dual_cndmask_b32 v116, v118, v116 :: v_dual_lshlrev_b32 v117, v117, v101
	v_lshlrev_b32_e32 v101, 24, v101
	s_delay_alu instid0(VALU_DEP_2) | instskip(NEXT) | instid1(VALU_DEP_3)
	v_and_b32_e32 v117, 7, v117
	v_lshl_add_u32 v116, v116, 23, 0x3b800000
	s_delay_alu instid0(VALU_DEP_3) | instskip(NEXT) | instid1(VALU_DEP_3)
	v_and_b32_e32 v101, 0x80000000, v101
	v_cndmask_b32_e32 v114, v114, v117, vcc_lo
	s_delay_alu instid0(VALU_DEP_1) | instskip(NEXT) | instid1(VALU_DEP_1)
	v_lshlrev_b32_e32 v114, 20, v114
	v_or3_b32 v114, v101, v116, v114
.LBB2_1675:                             ;   in Loop: Header=BB2_1597 Depth=2
	s_or_b32 exec_lo, exec_lo, s27
	s_delay_alu instid0(VALU_DEP_1) | instskip(NEXT) | instid1(VALU_DEP_1)
	v_dual_max_f32 v101, v114, v114 :: v_dual_max_f32 v114, v115, v115
	v_min_f32_e32 v115, v114, v101
.LBB2_1676:                             ;   in Loop: Header=BB2_1597 Depth=2
	s_waitcnt vmcnt(5) lgkmcnt(5)
	s_delay_alu instid0(VALU_DEP_1) | instskip(NEXT) | instid1(VALU_DEP_1)
	v_and_b32_e32 v101, 0x7f800000, v115
	v_cmp_ne_u32_e32 vcc_lo, 0x7f800000, v101
	v_mov_b32_e32 v101, 0x80
	s_and_saveexec_b32 s27, vcc_lo
	s_cbranch_execz .LBB2_1684
; %bb.1677:                             ;   in Loop: Header=BB2_1597 Depth=2
	v_mov_b32_e32 v101, 0
	s_mov_b32 s28, exec_lo
	v_cmpx_ne_u32_e32 0, v115
	s_cbranch_execz .LBB2_1683
; %bb.1678:                             ;   in Loop: Header=BB2_1597 Depth=2
	v_bfe_u32 v101, v115, 23, 8
	v_and_b32_e32 v114, 0x7fffff, v115
	s_delay_alu instid0(VALU_DEP_2) | instskip(SKIP_1) | instid1(VALU_DEP_3)
	v_sub_nc_u32_e32 v116, 0x78, v101
	v_cmp_gt_u32_e32 vcc_lo, 0x79, v101
	v_or_b32_e32 v117, 0x800000, v114
	s_delay_alu instid0(VALU_DEP_3) | instskip(SKIP_2) | instid1(VALU_DEP_3)
	v_cndmask_b32_e32 v116, 0, v116, vcc_lo
	v_cmp_eq_u32_e32 vcc_lo, 0, v101
	v_add_nc_u32_e32 v101, 0xffffff89, v101
	v_cndmask_b32_e64 v116, v116, 0x77, vcc_lo
	v_cndmask_b32_e32 v114, v117, v114, vcc_lo
	s_delay_alu instid0(VALU_DEP_3) | instskip(NEXT) | instid1(VALU_DEP_3)
	v_cndmask_b32_e64 v101, v101, 0xffffff8a, vcc_lo
	v_lshl_add_u32 v117, 0x100000, v116, -1
	s_delay_alu instid0(VALU_DEP_3) | instskip(SKIP_1) | instid1(VALU_DEP_4)
	v_lshrrev_b32_e32 v118, v116, v114
	v_lshlrev_b32_e64 v128, v116, 0x80000
	v_add_nc_u32_e32 v116, v116, v101
	s_delay_alu instid0(VALU_DEP_4) | instskip(NEXT) | instid1(VALU_DEP_4)
	v_and_b32_e32 v114, v117, v114
	v_bfe_u32 v119, v118, 20, 1
	s_delay_alu instid0(VALU_DEP_2) | instskip(NEXT) | instid1(VALU_DEP_2)
	v_cmp_eq_u32_e64 s11, v114, v128
	v_add_nc_u32_e32 v117, -1, v119
	s_delay_alu instid0(VALU_DEP_1) | instskip(SKIP_2) | instid1(VALU_DEP_2)
	v_cndmask_b32_e64 v114, 0, v117, s11
	v_lshrrev_b32_e32 v117, 23, v118
	s_mov_b32 s11, exec_lo
	v_add_nc_u32_e32 v114, v114, v118
	s_delay_alu instid0(VALU_DEP_2) | instskip(NEXT) | instid1(VALU_DEP_2)
	v_xor_b32_e32 v117, 1, v117
	v_and_b32_e32 v101, 0xfffff, v114
	s_delay_alu instid0(VALU_DEP_1) | instskip(NEXT) | instid1(VALU_DEP_3)
	v_add_nc_u32_e32 v114, v101, v118
                                        ; implicit-def: $vgpr101
	v_cmpx_ne_u32_e64 v116, v117
	s_xor_b32 s11, exec_lo, s11
; %bb.1679:                             ;   in Loop: Header=BB2_1597 Depth=2
	s_delay_alu instid0(VALU_DEP_2) | instskip(SKIP_2) | instid1(VALU_DEP_2)
	v_cmp_lt_u32_e32 vcc_lo, 0xffffff, v114
	v_sub_nc_u32_e32 v101, v116, v117
	v_cndmask_b32_e64 v116, 0, 1, vcc_lo
	v_add_co_ci_u32_e32 v101, vcc_lo, 0, v101, vcc_lo
	s_delay_alu instid0(VALU_DEP_2)
	v_lshrrev_b32_e32 v114, v116, v114
; %bb.1680:                             ;   in Loop: Header=BB2_1597 Depth=2
	s_and_not1_saveexec_b32 s11, s11
; %bb.1681:                             ;   in Loop: Header=BB2_1597 Depth=2
	s_delay_alu instid0(VALU_DEP_1)
	v_bfe_u32 v101, v114, 23, 1
; %bb.1682:                             ;   in Loop: Header=BB2_1597 Depth=2
	s_or_b32 exec_lo, exec_lo, s11
	v_lshrrev_b32_e32 v114, 20, v114
	s_delay_alu instid0(VALU_DEP_2) | instskip(SKIP_2) | instid1(VALU_DEP_2)
	v_cmp_gt_i32_e32 vcc_lo, 16, v101
	v_lshrrev_b32_e32 v115, 24, v115
	v_min_i32_e32 v116, 15, v101
	v_dual_cndmask_b32 v114, 7, v114 :: v_dual_and_b32 v115, 0x80, v115
	s_delay_alu instid0(VALU_DEP_1) | instskip(SKIP_1) | instid1(VALU_DEP_2)
	v_or_b32_e32 v101, v101, v114
	v_and_b32_e32 v117, 7, v114
	v_cmp_ne_u32_e32 vcc_lo, 0, v101
	v_lshlrev_b32_e32 v116, 3, v116
	s_delay_alu instid0(VALU_DEP_1) | instskip(NEXT) | instid1(VALU_DEP_1)
	v_or3_b32 v114, v116, v115, v117
	v_cndmask_b32_e32 v101, 0, v114, vcc_lo
.LBB2_1683:                             ;   in Loop: Header=BB2_1597 Depth=2
	s_or_b32 exec_lo, exec_lo, s28
.LBB2_1684:                             ;   in Loop: Header=BB2_1597 Depth=2
	s_delay_alu instid0(SALU_CYCLE_1) | instskip(NEXT) | instid1(SALU_CYCLE_1)
	s_or_b32 exec_lo, exec_lo, s27
	s_and_not1_b32 vcc_lo, exec_lo, s25
	s_cbranch_vccnz .LBB2_1694
; %bb.1685:                             ;   in Loop: Header=BB2_1597 Depth=2
	v_and_b32_e32 v115, 0xff, v113
	s_mov_b32 s11, 0
	s_mov_b32 s28, exec_lo
                                        ; implicit-def: $sgpr27
	s_delay_alu instid0(VALU_DEP_1)
	v_cmpx_lt_i16_e32 0x7f, v115
	s_xor_b32 s28, exec_lo, s28
	s_cbranch_execnz .LBB2_1875
; %bb.1686:                             ;   in Loop: Header=BB2_1597 Depth=2
	s_or_saveexec_b32 s28, s28
	v_mov_b32_e32 v114, s27
	s_xor_b32 exec_lo, exec_lo, s28
	s_cbranch_execnz .LBB2_1878
.LBB2_1687:                             ;   in Loop: Header=BB2_1597 Depth=2
	s_or_b32 exec_lo, exec_lo, s28
	s_and_saveexec_b32 s27, s11
	s_cbranch_execz .LBB2_1689
.LBB2_1688:                             ;   in Loop: Header=BB2_1597 Depth=2
	v_lshrrev_b16 v117, 3, v113
	v_lshlrev_b32_e32 v118, 24, v113
	s_delay_alu instid0(VALU_DEP_2) | instskip(NEXT) | instid1(VALU_DEP_1)
	v_and_b32_e32 v117, 15, v117
	v_cmp_eq_u32_e32 vcc_lo, 0, v117
	v_and_b32_e32 v114, 7, v113
	s_delay_alu instid0(VALU_DEP_1) | instskip(NEXT) | instid1(VALU_DEP_1)
	v_clz_i32_u32_e32 v115, v114
	v_min_u32_e32 v115, 32, v115
	s_delay_alu instid0(VALU_DEP_1) | instskip(SKIP_1) | instid1(VALU_DEP_1)
	v_subrev_nc_u32_e32 v116, 28, v115
	v_sub_nc_u32_e32 v115, 29, v115
	v_dual_cndmask_b32 v115, v117, v115 :: v_dual_lshlrev_b32 v116, v116, v113
	s_delay_alu instid0(VALU_DEP_1) | instskip(NEXT) | instid1(VALU_DEP_2)
	v_and_b32_e32 v116, 7, v116
	v_lshl_add_u32 v115, v115, 23, 0x3b800000
	s_delay_alu instid0(VALU_DEP_2) | instskip(SKIP_1) | instid1(VALU_DEP_2)
	v_cndmask_b32_e32 v114, v114, v116, vcc_lo
	v_and_b32_e32 v116, 0x80000000, v118
	v_lshlrev_b32_e32 v114, 20, v114
	s_delay_alu instid0(VALU_DEP_1)
	v_or3_b32 v114, v116, v115, v114
.LBB2_1689:                             ;   in Loop: Header=BB2_1597 Depth=2
	s_or_b32 exec_lo, exec_lo, s27
	s_waitcnt vmcnt(4) lgkmcnt(4)
	v_and_b32_e32 v116, 0xff, v112
	s_mov_b32 s11, 0
	s_mov_b32 s28, exec_lo
                                        ; implicit-def: $sgpr27
	s_delay_alu instid0(VALU_DEP_1)
	v_cmpx_lt_i16_e32 0x7f, v116
	s_xor_b32 s28, exec_lo, s28
	s_cbranch_execnz .LBB2_1879
; %bb.1690:                             ;   in Loop: Header=BB2_1597 Depth=2
	s_or_saveexec_b32 s28, s28
	v_mov_b32_e32 v115, s27
	s_xor_b32 exec_lo, exec_lo, s28
	s_cbranch_execnz .LBB2_1882
.LBB2_1691:                             ;   in Loop: Header=BB2_1597 Depth=2
	s_or_b32 exec_lo, exec_lo, s28
	s_and_saveexec_b32 s27, s11
	s_cbranch_execz .LBB2_1693
.LBB2_1692:                             ;   in Loop: Header=BB2_1597 Depth=2
	v_and_b32_e32 v115, 7, v112
	v_lshrrev_b16 v118, 3, v112
	v_lshlrev_b32_e32 v119, 24, v112
	s_delay_alu instid0(VALU_DEP_3) | instskip(NEXT) | instid1(VALU_DEP_1)
	v_clz_i32_u32_e32 v116, v115
	v_min_u32_e32 v116, 32, v116
	s_delay_alu instid0(VALU_DEP_1) | instskip(SKIP_1) | instid1(VALU_DEP_2)
	v_subrev_nc_u32_e32 v117, 28, v116
	v_sub_nc_u32_e32 v116, 29, v116
	v_lshlrev_b32_e32 v117, v117, v112
	s_delay_alu instid0(VALU_DEP_1) | instskip(SKIP_1) | instid1(VALU_DEP_1)
	v_and_b32_e32 v117, 7, v117
	v_and_b32_e32 v118, 15, v118
	v_cmp_eq_u32_e32 vcc_lo, 0, v118
	s_delay_alu instid0(VALU_DEP_3) | instskip(SKIP_1) | instid1(VALU_DEP_2)
	v_dual_cndmask_b32 v115, v115, v117 :: v_dual_cndmask_b32 v116, v118, v116
	v_and_b32_e32 v117, 0x80000000, v119
	v_lshlrev_b32_e32 v115, 20, v115
	s_delay_alu instid0(VALU_DEP_3) | instskip(NEXT) | instid1(VALU_DEP_1)
	v_lshl_add_u32 v116, v116, 23, 0x3b800000
	v_or3_b32 v115, v117, v116, v115
.LBB2_1693:                             ;   in Loop: Header=BB2_1597 Depth=2
	s_or_b32 exec_lo, exec_lo, s27
	s_delay_alu instid0(VALU_DEP_1) | instskip(SKIP_1) | instid1(VALU_DEP_1)
	v_dual_max_f32 v115, v115, v115 :: v_dual_max_f32 v114, v114, v114
	s_mov_b32 s11, 0
	v_max_f32_e32 v114, v114, v115
	s_branch .LBB2_1695
.LBB2_1694:                             ;   in Loop: Header=BB2_1597 Depth=2
	s_mov_b32 s11, -1
                                        ; implicit-def: $vgpr114
.LBB2_1695:                             ;   in Loop: Header=BB2_1597 Depth=2
	s_delay_alu instid0(SALU_CYCLE_1)
	s_and_b32 vcc_lo, exec_lo, s11
	s_cbranch_vccz .LBB2_1705
; %bb.1696:                             ;   in Loop: Header=BB2_1597 Depth=2
	v_and_b32_e32 v115, 0xff, v113
	s_mov_b32 s11, 0
	s_mov_b32 s28, exec_lo
                                        ; implicit-def: $sgpr27
	s_delay_alu instid0(VALU_DEP_1)
	v_cmpx_lt_i16_e32 0x7f, v115
	s_xor_b32 s28, exec_lo, s28
	s_cbranch_execnz .LBB2_1883
; %bb.1697:                             ;   in Loop: Header=BB2_1597 Depth=2
	s_or_saveexec_b32 s28, s28
	v_mov_b32_e32 v114, s27
	s_xor_b32 exec_lo, exec_lo, s28
	s_cbranch_execnz .LBB2_1886
.LBB2_1698:                             ;   in Loop: Header=BB2_1597 Depth=2
	s_or_b32 exec_lo, exec_lo, s28
	s_and_saveexec_b32 s27, s11
	s_cbranch_execz .LBB2_1700
.LBB2_1699:                             ;   in Loop: Header=BB2_1597 Depth=2
	v_lshrrev_b16 v117, 3, v113
	s_delay_alu instid0(VALU_DEP_1) | instskip(NEXT) | instid1(VALU_DEP_1)
	v_and_b32_e32 v117, 15, v117
	v_cmp_eq_u32_e32 vcc_lo, 0, v117
	v_and_b32_e32 v114, 7, v113
	s_delay_alu instid0(VALU_DEP_1) | instskip(NEXT) | instid1(VALU_DEP_1)
	v_clz_i32_u32_e32 v115, v114
	v_min_u32_e32 v115, 32, v115
	s_delay_alu instid0(VALU_DEP_1) | instskip(SKIP_1) | instid1(VALU_DEP_1)
	v_subrev_nc_u32_e32 v116, 28, v115
	v_sub_nc_u32_e32 v115, 29, v115
	v_dual_cndmask_b32 v115, v117, v115 :: v_dual_lshlrev_b32 v116, v116, v113
	v_lshlrev_b32_e32 v113, 24, v113
	s_delay_alu instid0(VALU_DEP_2) | instskip(NEXT) | instid1(VALU_DEP_3)
	v_and_b32_e32 v116, 7, v116
	v_lshl_add_u32 v115, v115, 23, 0x3b800000
	s_delay_alu instid0(VALU_DEP_2) | instskip(NEXT) | instid1(VALU_DEP_1)
	v_dual_cndmask_b32 v114, v114, v116 :: v_dual_and_b32 v113, 0x80000000, v113
	v_lshlrev_b32_e32 v114, 20, v114
	s_delay_alu instid0(VALU_DEP_1)
	v_or3_b32 v114, v113, v115, v114
.LBB2_1700:                             ;   in Loop: Header=BB2_1597 Depth=2
	s_or_b32 exec_lo, exec_lo, s27
	s_waitcnt vmcnt(4) lgkmcnt(4)
	v_and_b32_e32 v115, 0xff, v112
	s_mov_b32 s11, 0
	s_mov_b32 s28, exec_lo
                                        ; implicit-def: $sgpr27
	s_delay_alu instid0(VALU_DEP_1)
	v_cmpx_lt_i16_e32 0x7f, v115
	s_xor_b32 s28, exec_lo, s28
	s_cbranch_execnz .LBB2_1887
; %bb.1701:                             ;   in Loop: Header=BB2_1597 Depth=2
	s_or_saveexec_b32 s28, s28
	v_mov_b32_e32 v113, s27
	s_xor_b32 exec_lo, exec_lo, s28
	s_cbranch_execnz .LBB2_1890
.LBB2_1702:                             ;   in Loop: Header=BB2_1597 Depth=2
	s_or_b32 exec_lo, exec_lo, s28
	s_and_saveexec_b32 s27, s11
	s_cbranch_execz .LBB2_1704
.LBB2_1703:                             ;   in Loop: Header=BB2_1597 Depth=2
	v_and_b32_e32 v113, 7, v112
	v_lshrrev_b16 v117, 3, v112
	s_delay_alu instid0(VALU_DEP_2) | instskip(NEXT) | instid1(VALU_DEP_2)
	v_clz_i32_u32_e32 v115, v113
	v_and_b32_e32 v117, 15, v117
	s_delay_alu instid0(VALU_DEP_2) | instskip(NEXT) | instid1(VALU_DEP_2)
	v_min_u32_e32 v115, 32, v115
	v_cmp_eq_u32_e32 vcc_lo, 0, v117
	s_delay_alu instid0(VALU_DEP_2) | instskip(SKIP_1) | instid1(VALU_DEP_1)
	v_subrev_nc_u32_e32 v116, 28, v115
	v_sub_nc_u32_e32 v115, 29, v115
	v_dual_cndmask_b32 v115, v117, v115 :: v_dual_lshlrev_b32 v116, v116, v112
	v_lshlrev_b32_e32 v112, 24, v112
	s_delay_alu instid0(VALU_DEP_2) | instskip(NEXT) | instid1(VALU_DEP_3)
	v_and_b32_e32 v116, 7, v116
	v_lshl_add_u32 v115, v115, 23, 0x3b800000
	s_delay_alu instid0(VALU_DEP_3) | instskip(NEXT) | instid1(VALU_DEP_3)
	v_and_b32_e32 v112, 0x80000000, v112
	v_cndmask_b32_e32 v113, v113, v116, vcc_lo
	s_delay_alu instid0(VALU_DEP_1) | instskip(NEXT) | instid1(VALU_DEP_1)
	v_lshlrev_b32_e32 v113, 20, v113
	v_or3_b32 v113, v112, v115, v113
.LBB2_1704:                             ;   in Loop: Header=BB2_1597 Depth=2
	s_or_b32 exec_lo, exec_lo, s27
	s_delay_alu instid0(VALU_DEP_1) | instskip(NEXT) | instid1(VALU_DEP_1)
	v_dual_max_f32 v112, v113, v113 :: v_dual_max_f32 v113, v114, v114
	v_min_f32_e32 v114, v113, v112
.LBB2_1705:                             ;   in Loop: Header=BB2_1597 Depth=2
	s_waitcnt vmcnt(4) lgkmcnt(4)
	s_delay_alu instid0(VALU_DEP_1) | instskip(NEXT) | instid1(VALU_DEP_1)
	v_and_b32_e32 v112, 0x7f800000, v114
	v_cmp_ne_u32_e32 vcc_lo, 0x7f800000, v112
	v_mov_b32_e32 v112, 0x80
	s_and_saveexec_b32 s27, vcc_lo
	s_cbranch_execz .LBB2_1713
; %bb.1706:                             ;   in Loop: Header=BB2_1597 Depth=2
	v_mov_b32_e32 v112, 0
	s_mov_b32 s28, exec_lo
	v_cmpx_ne_u32_e32 0, v114
	s_cbranch_execz .LBB2_1712
; %bb.1707:                             ;   in Loop: Header=BB2_1597 Depth=2
	v_bfe_u32 v112, v114, 23, 8
	v_and_b32_e32 v113, 0x7fffff, v114
	s_delay_alu instid0(VALU_DEP_2) | instskip(SKIP_1) | instid1(VALU_DEP_3)
	v_sub_nc_u32_e32 v115, 0x78, v112
	v_cmp_gt_u32_e32 vcc_lo, 0x79, v112
	v_or_b32_e32 v116, 0x800000, v113
	s_delay_alu instid0(VALU_DEP_3) | instskip(SKIP_2) | instid1(VALU_DEP_3)
	v_cndmask_b32_e32 v115, 0, v115, vcc_lo
	v_cmp_eq_u32_e32 vcc_lo, 0, v112
	v_add_nc_u32_e32 v112, 0xffffff89, v112
	v_cndmask_b32_e64 v115, v115, 0x77, vcc_lo
	v_cndmask_b32_e32 v113, v116, v113, vcc_lo
	s_delay_alu instid0(VALU_DEP_3) | instskip(NEXT) | instid1(VALU_DEP_3)
	v_cndmask_b32_e64 v112, v112, 0xffffff8a, vcc_lo
	v_lshl_add_u32 v116, 0x100000, v115, -1
	s_delay_alu instid0(VALU_DEP_3) | instskip(SKIP_1) | instid1(VALU_DEP_4)
	v_lshrrev_b32_e32 v117, v115, v113
	v_lshlrev_b32_e64 v119, v115, 0x80000
	v_add_nc_u32_e32 v115, v115, v112
	s_delay_alu instid0(VALU_DEP_4) | instskip(NEXT) | instid1(VALU_DEP_4)
	v_and_b32_e32 v113, v116, v113
	v_bfe_u32 v118, v117, 20, 1
	s_delay_alu instid0(VALU_DEP_2) | instskip(NEXT) | instid1(VALU_DEP_2)
	v_cmp_eq_u32_e64 s11, v113, v119
	v_add_nc_u32_e32 v116, -1, v118
	s_delay_alu instid0(VALU_DEP_1) | instskip(SKIP_2) | instid1(VALU_DEP_2)
	v_cndmask_b32_e64 v113, 0, v116, s11
	v_lshrrev_b32_e32 v116, 23, v117
	s_mov_b32 s11, exec_lo
	v_add_nc_u32_e32 v113, v113, v117
	s_delay_alu instid0(VALU_DEP_2) | instskip(NEXT) | instid1(VALU_DEP_2)
	v_xor_b32_e32 v116, 1, v116
	v_and_b32_e32 v112, 0xfffff, v113
	s_delay_alu instid0(VALU_DEP_1) | instskip(NEXT) | instid1(VALU_DEP_3)
	v_add_nc_u32_e32 v113, v112, v117
                                        ; implicit-def: $vgpr112
	v_cmpx_ne_u32_e64 v115, v116
	s_xor_b32 s11, exec_lo, s11
; %bb.1708:                             ;   in Loop: Header=BB2_1597 Depth=2
	s_delay_alu instid0(VALU_DEP_2) | instskip(SKIP_2) | instid1(VALU_DEP_2)
	v_cmp_lt_u32_e32 vcc_lo, 0xffffff, v113
	v_sub_nc_u32_e32 v112, v115, v116
	v_cndmask_b32_e64 v115, 0, 1, vcc_lo
	v_add_co_ci_u32_e32 v112, vcc_lo, 0, v112, vcc_lo
	s_delay_alu instid0(VALU_DEP_2)
	v_lshrrev_b32_e32 v113, v115, v113
; %bb.1709:                             ;   in Loop: Header=BB2_1597 Depth=2
	s_and_not1_saveexec_b32 s11, s11
; %bb.1710:                             ;   in Loop: Header=BB2_1597 Depth=2
	s_delay_alu instid0(VALU_DEP_1)
	v_bfe_u32 v112, v113, 23, 1
; %bb.1711:                             ;   in Loop: Header=BB2_1597 Depth=2
	s_or_b32 exec_lo, exec_lo, s11
	v_lshrrev_b32_e32 v113, 20, v113
	s_delay_alu instid0(VALU_DEP_2) | instskip(SKIP_2) | instid1(VALU_DEP_2)
	v_cmp_gt_i32_e32 vcc_lo, 16, v112
	v_lshrrev_b32_e32 v114, 24, v114
	v_min_i32_e32 v115, 15, v112
	v_dual_cndmask_b32 v113, 7, v113 :: v_dual_and_b32 v114, 0x80, v114
	s_delay_alu instid0(VALU_DEP_1) | instskip(SKIP_1) | instid1(VALU_DEP_2)
	v_or_b32_e32 v112, v112, v113
	v_and_b32_e32 v116, 7, v113
	v_cmp_ne_u32_e32 vcc_lo, 0, v112
	v_lshlrev_b32_e32 v115, 3, v115
	s_delay_alu instid0(VALU_DEP_1) | instskip(NEXT) | instid1(VALU_DEP_1)
	v_or3_b32 v113, v115, v114, v116
	v_cndmask_b32_e32 v112, 0, v113, vcc_lo
.LBB2_1712:                             ;   in Loop: Header=BB2_1597 Depth=2
	s_or_b32 exec_lo, exec_lo, s28
.LBB2_1713:                             ;   in Loop: Header=BB2_1597 Depth=2
	s_delay_alu instid0(SALU_CYCLE_1) | instskip(NEXT) | instid1(SALU_CYCLE_1)
	s_or_b32 exec_lo, exec_lo, s27
	s_and_not1_b32 vcc_lo, exec_lo, s25
	s_cbranch_vccnz .LBB2_1723
; %bb.1714:                             ;   in Loop: Header=BB2_1597 Depth=2
	v_and_b32_e32 v114, 0xff, v103
	s_mov_b32 s11, 0
	s_mov_b32 s28, exec_lo
                                        ; implicit-def: $sgpr27
	s_delay_alu instid0(VALU_DEP_1)
	v_cmpx_lt_i16_e32 0x7f, v114
	s_xor_b32 s28, exec_lo, s28
	s_cbranch_execnz .LBB2_1891
; %bb.1715:                             ;   in Loop: Header=BB2_1597 Depth=2
	s_or_saveexec_b32 s28, s28
	v_mov_b32_e32 v113, s27
	s_xor_b32 exec_lo, exec_lo, s28
	s_cbranch_execnz .LBB2_1894
.LBB2_1716:                             ;   in Loop: Header=BB2_1597 Depth=2
	s_or_b32 exec_lo, exec_lo, s28
	s_and_saveexec_b32 s27, s11
	s_cbranch_execz .LBB2_1718
.LBB2_1717:                             ;   in Loop: Header=BB2_1597 Depth=2
	v_lshrrev_b16 v116, 3, v103
	v_lshlrev_b32_e32 v117, 24, v103
	s_delay_alu instid0(VALU_DEP_2) | instskip(NEXT) | instid1(VALU_DEP_1)
	v_and_b32_e32 v116, 15, v116
	v_cmp_eq_u32_e32 vcc_lo, 0, v116
	v_and_b32_e32 v113, 7, v103
	s_delay_alu instid0(VALU_DEP_1) | instskip(NEXT) | instid1(VALU_DEP_1)
	v_clz_i32_u32_e32 v114, v113
	v_min_u32_e32 v114, 32, v114
	s_delay_alu instid0(VALU_DEP_1) | instskip(SKIP_1) | instid1(VALU_DEP_1)
	v_subrev_nc_u32_e32 v115, 28, v114
	v_sub_nc_u32_e32 v114, 29, v114
	v_dual_cndmask_b32 v114, v116, v114 :: v_dual_lshlrev_b32 v115, v115, v103
	s_delay_alu instid0(VALU_DEP_1) | instskip(NEXT) | instid1(VALU_DEP_2)
	v_and_b32_e32 v115, 7, v115
	v_lshl_add_u32 v114, v114, 23, 0x3b800000
	s_delay_alu instid0(VALU_DEP_2) | instskip(SKIP_1) | instid1(VALU_DEP_2)
	v_cndmask_b32_e32 v113, v113, v115, vcc_lo
	v_and_b32_e32 v115, 0x80000000, v117
	v_lshlrev_b32_e32 v113, 20, v113
	s_delay_alu instid0(VALU_DEP_1)
	v_or3_b32 v113, v115, v114, v113
.LBB2_1718:                             ;   in Loop: Header=BB2_1597 Depth=2
	s_or_b32 exec_lo, exec_lo, s27
	s_waitcnt vmcnt(3) lgkmcnt(3)
	v_and_b32_e32 v115, 0xff, v102
	s_mov_b32 s11, 0
	s_mov_b32 s28, exec_lo
                                        ; implicit-def: $sgpr27
	s_delay_alu instid0(VALU_DEP_1)
	v_cmpx_lt_i16_e32 0x7f, v115
	s_xor_b32 s28, exec_lo, s28
	s_cbranch_execnz .LBB2_1895
; %bb.1719:                             ;   in Loop: Header=BB2_1597 Depth=2
	s_or_saveexec_b32 s28, s28
	v_mov_b32_e32 v114, s27
	s_xor_b32 exec_lo, exec_lo, s28
	s_cbranch_execnz .LBB2_1898
.LBB2_1720:                             ;   in Loop: Header=BB2_1597 Depth=2
	s_or_b32 exec_lo, exec_lo, s28
	s_and_saveexec_b32 s27, s11
	s_cbranch_execz .LBB2_1722
.LBB2_1721:                             ;   in Loop: Header=BB2_1597 Depth=2
	v_lshrrev_b16 v117, 3, v102
	v_lshlrev_b32_e32 v118, 24, v102
	s_delay_alu instid0(VALU_DEP_2) | instskip(NEXT) | instid1(VALU_DEP_1)
	v_and_b32_e32 v117, 15, v117
	v_cmp_eq_u32_e32 vcc_lo, 0, v117
	v_and_b32_e32 v114, 7, v102
	s_delay_alu instid0(VALU_DEP_1) | instskip(NEXT) | instid1(VALU_DEP_1)
	v_clz_i32_u32_e32 v115, v114
	v_min_u32_e32 v115, 32, v115
	s_delay_alu instid0(VALU_DEP_1) | instskip(SKIP_1) | instid1(VALU_DEP_1)
	v_subrev_nc_u32_e32 v116, 28, v115
	v_sub_nc_u32_e32 v115, 29, v115
	v_dual_cndmask_b32 v115, v117, v115 :: v_dual_lshlrev_b32 v116, v116, v102
	s_delay_alu instid0(VALU_DEP_1) | instskip(NEXT) | instid1(VALU_DEP_2)
	v_and_b32_e32 v116, 7, v116
	v_lshl_add_u32 v115, v115, 23, 0x3b800000
	s_delay_alu instid0(VALU_DEP_2) | instskip(SKIP_1) | instid1(VALU_DEP_2)
	v_cndmask_b32_e32 v114, v114, v116, vcc_lo
	v_and_b32_e32 v116, 0x80000000, v118
	v_lshlrev_b32_e32 v114, 20, v114
	s_delay_alu instid0(VALU_DEP_1)
	v_or3_b32 v114, v116, v115, v114
.LBB2_1722:                             ;   in Loop: Header=BB2_1597 Depth=2
	s_or_b32 exec_lo, exec_lo, s27
	s_delay_alu instid0(VALU_DEP_1) | instskip(SKIP_1) | instid1(VALU_DEP_1)
	v_dual_max_f32 v114, v114, v114 :: v_dual_max_f32 v113, v113, v113
	s_mov_b32 s11, 0
	v_max_f32_e32 v113, v113, v114
	s_branch .LBB2_1724
.LBB2_1723:                             ;   in Loop: Header=BB2_1597 Depth=2
	s_mov_b32 s11, -1
                                        ; implicit-def: $vgpr113
.LBB2_1724:                             ;   in Loop: Header=BB2_1597 Depth=2
	s_delay_alu instid0(SALU_CYCLE_1)
	s_and_b32 vcc_lo, exec_lo, s11
	s_cbranch_vccz .LBB2_1734
; %bb.1725:                             ;   in Loop: Header=BB2_1597 Depth=2
	v_and_b32_e32 v114, 0xff, v103
	s_mov_b32 s11, 0
	s_mov_b32 s28, exec_lo
                                        ; implicit-def: $sgpr27
	s_delay_alu instid0(VALU_DEP_1)
	v_cmpx_lt_i16_e32 0x7f, v114
	s_xor_b32 s28, exec_lo, s28
	s_cbranch_execnz .LBB2_1899
; %bb.1726:                             ;   in Loop: Header=BB2_1597 Depth=2
	s_or_saveexec_b32 s28, s28
	v_mov_b32_e32 v113, s27
	s_xor_b32 exec_lo, exec_lo, s28
	s_cbranch_execnz .LBB2_1902
.LBB2_1727:                             ;   in Loop: Header=BB2_1597 Depth=2
	s_or_b32 exec_lo, exec_lo, s28
	s_and_saveexec_b32 s27, s11
	s_cbranch_execz .LBB2_1729
.LBB2_1728:                             ;   in Loop: Header=BB2_1597 Depth=2
	v_lshrrev_b16 v116, 3, v103
	s_delay_alu instid0(VALU_DEP_1) | instskip(NEXT) | instid1(VALU_DEP_1)
	v_and_b32_e32 v116, 15, v116
	v_cmp_eq_u32_e32 vcc_lo, 0, v116
	v_and_b32_e32 v113, 7, v103
	s_delay_alu instid0(VALU_DEP_1) | instskip(NEXT) | instid1(VALU_DEP_1)
	v_clz_i32_u32_e32 v114, v113
	v_min_u32_e32 v114, 32, v114
	s_delay_alu instid0(VALU_DEP_1) | instskip(SKIP_1) | instid1(VALU_DEP_1)
	v_subrev_nc_u32_e32 v115, 28, v114
	v_sub_nc_u32_e32 v114, 29, v114
	v_dual_cndmask_b32 v114, v116, v114 :: v_dual_lshlrev_b32 v115, v115, v103
	v_lshlrev_b32_e32 v103, 24, v103
	s_delay_alu instid0(VALU_DEP_2) | instskip(NEXT) | instid1(VALU_DEP_3)
	v_and_b32_e32 v115, 7, v115
	v_lshl_add_u32 v114, v114, 23, 0x3b800000
	s_delay_alu instid0(VALU_DEP_3) | instskip(NEXT) | instid1(VALU_DEP_3)
	v_and_b32_e32 v103, 0x80000000, v103
	v_cndmask_b32_e32 v113, v113, v115, vcc_lo
	s_delay_alu instid0(VALU_DEP_1) | instskip(NEXT) | instid1(VALU_DEP_1)
	v_lshlrev_b32_e32 v113, 20, v113
	v_or3_b32 v113, v103, v114, v113
.LBB2_1729:                             ;   in Loop: Header=BB2_1597 Depth=2
	s_or_b32 exec_lo, exec_lo, s27
	s_waitcnt vmcnt(3) lgkmcnt(3)
	v_and_b32_e32 v114, 0xff, v102
	s_mov_b32 s11, 0
	s_mov_b32 s28, exec_lo
                                        ; implicit-def: $sgpr27
	s_delay_alu instid0(VALU_DEP_1)
	v_cmpx_lt_i16_e32 0x7f, v114
	s_xor_b32 s28, exec_lo, s28
	s_cbranch_execnz .LBB2_1903
; %bb.1730:                             ;   in Loop: Header=BB2_1597 Depth=2
	s_or_saveexec_b32 s28, s28
	v_mov_b32_e32 v103, s27
	s_xor_b32 exec_lo, exec_lo, s28
	s_cbranch_execnz .LBB2_1906
.LBB2_1731:                             ;   in Loop: Header=BB2_1597 Depth=2
	s_or_b32 exec_lo, exec_lo, s28
	s_and_saveexec_b32 s27, s11
	s_cbranch_execz .LBB2_1733
.LBB2_1732:                             ;   in Loop: Header=BB2_1597 Depth=2
	v_and_b32_e32 v103, 7, v102
	v_lshrrev_b16 v116, 3, v102
	s_delay_alu instid0(VALU_DEP_2) | instskip(NEXT) | instid1(VALU_DEP_1)
	v_clz_i32_u32_e32 v114, v103
	v_min_u32_e32 v114, 32, v114
	s_delay_alu instid0(VALU_DEP_1) | instskip(SKIP_1) | instid1(VALU_DEP_2)
	v_subrev_nc_u32_e32 v115, 28, v114
	v_sub_nc_u32_e32 v114, 29, v114
	v_lshlrev_b32_e32 v115, v115, v102
	v_lshlrev_b32_e32 v102, 24, v102
	s_delay_alu instid0(VALU_DEP_2) | instskip(SKIP_1) | instid1(VALU_DEP_3)
	v_and_b32_e32 v115, 7, v115
	v_and_b32_e32 v116, 15, v116
	;; [unrolled: 1-line block ×3, first 2 shown]
	s_delay_alu instid0(VALU_DEP_2) | instskip(NEXT) | instid1(VALU_DEP_4)
	v_cmp_eq_u32_e32 vcc_lo, 0, v116
	v_dual_cndmask_b32 v103, v103, v115 :: v_dual_cndmask_b32 v114, v116, v114
	s_delay_alu instid0(VALU_DEP_1) | instskip(NEXT) | instid1(VALU_DEP_2)
	v_lshlrev_b32_e32 v103, 20, v103
	v_lshl_add_u32 v114, v114, 23, 0x3b800000
	s_delay_alu instid0(VALU_DEP_1)
	v_or3_b32 v103, v102, v114, v103
.LBB2_1733:                             ;   in Loop: Header=BB2_1597 Depth=2
	s_or_b32 exec_lo, exec_lo, s27
	s_delay_alu instid0(VALU_DEP_1) | instskip(NEXT) | instid1(VALU_DEP_1)
	v_dual_max_f32 v102, v103, v103 :: v_dual_max_f32 v103, v113, v113
	v_min_f32_e32 v113, v103, v102
.LBB2_1734:                             ;   in Loop: Header=BB2_1597 Depth=2
	s_waitcnt vmcnt(3) lgkmcnt(3)
	s_delay_alu instid0(VALU_DEP_1) | instskip(NEXT) | instid1(VALU_DEP_1)
	v_and_b32_e32 v102, 0x7f800000, v113
	v_cmp_ne_u32_e32 vcc_lo, 0x7f800000, v102
	v_mov_b32_e32 v102, 0x80
	s_and_saveexec_b32 s27, vcc_lo
	s_cbranch_execz .LBB2_1742
; %bb.1735:                             ;   in Loop: Header=BB2_1597 Depth=2
	v_mov_b32_e32 v102, 0
	s_mov_b32 s28, exec_lo
	v_cmpx_ne_u32_e32 0, v113
	s_cbranch_execz .LBB2_1741
; %bb.1736:                             ;   in Loop: Header=BB2_1597 Depth=2
	v_bfe_u32 v102, v113, 23, 8
	s_delay_alu instid0(VALU_DEP_1) | instskip(SKIP_1) | instid1(VALU_DEP_2)
	v_sub_nc_u32_e32 v114, 0x78, v102
	v_cmp_gt_u32_e32 vcc_lo, 0x79, v102
	v_dual_cndmask_b32 v114, 0, v114 :: v_dual_and_b32 v103, 0x7fffff, v113
	s_delay_alu instid0(VALU_DEP_1) | instskip(SKIP_2) | instid1(VALU_DEP_4)
	v_or_b32_e32 v115, 0x800000, v103
	v_cmp_eq_u32_e32 vcc_lo, 0, v102
	v_add_nc_u32_e32 v102, 0xffffff89, v102
	v_cndmask_b32_e64 v114, v114, 0x77, vcc_lo
	s_delay_alu instid0(VALU_DEP_4) | instskip(NEXT) | instid1(VALU_DEP_3)
	v_cndmask_b32_e32 v103, v115, v103, vcc_lo
	v_cndmask_b32_e64 v102, v102, 0xffffff8a, vcc_lo
	s_delay_alu instid0(VALU_DEP_3) | instskip(NEXT) | instid1(VALU_DEP_3)
	v_lshl_add_u32 v115, 0x100000, v114, -1
	v_lshrrev_b32_e32 v116, v114, v103
	v_lshlrev_b32_e64 v118, v114, 0x80000
	s_delay_alu instid0(VALU_DEP_4) | instskip(NEXT) | instid1(VALU_DEP_4)
	v_add_nc_u32_e32 v114, v114, v102
	v_and_b32_e32 v103, v115, v103
	s_delay_alu instid0(VALU_DEP_4) | instskip(NEXT) | instid1(VALU_DEP_2)
	v_bfe_u32 v117, v116, 20, 1
	v_cmp_eq_u32_e64 s11, v103, v118
	s_delay_alu instid0(VALU_DEP_2) | instskip(NEXT) | instid1(VALU_DEP_1)
	v_add_nc_u32_e32 v115, -1, v117
	v_cndmask_b32_e64 v103, 0, v115, s11
	v_lshrrev_b32_e32 v115, 23, v116
	s_mov_b32 s11, exec_lo
	s_delay_alu instid0(VALU_DEP_2) | instskip(NEXT) | instid1(VALU_DEP_2)
	v_add_nc_u32_e32 v103, v103, v116
	v_xor_b32_e32 v115, 1, v115
	s_delay_alu instid0(VALU_DEP_2) | instskip(NEXT) | instid1(VALU_DEP_1)
	v_and_b32_e32 v102, 0xfffff, v103
	v_add_nc_u32_e32 v103, v102, v116
                                        ; implicit-def: $vgpr102
	s_delay_alu instid0(VALU_DEP_3)
	v_cmpx_ne_u32_e64 v114, v115
	s_xor_b32 s11, exec_lo, s11
; %bb.1737:                             ;   in Loop: Header=BB2_1597 Depth=2
	s_delay_alu instid0(VALU_DEP_2) | instskip(SKIP_2) | instid1(VALU_DEP_2)
	v_cmp_lt_u32_e32 vcc_lo, 0xffffff, v103
	v_sub_nc_u32_e32 v102, v114, v115
	v_cndmask_b32_e64 v114, 0, 1, vcc_lo
	v_add_co_ci_u32_e32 v102, vcc_lo, 0, v102, vcc_lo
	s_delay_alu instid0(VALU_DEP_2)
	v_lshrrev_b32_e32 v103, v114, v103
; %bb.1738:                             ;   in Loop: Header=BB2_1597 Depth=2
	s_and_not1_saveexec_b32 s11, s11
; %bb.1739:                             ;   in Loop: Header=BB2_1597 Depth=2
	s_delay_alu instid0(VALU_DEP_1)
	v_bfe_u32 v102, v103, 23, 1
; %bb.1740:                             ;   in Loop: Header=BB2_1597 Depth=2
	s_or_b32 exec_lo, exec_lo, s11
	v_lshrrev_b32_e32 v103, 20, v103
	s_delay_alu instid0(VALU_DEP_2) | instskip(SKIP_2) | instid1(VALU_DEP_2)
	v_cmp_gt_i32_e32 vcc_lo, 16, v102
	v_min_i32_e32 v114, 15, v102
	v_lshrrev_b32_e32 v113, 24, v113
	v_dual_cndmask_b32 v103, 7, v103 :: v_dual_lshlrev_b32 v114, 3, v114
	s_delay_alu instid0(VALU_DEP_1) | instskip(SKIP_1) | instid1(VALU_DEP_2)
	v_or_b32_e32 v102, v102, v103
	v_and_b32_e32 v115, 7, v103
	v_cmp_ne_u32_e32 vcc_lo, 0, v102
	v_and_b32_e32 v113, 0x80, v113
	s_delay_alu instid0(VALU_DEP_1) | instskip(NEXT) | instid1(VALU_DEP_1)
	v_or3_b32 v103, v114, v113, v115
	v_cndmask_b32_e32 v102, 0, v103, vcc_lo
.LBB2_1741:                             ;   in Loop: Header=BB2_1597 Depth=2
	s_or_b32 exec_lo, exec_lo, s28
.LBB2_1742:                             ;   in Loop: Header=BB2_1597 Depth=2
	s_delay_alu instid0(SALU_CYCLE_1) | instskip(NEXT) | instid1(SALU_CYCLE_1)
	s_or_b32 exec_lo, exec_lo, s27
	s_and_not1_b32 vcc_lo, exec_lo, s25
	s_cbranch_vccnz .LBB2_1752
; %bb.1743:                             ;   in Loop: Header=BB2_1597 Depth=2
	v_and_b32_e32 v113, 0xff, v100
	s_mov_b32 s11, 0
	s_mov_b32 s28, exec_lo
                                        ; implicit-def: $sgpr27
	s_delay_alu instid0(VALU_DEP_1)
	v_cmpx_lt_i16_e32 0x7f, v113
	s_xor_b32 s28, exec_lo, s28
	s_cbranch_execnz .LBB2_1907
; %bb.1744:                             ;   in Loop: Header=BB2_1597 Depth=2
	s_or_saveexec_b32 s28, s28
	v_mov_b32_e32 v103, s27
	s_xor_b32 exec_lo, exec_lo, s28
	s_cbranch_execnz .LBB2_1910
.LBB2_1745:                             ;   in Loop: Header=BB2_1597 Depth=2
	s_or_b32 exec_lo, exec_lo, s28
	s_and_saveexec_b32 s27, s11
	s_cbranch_execz .LBB2_1747
.LBB2_1746:                             ;   in Loop: Header=BB2_1597 Depth=2
	v_and_b32_e32 v103, 7, v100
	v_lshrrev_b16 v115, 3, v100
	s_delay_alu instid0(VALU_DEP_2) | instskip(NEXT) | instid1(VALU_DEP_2)
	v_clz_i32_u32_e32 v113, v103
	v_and_b32_e32 v115, 15, v115
	s_delay_alu instid0(VALU_DEP_2) | instskip(NEXT) | instid1(VALU_DEP_2)
	v_min_u32_e32 v113, 32, v113
	v_cmp_eq_u32_e32 vcc_lo, 0, v115
	s_delay_alu instid0(VALU_DEP_2) | instskip(SKIP_1) | instid1(VALU_DEP_1)
	v_subrev_nc_u32_e32 v114, 28, v113
	v_sub_nc_u32_e32 v113, 29, v113
	v_dual_cndmask_b32 v113, v115, v113 :: v_dual_lshlrev_b32 v114, v114, v100
	s_delay_alu instid0(VALU_DEP_1) | instskip(SKIP_1) | instid1(VALU_DEP_3)
	v_and_b32_e32 v114, 7, v114
	v_lshlrev_b32_e32 v116, 24, v100
	v_lshl_add_u32 v113, v113, 23, 0x3b800000
	s_delay_alu instid0(VALU_DEP_2) | instskip(NEXT) | instid1(VALU_DEP_1)
	v_dual_cndmask_b32 v103, v103, v114 :: v_dual_and_b32 v114, 0x80000000, v116
	v_lshlrev_b32_e32 v103, 20, v103
	s_delay_alu instid0(VALU_DEP_1)
	v_or3_b32 v103, v114, v113, v103
.LBB2_1747:                             ;   in Loop: Header=BB2_1597 Depth=2
	s_or_b32 exec_lo, exec_lo, s27
	s_waitcnt vmcnt(2) lgkmcnt(2)
	v_and_b32_e32 v114, 0xff, v99
	s_mov_b32 s11, 0
	s_mov_b32 s28, exec_lo
                                        ; implicit-def: $sgpr27
	s_delay_alu instid0(VALU_DEP_1)
	v_cmpx_lt_i16_e32 0x7f, v114
	s_xor_b32 s28, exec_lo, s28
	s_cbranch_execnz .LBB2_1911
; %bb.1748:                             ;   in Loop: Header=BB2_1597 Depth=2
	s_or_saveexec_b32 s28, s28
	v_mov_b32_e32 v113, s27
	s_xor_b32 exec_lo, exec_lo, s28
	s_cbranch_execnz .LBB2_1914
.LBB2_1749:                             ;   in Loop: Header=BB2_1597 Depth=2
	s_or_b32 exec_lo, exec_lo, s28
	s_and_saveexec_b32 s27, s11
	s_cbranch_execz .LBB2_1751
.LBB2_1750:                             ;   in Loop: Header=BB2_1597 Depth=2
	v_lshrrev_b16 v116, 3, v99
	v_lshlrev_b32_e32 v117, 24, v99
	s_delay_alu instid0(VALU_DEP_2) | instskip(NEXT) | instid1(VALU_DEP_1)
	v_and_b32_e32 v116, 15, v116
	v_cmp_eq_u32_e32 vcc_lo, 0, v116
	v_and_b32_e32 v113, 7, v99
	s_delay_alu instid0(VALU_DEP_1) | instskip(NEXT) | instid1(VALU_DEP_1)
	v_clz_i32_u32_e32 v114, v113
	v_min_u32_e32 v114, 32, v114
	s_delay_alu instid0(VALU_DEP_1) | instskip(SKIP_1) | instid1(VALU_DEP_1)
	v_subrev_nc_u32_e32 v115, 28, v114
	v_sub_nc_u32_e32 v114, 29, v114
	v_dual_cndmask_b32 v114, v116, v114 :: v_dual_lshlrev_b32 v115, v115, v99
	s_delay_alu instid0(VALU_DEP_1) | instskip(NEXT) | instid1(VALU_DEP_2)
	v_and_b32_e32 v115, 7, v115
	v_lshl_add_u32 v114, v114, 23, 0x3b800000
	s_delay_alu instid0(VALU_DEP_2) | instskip(SKIP_1) | instid1(VALU_DEP_2)
	v_cndmask_b32_e32 v113, v113, v115, vcc_lo
	v_and_b32_e32 v115, 0x80000000, v117
	v_lshlrev_b32_e32 v113, 20, v113
	s_delay_alu instid0(VALU_DEP_1)
	v_or3_b32 v113, v115, v114, v113
.LBB2_1751:                             ;   in Loop: Header=BB2_1597 Depth=2
	s_or_b32 exec_lo, exec_lo, s27
	s_delay_alu instid0(VALU_DEP_1) | instskip(SKIP_2) | instid1(VALU_DEP_1)
	v_max_f32_e32 v113, v113, v113
	v_max_f32_e32 v103, v103, v103
	s_mov_b32 s11, 0
	v_max_f32_e32 v103, v103, v113
	s_branch .LBB2_1753
.LBB2_1752:                             ;   in Loop: Header=BB2_1597 Depth=2
	s_mov_b32 s11, -1
                                        ; implicit-def: $vgpr103
.LBB2_1753:                             ;   in Loop: Header=BB2_1597 Depth=2
	s_delay_alu instid0(SALU_CYCLE_1)
	s_and_b32 vcc_lo, exec_lo, s11
	s_cbranch_vccz .LBB2_1763
; %bb.1754:                             ;   in Loop: Header=BB2_1597 Depth=2
	v_and_b32_e32 v113, 0xff, v100
	s_mov_b32 s11, 0
	s_mov_b32 s28, exec_lo
                                        ; implicit-def: $sgpr27
	s_delay_alu instid0(VALU_DEP_1)
	v_cmpx_lt_i16_e32 0x7f, v113
	s_xor_b32 s28, exec_lo, s28
	s_cbranch_execnz .LBB2_1915
; %bb.1755:                             ;   in Loop: Header=BB2_1597 Depth=2
	s_or_saveexec_b32 s28, s28
	v_mov_b32_e32 v103, s27
	s_xor_b32 exec_lo, exec_lo, s28
	s_cbranch_execnz .LBB2_1918
.LBB2_1756:                             ;   in Loop: Header=BB2_1597 Depth=2
	s_or_b32 exec_lo, exec_lo, s28
	s_and_saveexec_b32 s27, s11
	s_cbranch_execz .LBB2_1758
.LBB2_1757:                             ;   in Loop: Header=BB2_1597 Depth=2
	v_and_b32_e32 v103, 7, v100
	v_lshrrev_b16 v115, 3, v100
	s_delay_alu instid0(VALU_DEP_2) | instskip(NEXT) | instid1(VALU_DEP_2)
	v_clz_i32_u32_e32 v113, v103
	v_and_b32_e32 v115, 15, v115
	s_delay_alu instid0(VALU_DEP_2) | instskip(NEXT) | instid1(VALU_DEP_2)
	v_min_u32_e32 v113, 32, v113
	v_cmp_eq_u32_e32 vcc_lo, 0, v115
	s_delay_alu instid0(VALU_DEP_2) | instskip(SKIP_1) | instid1(VALU_DEP_1)
	v_subrev_nc_u32_e32 v114, 28, v113
	v_sub_nc_u32_e32 v113, 29, v113
	v_dual_cndmask_b32 v113, v115, v113 :: v_dual_lshlrev_b32 v114, v114, v100
	s_delay_alu instid0(VALU_DEP_1) | instskip(SKIP_1) | instid1(VALU_DEP_3)
	v_and_b32_e32 v114, 7, v114
	v_lshlrev_b32_e32 v100, 24, v100
	v_lshl_add_u32 v113, v113, 23, 0x3b800000
	s_delay_alu instid0(VALU_DEP_2) | instskip(NEXT) | instid1(VALU_DEP_1)
	v_dual_cndmask_b32 v103, v103, v114 :: v_dual_and_b32 v100, 0x80000000, v100
	v_lshlrev_b32_e32 v103, 20, v103
	s_delay_alu instid0(VALU_DEP_1)
	v_or3_b32 v103, v100, v113, v103
.LBB2_1758:                             ;   in Loop: Header=BB2_1597 Depth=2
	s_or_b32 exec_lo, exec_lo, s27
	s_waitcnt vmcnt(2) lgkmcnt(2)
	v_and_b32_e32 v113, 0xff, v99
	s_mov_b32 s11, 0
	s_mov_b32 s28, exec_lo
                                        ; implicit-def: $sgpr27
	s_delay_alu instid0(VALU_DEP_1)
	v_cmpx_lt_i16_e32 0x7f, v113
	s_xor_b32 s28, exec_lo, s28
	s_cbranch_execnz .LBB2_1919
; %bb.1759:                             ;   in Loop: Header=BB2_1597 Depth=2
	s_or_saveexec_b32 s28, s28
	v_mov_b32_e32 v100, s27
	s_xor_b32 exec_lo, exec_lo, s28
	s_cbranch_execnz .LBB2_1922
.LBB2_1760:                             ;   in Loop: Header=BB2_1597 Depth=2
	s_or_b32 exec_lo, exec_lo, s28
	s_and_saveexec_b32 s27, s11
	s_cbranch_execz .LBB2_1762
.LBB2_1761:                             ;   in Loop: Header=BB2_1597 Depth=2
	v_lshrrev_b16 v115, 3, v99
	s_delay_alu instid0(VALU_DEP_1) | instskip(NEXT) | instid1(VALU_DEP_1)
	v_and_b32_e32 v115, 15, v115
	v_cmp_eq_u32_e32 vcc_lo, 0, v115
	v_and_b32_e32 v100, 7, v99
	s_delay_alu instid0(VALU_DEP_1) | instskip(NEXT) | instid1(VALU_DEP_1)
	v_clz_i32_u32_e32 v113, v100
	v_min_u32_e32 v113, 32, v113
	s_delay_alu instid0(VALU_DEP_1) | instskip(SKIP_1) | instid1(VALU_DEP_1)
	v_subrev_nc_u32_e32 v114, 28, v113
	v_sub_nc_u32_e32 v113, 29, v113
	v_dual_cndmask_b32 v113, v115, v113 :: v_dual_lshlrev_b32 v114, v114, v99
	v_lshlrev_b32_e32 v99, 24, v99
	s_delay_alu instid0(VALU_DEP_2) | instskip(NEXT) | instid1(VALU_DEP_3)
	v_and_b32_e32 v114, 7, v114
	v_lshl_add_u32 v113, v113, 23, 0x3b800000
	s_delay_alu instid0(VALU_DEP_2) | instskip(NEXT) | instid1(VALU_DEP_1)
	v_dual_cndmask_b32 v100, v100, v114 :: v_dual_and_b32 v99, 0x80000000, v99
	v_lshlrev_b32_e32 v100, 20, v100
	s_delay_alu instid0(VALU_DEP_1)
	v_or3_b32 v100, v99, v113, v100
.LBB2_1762:                             ;   in Loop: Header=BB2_1597 Depth=2
	s_or_b32 exec_lo, exec_lo, s27
	s_delay_alu instid0(VALU_DEP_1) | instskip(NEXT) | instid1(VALU_DEP_1)
	v_dual_max_f32 v99, v100, v100 :: v_dual_max_f32 v100, v103, v103
	v_min_f32_e32 v103, v100, v99
.LBB2_1763:                             ;   in Loop: Header=BB2_1597 Depth=2
	s_waitcnt vmcnt(2) lgkmcnt(2)
	s_delay_alu instid0(VALU_DEP_1) | instskip(NEXT) | instid1(VALU_DEP_1)
	v_and_b32_e32 v99, 0x7f800000, v103
	v_cmp_ne_u32_e32 vcc_lo, 0x7f800000, v99
	v_mov_b32_e32 v99, 0x80
	s_and_saveexec_b32 s27, vcc_lo
	s_cbranch_execz .LBB2_1771
; %bb.1764:                             ;   in Loop: Header=BB2_1597 Depth=2
	v_mov_b32_e32 v99, 0
	s_mov_b32 s28, exec_lo
	v_cmpx_ne_u32_e32 0, v103
	s_cbranch_execz .LBB2_1770
; %bb.1765:                             ;   in Loop: Header=BB2_1597 Depth=2
	v_bfe_u32 v99, v103, 23, 8
	s_delay_alu instid0(VALU_DEP_1) | instskip(SKIP_1) | instid1(VALU_DEP_2)
	v_sub_nc_u32_e32 v113, 0x78, v99
	v_cmp_gt_u32_e32 vcc_lo, 0x79, v99
	v_dual_cndmask_b32 v113, 0, v113 :: v_dual_and_b32 v100, 0x7fffff, v103
	s_delay_alu instid0(VALU_DEP_1) | instskip(SKIP_2) | instid1(VALU_DEP_4)
	v_or_b32_e32 v114, 0x800000, v100
	v_cmp_eq_u32_e32 vcc_lo, 0, v99
	v_add_nc_u32_e32 v99, 0xffffff89, v99
	v_cndmask_b32_e64 v113, v113, 0x77, vcc_lo
	s_delay_alu instid0(VALU_DEP_4) | instskip(NEXT) | instid1(VALU_DEP_3)
	v_cndmask_b32_e32 v100, v114, v100, vcc_lo
	v_cndmask_b32_e64 v99, v99, 0xffffff8a, vcc_lo
	s_delay_alu instid0(VALU_DEP_3) | instskip(NEXT) | instid1(VALU_DEP_3)
	v_lshl_add_u32 v114, 0x100000, v113, -1
	v_lshrrev_b32_e32 v115, v113, v100
	v_lshlrev_b32_e64 v117, v113, 0x80000
	s_delay_alu instid0(VALU_DEP_4) | instskip(NEXT) | instid1(VALU_DEP_4)
	v_add_nc_u32_e32 v113, v113, v99
	v_and_b32_e32 v100, v114, v100
	s_delay_alu instid0(VALU_DEP_4) | instskip(NEXT) | instid1(VALU_DEP_2)
	v_bfe_u32 v116, v115, 20, 1
	v_cmp_eq_u32_e64 s11, v100, v117
	s_delay_alu instid0(VALU_DEP_2) | instskip(NEXT) | instid1(VALU_DEP_1)
	v_add_nc_u32_e32 v114, -1, v116
	v_cndmask_b32_e64 v100, 0, v114, s11
	v_lshrrev_b32_e32 v114, 23, v115
	s_mov_b32 s11, exec_lo
	s_delay_alu instid0(VALU_DEP_2) | instskip(NEXT) | instid1(VALU_DEP_2)
	v_add_nc_u32_e32 v100, v100, v115
	v_xor_b32_e32 v114, 1, v114
	s_delay_alu instid0(VALU_DEP_2) | instskip(NEXT) | instid1(VALU_DEP_1)
	v_and_b32_e32 v99, 0xfffff, v100
	v_add_nc_u32_e32 v100, v99, v115
                                        ; implicit-def: $vgpr99
	s_delay_alu instid0(VALU_DEP_3)
	v_cmpx_ne_u32_e64 v113, v114
	s_xor_b32 s11, exec_lo, s11
; %bb.1766:                             ;   in Loop: Header=BB2_1597 Depth=2
	s_delay_alu instid0(VALU_DEP_2) | instskip(SKIP_2) | instid1(VALU_DEP_2)
	v_cmp_lt_u32_e32 vcc_lo, 0xffffff, v100
	v_sub_nc_u32_e32 v99, v113, v114
	v_cndmask_b32_e64 v113, 0, 1, vcc_lo
	v_add_co_ci_u32_e32 v99, vcc_lo, 0, v99, vcc_lo
	s_delay_alu instid0(VALU_DEP_2)
	v_lshrrev_b32_e32 v100, v113, v100
; %bb.1767:                             ;   in Loop: Header=BB2_1597 Depth=2
	s_and_not1_saveexec_b32 s11, s11
; %bb.1768:                             ;   in Loop: Header=BB2_1597 Depth=2
	s_delay_alu instid0(VALU_DEP_1)
	v_bfe_u32 v99, v100, 23, 1
; %bb.1769:                             ;   in Loop: Header=BB2_1597 Depth=2
	s_or_b32 exec_lo, exec_lo, s11
	v_lshrrev_b32_e32 v100, 20, v100
	s_delay_alu instid0(VALU_DEP_2) | instskip(SKIP_2) | instid1(VALU_DEP_2)
	v_cmp_gt_i32_e32 vcc_lo, 16, v99
	v_lshrrev_b32_e32 v103, 24, v103
	v_min_i32_e32 v113, 15, v99
	v_dual_cndmask_b32 v100, 7, v100 :: v_dual_and_b32 v103, 0x80, v103
	s_delay_alu instid0(VALU_DEP_2) | instskip(NEXT) | instid1(VALU_DEP_2)
	v_lshlrev_b32_e32 v113, 3, v113
	v_and_b32_e32 v114, 7, v100
	v_or_b32_e32 v99, v99, v100
	s_delay_alu instid0(VALU_DEP_2) | instskip(NEXT) | instid1(VALU_DEP_2)
	v_or3_b32 v100, v113, v103, v114
	v_cmp_ne_u32_e32 vcc_lo, 0, v99
	s_delay_alu instid0(VALU_DEP_2)
	v_cndmask_b32_e32 v99, 0, v100, vcc_lo
.LBB2_1770:                             ;   in Loop: Header=BB2_1597 Depth=2
	s_or_b32 exec_lo, exec_lo, s28
.LBB2_1771:                             ;   in Loop: Header=BB2_1597 Depth=2
	s_delay_alu instid0(SALU_CYCLE_1) | instskip(NEXT) | instid1(SALU_CYCLE_1)
	s_or_b32 exec_lo, exec_lo, s27
	s_and_not1_b32 vcc_lo, exec_lo, s25
	s_cbranch_vccnz .LBB2_1781
; %bb.1772:                             ;   in Loop: Header=BB2_1597 Depth=2
	v_and_b32_e32 v103, 0xff, v55
	s_mov_b32 s11, 0
	s_mov_b32 s28, exec_lo
                                        ; implicit-def: $sgpr27
	s_delay_alu instid0(VALU_DEP_1)
	v_cmpx_lt_i16_e32 0x7f, v103
	s_xor_b32 s28, exec_lo, s28
	s_cbranch_execnz .LBB2_1923
; %bb.1773:                             ;   in Loop: Header=BB2_1597 Depth=2
	s_or_saveexec_b32 s28, s28
	v_mov_b32_e32 v100, s27
	s_xor_b32 exec_lo, exec_lo, s28
	s_cbranch_execnz .LBB2_1926
.LBB2_1774:                             ;   in Loop: Header=BB2_1597 Depth=2
	s_or_b32 exec_lo, exec_lo, s28
	s_and_saveexec_b32 s27, s11
	s_cbranch_execz .LBB2_1776
.LBB2_1775:                             ;   in Loop: Header=BB2_1597 Depth=2
	v_and_b32_e32 v100, 7, v55
	v_lshrrev_b16 v114, 3, v55
	s_delay_alu instid0(VALU_DEP_2) | instskip(NEXT) | instid1(VALU_DEP_2)
	v_clz_i32_u32_e32 v103, v100
	v_and_b32_e32 v114, 15, v114
	s_delay_alu instid0(VALU_DEP_2) | instskip(NEXT) | instid1(VALU_DEP_2)
	v_min_u32_e32 v103, 32, v103
	v_cmp_eq_u32_e32 vcc_lo, 0, v114
	s_delay_alu instid0(VALU_DEP_2) | instskip(SKIP_1) | instid1(VALU_DEP_2)
	v_subrev_nc_u32_e32 v113, 28, v103
	v_sub_nc_u32_e32 v103, 29, v103
	v_lshlrev_b32_e32 v113, v113, v55
	s_delay_alu instid0(VALU_DEP_1) | instskip(NEXT) | instid1(VALU_DEP_1)
	v_and_b32_e32 v113, 7, v113
	v_dual_cndmask_b32 v100, v100, v113 :: v_dual_lshlrev_b32 v115, 24, v55
	s_delay_alu instid0(VALU_DEP_4) | instskip(NEXT) | instid1(VALU_DEP_2)
	v_cndmask_b32_e32 v103, v114, v103, vcc_lo
	v_and_b32_e32 v113, 0x80000000, v115
	s_delay_alu instid0(VALU_DEP_3) | instskip(NEXT) | instid1(VALU_DEP_3)
	v_lshlrev_b32_e32 v100, 20, v100
	v_lshl_add_u32 v103, v103, 23, 0x3b800000
	s_delay_alu instid0(VALU_DEP_1)
	v_or3_b32 v100, v113, v103, v100
.LBB2_1776:                             ;   in Loop: Header=BB2_1597 Depth=2
	s_or_b32 exec_lo, exec_lo, s27
	s_waitcnt vmcnt(1) lgkmcnt(1)
	v_and_b32_e32 v113, 0xff, v54
	s_mov_b32 s11, 0
	s_mov_b32 s28, exec_lo
                                        ; implicit-def: $sgpr27
	s_delay_alu instid0(VALU_DEP_1)
	v_cmpx_lt_i16_e32 0x7f, v113
	s_xor_b32 s28, exec_lo, s28
	s_cbranch_execnz .LBB2_1927
; %bb.1777:                             ;   in Loop: Header=BB2_1597 Depth=2
	s_or_saveexec_b32 s28, s28
	v_mov_b32_e32 v103, s27
	s_xor_b32 exec_lo, exec_lo, s28
	s_cbranch_execnz .LBB2_1930
.LBB2_1778:                             ;   in Loop: Header=BB2_1597 Depth=2
	s_or_b32 exec_lo, exec_lo, s28
	s_and_saveexec_b32 s27, s11
	s_cbranch_execz .LBB2_1780
.LBB2_1779:                             ;   in Loop: Header=BB2_1597 Depth=2
	v_and_b32_e32 v103, 7, v54
	v_lshrrev_b16 v115, 3, v54
	v_lshlrev_b32_e32 v116, 24, v54
	s_delay_alu instid0(VALU_DEP_3) | instskip(NEXT) | instid1(VALU_DEP_3)
	v_clz_i32_u32_e32 v113, v103
	v_and_b32_e32 v115, 15, v115
	s_delay_alu instid0(VALU_DEP_2) | instskip(NEXT) | instid1(VALU_DEP_2)
	v_min_u32_e32 v113, 32, v113
	v_cmp_eq_u32_e32 vcc_lo, 0, v115
	s_delay_alu instid0(VALU_DEP_2) | instskip(SKIP_1) | instid1(VALU_DEP_1)
	v_subrev_nc_u32_e32 v114, 28, v113
	v_sub_nc_u32_e32 v113, 29, v113
	v_dual_cndmask_b32 v113, v115, v113 :: v_dual_lshlrev_b32 v114, v114, v54
	s_delay_alu instid0(VALU_DEP_1) | instskip(NEXT) | instid1(VALU_DEP_2)
	v_and_b32_e32 v114, 7, v114
	v_lshl_add_u32 v113, v113, 23, 0x3b800000
	s_delay_alu instid0(VALU_DEP_2) | instskip(NEXT) | instid1(VALU_DEP_1)
	v_dual_cndmask_b32 v103, v103, v114 :: v_dual_and_b32 v114, 0x80000000, v116
	v_lshlrev_b32_e32 v103, 20, v103
	s_delay_alu instid0(VALU_DEP_1)
	v_or3_b32 v103, v114, v113, v103
.LBB2_1780:                             ;   in Loop: Header=BB2_1597 Depth=2
	s_or_b32 exec_lo, exec_lo, s27
	s_delay_alu instid0(VALU_DEP_1) | instskip(SKIP_1) | instid1(VALU_DEP_1)
	v_dual_max_f32 v103, v103, v103 :: v_dual_max_f32 v100, v100, v100
	s_mov_b32 s11, 0
	v_max_f32_e32 v100, v100, v103
	s_branch .LBB2_1782
.LBB2_1781:                             ;   in Loop: Header=BB2_1597 Depth=2
	s_mov_b32 s11, -1
                                        ; implicit-def: $vgpr100
.LBB2_1782:                             ;   in Loop: Header=BB2_1597 Depth=2
	s_delay_alu instid0(SALU_CYCLE_1)
	s_and_b32 vcc_lo, exec_lo, s11
	s_cbranch_vccz .LBB2_1792
; %bb.1783:                             ;   in Loop: Header=BB2_1597 Depth=2
	v_and_b32_e32 v103, 0xff, v55
	s_mov_b32 s11, 0
	s_mov_b32 s28, exec_lo
                                        ; implicit-def: $sgpr27
	s_delay_alu instid0(VALU_DEP_1)
	v_cmpx_lt_i16_e32 0x7f, v103
	s_xor_b32 s28, exec_lo, s28
	s_cbranch_execnz .LBB2_1931
; %bb.1784:                             ;   in Loop: Header=BB2_1597 Depth=2
	s_or_saveexec_b32 s28, s28
	v_mov_b32_e32 v100, s27
	s_xor_b32 exec_lo, exec_lo, s28
	s_cbranch_execnz .LBB2_1934
.LBB2_1785:                             ;   in Loop: Header=BB2_1597 Depth=2
	s_or_b32 exec_lo, exec_lo, s28
	s_and_saveexec_b32 s27, s11
	s_cbranch_execz .LBB2_1787
.LBB2_1786:                             ;   in Loop: Header=BB2_1597 Depth=2
	v_and_b32_e32 v100, 7, v55
	v_lshrrev_b16 v114, 3, v55
	s_delay_alu instid0(VALU_DEP_2) | instskip(NEXT) | instid1(VALU_DEP_2)
	v_clz_i32_u32_e32 v103, v100
	v_and_b32_e32 v114, 15, v114
	s_delay_alu instid0(VALU_DEP_2) | instskip(NEXT) | instid1(VALU_DEP_2)
	v_min_u32_e32 v103, 32, v103
	v_cmp_eq_u32_e32 vcc_lo, 0, v114
	s_delay_alu instid0(VALU_DEP_2) | instskip(SKIP_1) | instid1(VALU_DEP_2)
	v_subrev_nc_u32_e32 v113, 28, v103
	v_sub_nc_u32_e32 v103, 29, v103
	v_lshlrev_b32_e32 v113, v113, v55
	s_delay_alu instid0(VALU_DEP_1) | instskip(NEXT) | instid1(VALU_DEP_1)
	v_and_b32_e32 v113, 7, v113
	v_dual_cndmask_b32 v100, v100, v113 :: v_dual_lshlrev_b32 v55, 24, v55
	s_delay_alu instid0(VALU_DEP_4) | instskip(NEXT) | instid1(VALU_DEP_2)
	v_cndmask_b32_e32 v103, v114, v103, vcc_lo
	v_and_b32_e32 v55, 0x80000000, v55
	s_delay_alu instid0(VALU_DEP_3) | instskip(NEXT) | instid1(VALU_DEP_3)
	v_lshlrev_b32_e32 v100, 20, v100
	v_lshl_add_u32 v103, v103, 23, 0x3b800000
	s_delay_alu instid0(VALU_DEP_1)
	v_or3_b32 v100, v55, v103, v100
.LBB2_1787:                             ;   in Loop: Header=BB2_1597 Depth=2
	s_or_b32 exec_lo, exec_lo, s27
	s_waitcnt vmcnt(1) lgkmcnt(1)
	v_and_b32_e32 v103, 0xff, v54
	s_mov_b32 s11, 0
	s_mov_b32 s28, exec_lo
                                        ; implicit-def: $sgpr27
	s_delay_alu instid0(VALU_DEP_1)
	v_cmpx_lt_i16_e32 0x7f, v103
	s_xor_b32 s28, exec_lo, s28
	s_cbranch_execnz .LBB2_1935
; %bb.1788:                             ;   in Loop: Header=BB2_1597 Depth=2
	s_or_saveexec_b32 s28, s28
	v_mov_b32_e32 v55, s27
	s_xor_b32 exec_lo, exec_lo, s28
	s_cbranch_execnz .LBB2_1938
.LBB2_1789:                             ;   in Loop: Header=BB2_1597 Depth=2
	s_or_b32 exec_lo, exec_lo, s28
	s_and_saveexec_b32 s27, s11
	s_cbranch_execz .LBB2_1791
.LBB2_1790:                             ;   in Loop: Header=BB2_1597 Depth=2
	v_and_b32_e32 v55, 7, v54
	v_lshrrev_b16 v114, 3, v54
	s_delay_alu instid0(VALU_DEP_2) | instskip(NEXT) | instid1(VALU_DEP_1)
	v_clz_i32_u32_e32 v103, v55
	v_min_u32_e32 v103, 32, v103
	s_delay_alu instid0(VALU_DEP_1) | instskip(SKIP_1) | instid1(VALU_DEP_2)
	v_subrev_nc_u32_e32 v113, 28, v103
	v_sub_nc_u32_e32 v103, 29, v103
	v_lshlrev_b32_e32 v113, v113, v54
	s_delay_alu instid0(VALU_DEP_1) | instskip(SKIP_1) | instid1(VALU_DEP_1)
	v_and_b32_e32 v113, 7, v113
	v_and_b32_e32 v114, 15, v114
	v_cmp_eq_u32_e32 vcc_lo, 0, v114
	s_delay_alu instid0(VALU_DEP_3) | instskip(SKIP_1) | instid1(VALU_DEP_2)
	v_dual_cndmask_b32 v55, v55, v113 :: v_dual_lshlrev_b32 v54, 24, v54
	v_cndmask_b32_e32 v103, v114, v103, vcc_lo
	v_lshlrev_b32_e32 v55, 20, v55
	s_delay_alu instid0(VALU_DEP_3) | instskip(NEXT) | instid1(VALU_DEP_3)
	v_and_b32_e32 v54, 0x80000000, v54
	v_lshl_add_u32 v103, v103, 23, 0x3b800000
	s_delay_alu instid0(VALU_DEP_1)
	v_or3_b32 v55, v54, v103, v55
.LBB2_1791:                             ;   in Loop: Header=BB2_1597 Depth=2
	s_or_b32 exec_lo, exec_lo, s27
	s_delay_alu instid0(VALU_DEP_1) | instskip(NEXT) | instid1(VALU_DEP_1)
	v_dual_max_f32 v54, v55, v55 :: v_dual_max_f32 v55, v100, v100
	v_min_f32_e32 v100, v55, v54
.LBB2_1792:                             ;   in Loop: Header=BB2_1597 Depth=2
	s_waitcnt vmcnt(1) lgkmcnt(1)
	s_delay_alu instid0(VALU_DEP_1) | instskip(NEXT) | instid1(VALU_DEP_1)
	v_and_b32_e32 v54, 0x7f800000, v100
	v_cmp_ne_u32_e32 vcc_lo, 0x7f800000, v54
	v_mov_b32_e32 v54, 0x80
	s_and_saveexec_b32 s27, vcc_lo
	s_cbranch_execz .LBB2_1800
; %bb.1793:                             ;   in Loop: Header=BB2_1597 Depth=2
	v_mov_b32_e32 v54, 0
	s_mov_b32 s28, exec_lo
	v_cmpx_ne_u32_e32 0, v100
	s_cbranch_execz .LBB2_1799
; %bb.1794:                             ;   in Loop: Header=BB2_1597 Depth=2
	v_bfe_u32 v54, v100, 23, 8
	v_and_b32_e32 v55, 0x7fffff, v100
	s_delay_alu instid0(VALU_DEP_2) | instskip(SKIP_1) | instid1(VALU_DEP_3)
	v_sub_nc_u32_e32 v103, 0x78, v54
	v_cmp_gt_u32_e32 vcc_lo, 0x79, v54
	v_or_b32_e32 v113, 0x800000, v55
	s_delay_alu instid0(VALU_DEP_3) | instskip(SKIP_2) | instid1(VALU_DEP_3)
	v_cndmask_b32_e32 v103, 0, v103, vcc_lo
	v_cmp_eq_u32_e32 vcc_lo, 0, v54
	v_add_nc_u32_e32 v54, 0xffffff89, v54
	v_cndmask_b32_e64 v103, v103, 0x77, vcc_lo
	v_cndmask_b32_e32 v55, v113, v55, vcc_lo
	s_delay_alu instid0(VALU_DEP_3) | instskip(NEXT) | instid1(VALU_DEP_3)
	v_cndmask_b32_e64 v54, v54, 0xffffff8a, vcc_lo
	v_lshl_add_u32 v113, 0x100000, v103, -1
	s_delay_alu instid0(VALU_DEP_3) | instskip(SKIP_1) | instid1(VALU_DEP_4)
	v_lshrrev_b32_e32 v114, v103, v55
	v_lshlrev_b32_e64 v116, v103, 0x80000
	v_add_nc_u32_e32 v103, v103, v54
	s_delay_alu instid0(VALU_DEP_4) | instskip(NEXT) | instid1(VALU_DEP_4)
	v_and_b32_e32 v55, v113, v55
	v_bfe_u32 v115, v114, 20, 1
	s_delay_alu instid0(VALU_DEP_2) | instskip(NEXT) | instid1(VALU_DEP_2)
	v_cmp_eq_u32_e64 s11, v55, v116
	v_add_nc_u32_e32 v113, -1, v115
	s_delay_alu instid0(VALU_DEP_1) | instskip(SKIP_2) | instid1(VALU_DEP_2)
	v_cndmask_b32_e64 v55, 0, v113, s11
	v_lshrrev_b32_e32 v113, 23, v114
	s_mov_b32 s11, exec_lo
	v_add_nc_u32_e32 v55, v55, v114
	s_delay_alu instid0(VALU_DEP_2) | instskip(NEXT) | instid1(VALU_DEP_2)
	v_xor_b32_e32 v113, 1, v113
	v_and_b32_e32 v54, 0xfffff, v55
	s_delay_alu instid0(VALU_DEP_1) | instskip(NEXT) | instid1(VALU_DEP_3)
	v_add_nc_u32_e32 v55, v54, v114
                                        ; implicit-def: $vgpr54
	v_cmpx_ne_u32_e64 v103, v113
	s_xor_b32 s11, exec_lo, s11
; %bb.1795:                             ;   in Loop: Header=BB2_1597 Depth=2
	s_delay_alu instid0(VALU_DEP_2) | instskip(SKIP_2) | instid1(VALU_DEP_2)
	v_cmp_lt_u32_e32 vcc_lo, 0xffffff, v55
	v_sub_nc_u32_e32 v54, v103, v113
	v_cndmask_b32_e64 v103, 0, 1, vcc_lo
	v_add_co_ci_u32_e32 v54, vcc_lo, 0, v54, vcc_lo
	s_delay_alu instid0(VALU_DEP_2)
	v_lshrrev_b32_e32 v55, v103, v55
; %bb.1796:                             ;   in Loop: Header=BB2_1597 Depth=2
	s_and_not1_saveexec_b32 s11, s11
; %bb.1797:                             ;   in Loop: Header=BB2_1597 Depth=2
	s_delay_alu instid0(VALU_DEP_1)
	v_bfe_u32 v54, v55, 23, 1
; %bb.1798:                             ;   in Loop: Header=BB2_1597 Depth=2
	s_or_b32 exec_lo, exec_lo, s11
	v_lshrrev_b32_e32 v55, 20, v55
	s_delay_alu instid0(VALU_DEP_2) | instskip(SKIP_2) | instid1(VALU_DEP_2)
	v_cmp_gt_i32_e32 vcc_lo, 16, v54
	v_lshrrev_b32_e32 v100, 24, v100
	v_min_i32_e32 v103, 15, v54
	v_dual_cndmask_b32 v55, 7, v55 :: v_dual_and_b32 v100, 0x80, v100
	s_delay_alu instid0(VALU_DEP_2) | instskip(NEXT) | instid1(VALU_DEP_2)
	v_lshlrev_b32_e32 v103, 3, v103
	v_and_b32_e32 v113, 7, v55
	v_or_b32_e32 v54, v54, v55
	s_delay_alu instid0(VALU_DEP_2) | instskip(NEXT) | instid1(VALU_DEP_2)
	v_or3_b32 v55, v103, v100, v113
	v_cmp_ne_u32_e32 vcc_lo, 0, v54
	s_delay_alu instid0(VALU_DEP_2)
	v_cndmask_b32_e32 v54, 0, v55, vcc_lo
.LBB2_1799:                             ;   in Loop: Header=BB2_1597 Depth=2
	s_or_b32 exec_lo, exec_lo, s28
.LBB2_1800:                             ;   in Loop: Header=BB2_1597 Depth=2
	s_delay_alu instid0(SALU_CYCLE_1) | instskip(NEXT) | instid1(SALU_CYCLE_1)
	s_or_b32 exec_lo, exec_lo, s27
	s_and_not1_b32 vcc_lo, exec_lo, s25
	s_cbranch_vccnz .LBB2_1810
; %bb.1801:                             ;   in Loop: Header=BB2_1597 Depth=2
	v_and_b32_e32 v100, 0xff, v52
	s_mov_b32 s11, 0
	s_mov_b32 s28, exec_lo
                                        ; implicit-def: $sgpr27
	s_delay_alu instid0(VALU_DEP_1)
	v_cmpx_lt_i16_e32 0x7f, v100
	s_xor_b32 s28, exec_lo, s28
	s_cbranch_execnz .LBB2_1939
; %bb.1802:                             ;   in Loop: Header=BB2_1597 Depth=2
	s_or_saveexec_b32 s28, s28
	v_mov_b32_e32 v55, s27
	s_xor_b32 exec_lo, exec_lo, s28
	s_cbranch_execnz .LBB2_1942
.LBB2_1803:                             ;   in Loop: Header=BB2_1597 Depth=2
	s_or_b32 exec_lo, exec_lo, s28
	s_and_saveexec_b32 s27, s11
	s_cbranch_execz .LBB2_1805
.LBB2_1804:                             ;   in Loop: Header=BB2_1597 Depth=2
	v_and_b32_e32 v55, 7, v52
	v_lshrrev_b16 v113, 3, v52
	s_delay_alu instid0(VALU_DEP_2) | instskip(NEXT) | instid1(VALU_DEP_2)
	v_clz_i32_u32_e32 v100, v55
	v_and_b32_e32 v113, 15, v113
	s_delay_alu instid0(VALU_DEP_2) | instskip(NEXT) | instid1(VALU_DEP_2)
	v_min_u32_e32 v100, 32, v100
	v_cmp_eq_u32_e32 vcc_lo, 0, v113
	s_delay_alu instid0(VALU_DEP_2) | instskip(SKIP_1) | instid1(VALU_DEP_2)
	v_subrev_nc_u32_e32 v103, 28, v100
	v_sub_nc_u32_e32 v100, 29, v100
	v_lshlrev_b32_e32 v103, v103, v52
	s_delay_alu instid0(VALU_DEP_1) | instskip(SKIP_1) | instid1(VALU_DEP_2)
	v_dual_cndmask_b32 v100, v113, v100 :: v_dual_and_b32 v103, 7, v103
	v_lshlrev_b32_e32 v114, 24, v52
	v_lshl_add_u32 v100, v100, 23, 0x3b800000
	s_delay_alu instid0(VALU_DEP_3) | instskip(NEXT) | instid1(VALU_DEP_3)
	v_cndmask_b32_e32 v55, v55, v103, vcc_lo
	v_and_b32_e32 v103, 0x80000000, v114
	s_delay_alu instid0(VALU_DEP_2) | instskip(NEXT) | instid1(VALU_DEP_1)
	v_lshlrev_b32_e32 v55, 20, v55
	v_or3_b32 v55, v103, v100, v55
.LBB2_1805:                             ;   in Loop: Header=BB2_1597 Depth=2
	s_or_b32 exec_lo, exec_lo, s27
	s_waitcnt vmcnt(0) lgkmcnt(0)
	v_and_b32_e32 v103, 0xff, v51
	s_mov_b32 s11, 0
	s_mov_b32 s28, exec_lo
                                        ; implicit-def: $sgpr27
	s_delay_alu instid0(VALU_DEP_1)
	v_cmpx_lt_i16_e32 0x7f, v103
	s_xor_b32 s28, exec_lo, s28
	s_cbranch_execnz .LBB2_1943
; %bb.1806:                             ;   in Loop: Header=BB2_1597 Depth=2
	s_or_saveexec_b32 s28, s28
	v_mov_b32_e32 v100, s27
	s_xor_b32 exec_lo, exec_lo, s28
	s_cbranch_execnz .LBB2_1946
.LBB2_1807:                             ;   in Loop: Header=BB2_1597 Depth=2
	s_or_b32 exec_lo, exec_lo, s28
	s_and_saveexec_b32 s27, s11
	s_cbranch_execz .LBB2_1809
.LBB2_1808:                             ;   in Loop: Header=BB2_1597 Depth=2
	v_and_b32_e32 v100, 7, v51
	v_lshrrev_b16 v114, 3, v51
	s_delay_alu instid0(VALU_DEP_2) | instskip(NEXT) | instid1(VALU_DEP_2)
	v_clz_i32_u32_e32 v103, v100
	v_and_b32_e32 v114, 15, v114
	s_delay_alu instid0(VALU_DEP_2) | instskip(NEXT) | instid1(VALU_DEP_2)
	v_min_u32_e32 v103, 32, v103
	v_cmp_eq_u32_e32 vcc_lo, 0, v114
	s_delay_alu instid0(VALU_DEP_2) | instskip(SKIP_1) | instid1(VALU_DEP_2)
	v_subrev_nc_u32_e32 v113, 28, v103
	v_sub_nc_u32_e32 v103, 29, v103
	v_lshlrev_b32_e32 v113, v113, v51
	s_delay_alu instid0(VALU_DEP_1) | instskip(NEXT) | instid1(VALU_DEP_1)
	v_and_b32_e32 v113, 7, v113
	v_dual_cndmask_b32 v100, v100, v113 :: v_dual_lshlrev_b32 v115, 24, v51
	s_delay_alu instid0(VALU_DEP_4) | instskip(NEXT) | instid1(VALU_DEP_2)
	v_cndmask_b32_e32 v103, v114, v103, vcc_lo
	v_and_b32_e32 v113, 0x80000000, v115
	s_delay_alu instid0(VALU_DEP_3) | instskip(NEXT) | instid1(VALU_DEP_3)
	v_lshlrev_b32_e32 v100, 20, v100
	v_lshl_add_u32 v103, v103, 23, 0x3b800000
	s_delay_alu instid0(VALU_DEP_1)
	v_or3_b32 v100, v113, v103, v100
.LBB2_1809:                             ;   in Loop: Header=BB2_1597 Depth=2
	s_or_b32 exec_lo, exec_lo, s27
	s_delay_alu instid0(VALU_DEP_1) | instskip(SKIP_1) | instid1(VALU_DEP_1)
	v_dual_max_f32 v100, v100, v100 :: v_dual_max_f32 v55, v55, v55
	s_mov_b32 s11, 0
	v_max_f32_e32 v55, v55, v100
	s_branch .LBB2_1811
.LBB2_1810:                             ;   in Loop: Header=BB2_1597 Depth=2
	s_mov_b32 s11, -1
                                        ; implicit-def: $vgpr55
.LBB2_1811:                             ;   in Loop: Header=BB2_1597 Depth=2
	s_delay_alu instid0(SALU_CYCLE_1)
	s_and_b32 vcc_lo, exec_lo, s11
	s_cbranch_vccz .LBB2_1821
; %bb.1812:                             ;   in Loop: Header=BB2_1597 Depth=2
	v_and_b32_e32 v100, 0xff, v52
	s_mov_b32 s11, 0
	s_mov_b32 s28, exec_lo
                                        ; implicit-def: $sgpr27
	s_delay_alu instid0(VALU_DEP_1)
	v_cmpx_lt_i16_e32 0x7f, v100
	s_xor_b32 s28, exec_lo, s28
	s_cbranch_execnz .LBB2_1947
; %bb.1813:                             ;   in Loop: Header=BB2_1597 Depth=2
	s_or_saveexec_b32 s28, s28
	v_mov_b32_e32 v55, s27
	s_xor_b32 exec_lo, exec_lo, s28
	s_cbranch_execnz .LBB2_1950
.LBB2_1814:                             ;   in Loop: Header=BB2_1597 Depth=2
	s_or_b32 exec_lo, exec_lo, s28
	s_and_saveexec_b32 s27, s11
	s_cbranch_execz .LBB2_1816
.LBB2_1815:                             ;   in Loop: Header=BB2_1597 Depth=2
	v_and_b32_e32 v55, 7, v52
	v_lshrrev_b16 v113, 3, v52
	s_delay_alu instid0(VALU_DEP_2) | instskip(NEXT) | instid1(VALU_DEP_2)
	v_clz_i32_u32_e32 v100, v55
	v_and_b32_e32 v113, 15, v113
	s_delay_alu instid0(VALU_DEP_2) | instskip(NEXT) | instid1(VALU_DEP_2)
	v_min_u32_e32 v100, 32, v100
	v_cmp_eq_u32_e32 vcc_lo, 0, v113
	s_delay_alu instid0(VALU_DEP_2) | instskip(SKIP_1) | instid1(VALU_DEP_2)
	v_subrev_nc_u32_e32 v103, 28, v100
	v_sub_nc_u32_e32 v100, 29, v100
	v_lshlrev_b32_e32 v103, v103, v52
	s_delay_alu instid0(VALU_DEP_1) | instskip(SKIP_1) | instid1(VALU_DEP_2)
	v_dual_cndmask_b32 v100, v113, v100 :: v_dual_and_b32 v103, 7, v103
	v_lshlrev_b32_e32 v52, 24, v52
	v_lshl_add_u32 v100, v100, 23, 0x3b800000
	s_delay_alu instid0(VALU_DEP_2) | instskip(NEXT) | instid1(VALU_DEP_1)
	v_dual_cndmask_b32 v55, v55, v103 :: v_dual_and_b32 v52, 0x80000000, v52
	v_lshlrev_b32_e32 v55, 20, v55
	s_delay_alu instid0(VALU_DEP_1)
	v_or3_b32 v55, v52, v100, v55
.LBB2_1816:                             ;   in Loop: Header=BB2_1597 Depth=2
	s_or_b32 exec_lo, exec_lo, s27
	s_waitcnt vmcnt(0) lgkmcnt(0)
	v_and_b32_e32 v100, 0xff, v51
	s_mov_b32 s11, 0
	s_mov_b32 s28, exec_lo
                                        ; implicit-def: $sgpr27
	s_delay_alu instid0(VALU_DEP_1)
	v_cmpx_lt_i16_e32 0x7f, v100
	s_xor_b32 s28, exec_lo, s28
	s_cbranch_execnz .LBB2_1951
; %bb.1817:                             ;   in Loop: Header=BB2_1597 Depth=2
	s_or_saveexec_b32 s28, s28
	v_mov_b32_e32 v52, s27
	s_xor_b32 exec_lo, exec_lo, s28
	s_cbranch_execnz .LBB2_1954
.LBB2_1818:                             ;   in Loop: Header=BB2_1597 Depth=2
	s_or_b32 exec_lo, exec_lo, s28
	s_and_saveexec_b32 s27, s11
	s_cbranch_execz .LBB2_1820
.LBB2_1819:                             ;   in Loop: Header=BB2_1597 Depth=2
	v_and_b32_e32 v52, 7, v51
	v_lshrrev_b16 v113, 3, v51
	s_delay_alu instid0(VALU_DEP_2) | instskip(NEXT) | instid1(VALU_DEP_2)
	v_clz_i32_u32_e32 v100, v52
	v_and_b32_e32 v113, 15, v113
	s_delay_alu instid0(VALU_DEP_2) | instskip(NEXT) | instid1(VALU_DEP_2)
	v_min_u32_e32 v100, 32, v100
	v_cmp_eq_u32_e32 vcc_lo, 0, v113
	s_delay_alu instid0(VALU_DEP_2) | instskip(SKIP_1) | instid1(VALU_DEP_1)
	v_subrev_nc_u32_e32 v103, 28, v100
	v_sub_nc_u32_e32 v100, 29, v100
	v_dual_cndmask_b32 v100, v113, v100 :: v_dual_lshlrev_b32 v103, v103, v51
	v_lshlrev_b32_e32 v51, 24, v51
	s_delay_alu instid0(VALU_DEP_2) | instskip(NEXT) | instid1(VALU_DEP_3)
	v_and_b32_e32 v103, 7, v103
	v_lshl_add_u32 v100, v100, 23, 0x3b800000
	s_delay_alu instid0(VALU_DEP_3) | instskip(NEXT) | instid1(VALU_DEP_3)
	v_and_b32_e32 v51, 0x80000000, v51
	v_cndmask_b32_e32 v52, v52, v103, vcc_lo
	s_delay_alu instid0(VALU_DEP_1) | instskip(NEXT) | instid1(VALU_DEP_1)
	v_lshlrev_b32_e32 v52, 20, v52
	v_or3_b32 v52, v51, v100, v52
.LBB2_1820:                             ;   in Loop: Header=BB2_1597 Depth=2
	s_or_b32 exec_lo, exec_lo, s27
	s_delay_alu instid0(VALU_DEP_1) | instskip(NEXT) | instid1(VALU_DEP_1)
	v_dual_max_f32 v51, v52, v52 :: v_dual_max_f32 v52, v55, v55
	v_min_f32_e32 v55, v52, v51
.LBB2_1821:                             ;   in Loop: Header=BB2_1597 Depth=2
	s_waitcnt vmcnt(0) lgkmcnt(0)
	s_delay_alu instid0(VALU_DEP_1) | instskip(NEXT) | instid1(VALU_DEP_1)
	v_and_b32_e32 v51, 0x7f800000, v55
	v_cmp_ne_u32_e32 vcc_lo, 0x7f800000, v51
	v_mov_b32_e32 v51, 0x80
	s_and_saveexec_b32 s27, vcc_lo
	s_cbranch_execz .LBB2_1596
; %bb.1822:                             ;   in Loop: Header=BB2_1597 Depth=2
	v_mov_b32_e32 v51, 0
	s_mov_b32 s28, exec_lo
	v_cmpx_ne_u32_e32 0, v55
	s_cbranch_execz .LBB2_1595
; %bb.1823:                             ;   in Loop: Header=BB2_1597 Depth=2
	v_bfe_u32 v51, v55, 23, 8
	v_and_b32_e32 v52, 0x7fffff, v55
	s_delay_alu instid0(VALU_DEP_2) | instskip(SKIP_1) | instid1(VALU_DEP_3)
	v_sub_nc_u32_e32 v100, 0x78, v51
	v_cmp_gt_u32_e32 vcc_lo, 0x79, v51
	v_or_b32_e32 v103, 0x800000, v52
	s_delay_alu instid0(VALU_DEP_3) | instskip(SKIP_2) | instid1(VALU_DEP_3)
	v_cndmask_b32_e32 v100, 0, v100, vcc_lo
	v_cmp_eq_u32_e32 vcc_lo, 0, v51
	v_add_nc_u32_e32 v51, 0xffffff89, v51
	v_cndmask_b32_e64 v100, v100, 0x77, vcc_lo
	v_cndmask_b32_e32 v52, v103, v52, vcc_lo
	s_delay_alu instid0(VALU_DEP_3) | instskip(NEXT) | instid1(VALU_DEP_3)
	v_cndmask_b32_e64 v51, v51, 0xffffff8a, vcc_lo
	v_lshl_add_u32 v103, 0x100000, v100, -1
	s_delay_alu instid0(VALU_DEP_3) | instskip(SKIP_1) | instid1(VALU_DEP_4)
	v_lshrrev_b32_e32 v113, v100, v52
	v_lshlrev_b32_e64 v115, v100, 0x80000
	v_add_nc_u32_e32 v100, v100, v51
	s_delay_alu instid0(VALU_DEP_4) | instskip(NEXT) | instid1(VALU_DEP_4)
	v_and_b32_e32 v52, v103, v52
	v_bfe_u32 v114, v113, 20, 1
	s_delay_alu instid0(VALU_DEP_2) | instskip(NEXT) | instid1(VALU_DEP_2)
	v_cmp_eq_u32_e64 s11, v52, v115
	v_add_nc_u32_e32 v103, -1, v114
	s_delay_alu instid0(VALU_DEP_1) | instskip(SKIP_2) | instid1(VALU_DEP_2)
	v_cndmask_b32_e64 v52, 0, v103, s11
	v_lshrrev_b32_e32 v103, 23, v113
	s_mov_b32 s11, exec_lo
	v_add_nc_u32_e32 v52, v52, v113
	s_delay_alu instid0(VALU_DEP_2) | instskip(NEXT) | instid1(VALU_DEP_2)
	v_xor_b32_e32 v103, 1, v103
	v_and_b32_e32 v51, 0xfffff, v52
	s_delay_alu instid0(VALU_DEP_1) | instskip(NEXT) | instid1(VALU_DEP_3)
	v_add_nc_u32_e32 v52, v51, v113
                                        ; implicit-def: $vgpr51
	v_cmpx_ne_u32_e64 v100, v103
	s_xor_b32 s11, exec_lo, s11
; %bb.1824:                             ;   in Loop: Header=BB2_1597 Depth=2
	s_delay_alu instid0(VALU_DEP_2) | instskip(SKIP_2) | instid1(VALU_DEP_2)
	v_cmp_lt_u32_e32 vcc_lo, 0xffffff, v52
	v_sub_nc_u32_e32 v51, v100, v103
	v_cndmask_b32_e64 v100, 0, 1, vcc_lo
	v_add_co_ci_u32_e32 v51, vcc_lo, 0, v51, vcc_lo
	s_delay_alu instid0(VALU_DEP_2)
	v_lshrrev_b32_e32 v52, v100, v52
; %bb.1825:                             ;   in Loop: Header=BB2_1597 Depth=2
	s_and_not1_saveexec_b32 s11, s11
	s_cbranch_execz .LBB2_1594
; %bb.1826:                             ;   in Loop: Header=BB2_1597 Depth=2
	s_delay_alu instid0(VALU_DEP_1)
	v_bfe_u32 v51, v52, 23, 1
	s_branch .LBB2_1594
.LBB2_1827:                             ;   in Loop: Header=BB2_1597 Depth=2
	s_mov_b32 s11, -1
	s_mov_b32 s29, exec_lo
                                        ; implicit-def: $sgpr27
	v_cmpx_eq_u16_e32 0x80, v118
; %bb.1828:                             ;   in Loop: Header=BB2_1597 Depth=2
	s_mov_b32 s27, 0x7f800001
	s_xor_b32 s11, exec_lo, -1
; %bb.1829:                             ;   in Loop: Header=BB2_1597 Depth=2
	s_or_b32 exec_lo, exec_lo, s29
	s_delay_alu instid0(SALU_CYCLE_1)
	s_and_b32 s11, s11, exec_lo
                                        ; implicit-def: $vgpr118
	s_or_saveexec_b32 s28, s28
	v_mov_b32_e32 v117, s27
	s_xor_b32 exec_lo, exec_lo, s28
	s_cbranch_execz .LBB2_1600
.LBB2_1830:                             ;   in Loop: Header=BB2_1597 Depth=2
	v_cmp_ne_u16_e32 vcc_lo, 0, v118
	v_mov_b32_e32 v117, 0
	s_and_not1_b32 s11, s11, exec_lo
	s_and_b32 s27, vcc_lo, exec_lo
	s_delay_alu instid0(SALU_CYCLE_1)
	s_or_b32 s11, s11, s27
	s_or_b32 exec_lo, exec_lo, s28
	s_and_saveexec_b32 s27, s11
	s_cbranch_execnz .LBB2_1601
	s_branch .LBB2_1602
.LBB2_1831:                             ;   in Loop: Header=BB2_1597 Depth=2
	s_mov_b32 s11, -1
	s_mov_b32 s29, exec_lo
                                        ; implicit-def: $sgpr27
	v_cmpx_eq_u16_e32 0x80, v119
; %bb.1832:                             ;   in Loop: Header=BB2_1597 Depth=2
	s_mov_b32 s27, 0x7f800001
	s_xor_b32 s11, exec_lo, -1
; %bb.1833:                             ;   in Loop: Header=BB2_1597 Depth=2
	s_or_b32 exec_lo, exec_lo, s29
	s_delay_alu instid0(SALU_CYCLE_1)
	s_and_b32 s11, s11, exec_lo
                                        ; implicit-def: $vgpr119
	s_or_saveexec_b32 s28, s28
	v_mov_b32_e32 v118, s27
	s_xor_b32 exec_lo, exec_lo, s28
	s_cbranch_execz .LBB2_1604
.LBB2_1834:                             ;   in Loop: Header=BB2_1597 Depth=2
	v_cmp_ne_u16_e32 vcc_lo, 0, v119
	v_mov_b32_e32 v118, 0
	s_and_not1_b32 s11, s11, exec_lo
	s_and_b32 s27, vcc_lo, exec_lo
	s_delay_alu instid0(SALU_CYCLE_1)
	s_or_b32 s11, s11, s27
	s_or_b32 exec_lo, exec_lo, s28
	s_and_saveexec_b32 s27, s11
	s_cbranch_execnz .LBB2_1605
	s_branch .LBB2_1606
.LBB2_1835:                             ;   in Loop: Header=BB2_1597 Depth=2
	s_mov_b32 s11, -1
	s_mov_b32 s29, exec_lo
                                        ; implicit-def: $sgpr27
	v_cmpx_eq_u16_e32 0x80, v118
; %bb.1836:                             ;   in Loop: Header=BB2_1597 Depth=2
	s_mov_b32 s27, 0x7f800001
	s_xor_b32 s11, exec_lo, -1
; %bb.1837:                             ;   in Loop: Header=BB2_1597 Depth=2
	s_or_b32 exec_lo, exec_lo, s29
	s_delay_alu instid0(SALU_CYCLE_1)
	s_and_b32 s11, s11, exec_lo
                                        ; implicit-def: $vgpr118
	s_or_saveexec_b32 s28, s28
	v_mov_b32_e32 v117, s27
	s_xor_b32 exec_lo, exec_lo, s28
	s_cbranch_execz .LBB2_1611
.LBB2_1838:                             ;   in Loop: Header=BB2_1597 Depth=2
	v_cmp_ne_u16_e32 vcc_lo, 0, v118
	v_mov_b32_e32 v117, 0
	s_and_not1_b32 s11, s11, exec_lo
	s_and_b32 s27, vcc_lo, exec_lo
	s_delay_alu instid0(SALU_CYCLE_1)
	s_or_b32 s11, s11, s27
	s_or_b32 exec_lo, exec_lo, s28
	s_and_saveexec_b32 s27, s11
	s_cbranch_execnz .LBB2_1612
	s_branch .LBB2_1613
.LBB2_1839:                             ;   in Loop: Header=BB2_1597 Depth=2
	s_mov_b32 s11, -1
	s_mov_b32 s29, exec_lo
                                        ; implicit-def: $sgpr27
	v_cmpx_eq_u16_e32 0x80, v118
; %bb.1840:                             ;   in Loop: Header=BB2_1597 Depth=2
	s_mov_b32 s27, 0x7f800001
	s_xor_b32 s11, exec_lo, -1
; %bb.1841:                             ;   in Loop: Header=BB2_1597 Depth=2
	s_or_b32 exec_lo, exec_lo, s29
	s_delay_alu instid0(SALU_CYCLE_1)
	s_and_b32 s11, s11, exec_lo
                                        ; implicit-def: $vgpr118
	s_or_saveexec_b32 s28, s28
	v_mov_b32_e32 v116, s27
	s_xor_b32 exec_lo, exec_lo, s28
	s_cbranch_execz .LBB2_1615
.LBB2_1842:                             ;   in Loop: Header=BB2_1597 Depth=2
	v_cmp_ne_u16_e32 vcc_lo, 0, v118
	v_mov_b32_e32 v116, 0
	s_and_not1_b32 s11, s11, exec_lo
	s_and_b32 s27, vcc_lo, exec_lo
	s_delay_alu instid0(SALU_CYCLE_1)
	s_or_b32 s11, s11, s27
	s_or_b32 exec_lo, exec_lo, s28
	s_and_saveexec_b32 s27, s11
	s_cbranch_execnz .LBB2_1616
	s_branch .LBB2_1617
.LBB2_1843:                             ;   in Loop: Header=BB2_1597 Depth=2
	s_mov_b32 s11, -1
	s_mov_b32 s29, exec_lo
                                        ; implicit-def: $sgpr27
	v_cmpx_eq_u16_e32 0x80, v117
; %bb.1844:                             ;   in Loop: Header=BB2_1597 Depth=2
	s_mov_b32 s27, 0x7f800001
	s_xor_b32 s11, exec_lo, -1
; %bb.1845:                             ;   in Loop: Header=BB2_1597 Depth=2
	s_or_b32 exec_lo, exec_lo, s29
	s_delay_alu instid0(SALU_CYCLE_1)
	s_and_b32 s11, s11, exec_lo
                                        ; implicit-def: $vgpr117
	s_or_saveexec_b32 s28, s28
	v_mov_b32_e32 v116, s27
	s_xor_b32 exec_lo, exec_lo, s28
	s_cbranch_execz .LBB2_1629
.LBB2_1846:                             ;   in Loop: Header=BB2_1597 Depth=2
	v_cmp_ne_u16_e32 vcc_lo, 0, v117
	v_mov_b32_e32 v116, 0
	s_and_not1_b32 s11, s11, exec_lo
	s_and_b32 s27, vcc_lo, exec_lo
	s_delay_alu instid0(SALU_CYCLE_1)
	s_or_b32 s11, s11, s27
	s_or_b32 exec_lo, exec_lo, s28
	s_and_saveexec_b32 s27, s11
	s_cbranch_execnz .LBB2_1630
	s_branch .LBB2_1631
.LBB2_1847:                             ;   in Loop: Header=BB2_1597 Depth=2
	s_mov_b32 s11, -1
	s_mov_b32 s29, exec_lo
                                        ; implicit-def: $sgpr27
	v_cmpx_eq_u16_e32 0x80, v118
; %bb.1848:                             ;   in Loop: Header=BB2_1597 Depth=2
	s_mov_b32 s27, 0x7f800001
	s_xor_b32 s11, exec_lo, -1
; %bb.1849:                             ;   in Loop: Header=BB2_1597 Depth=2
	s_or_b32 exec_lo, exec_lo, s29
	s_delay_alu instid0(SALU_CYCLE_1)
	s_and_b32 s11, s11, exec_lo
                                        ; implicit-def: $vgpr118
	s_or_saveexec_b32 s28, s28
	v_mov_b32_e32 v117, s27
	s_xor_b32 exec_lo, exec_lo, s28
	s_cbranch_execz .LBB2_1633
.LBB2_1850:                             ;   in Loop: Header=BB2_1597 Depth=2
	v_cmp_ne_u16_e32 vcc_lo, 0, v118
	v_mov_b32_e32 v117, 0
	s_and_not1_b32 s11, s11, exec_lo
	s_and_b32 s27, vcc_lo, exec_lo
	s_delay_alu instid0(SALU_CYCLE_1)
	s_or_b32 s11, s11, s27
	s_or_b32 exec_lo, exec_lo, s28
	s_and_saveexec_b32 s27, s11
	s_cbranch_execnz .LBB2_1634
	s_branch .LBB2_1635
.LBB2_1851:                             ;   in Loop: Header=BB2_1597 Depth=2
	s_mov_b32 s11, -1
	s_mov_b32 s29, exec_lo
                                        ; implicit-def: $sgpr27
	v_cmpx_eq_u16_e32 0x80, v117
; %bb.1852:                             ;   in Loop: Header=BB2_1597 Depth=2
	s_mov_b32 s27, 0x7f800001
	s_xor_b32 s11, exec_lo, -1
; %bb.1853:                             ;   in Loop: Header=BB2_1597 Depth=2
	s_or_b32 exec_lo, exec_lo, s29
	s_delay_alu instid0(SALU_CYCLE_1)
	s_and_b32 s11, s11, exec_lo
                                        ; implicit-def: $vgpr117
	s_or_saveexec_b32 s28, s28
	v_mov_b32_e32 v116, s27
	s_xor_b32 exec_lo, exec_lo, s28
	s_cbranch_execz .LBB2_1640
.LBB2_1854:                             ;   in Loop: Header=BB2_1597 Depth=2
	v_cmp_ne_u16_e32 vcc_lo, 0, v117
	v_mov_b32_e32 v116, 0
	s_and_not1_b32 s11, s11, exec_lo
	s_and_b32 s27, vcc_lo, exec_lo
	s_delay_alu instid0(SALU_CYCLE_1)
	s_or_b32 s11, s11, s27
	s_or_b32 exec_lo, exec_lo, s28
	s_and_saveexec_b32 s27, s11
	s_cbranch_execnz .LBB2_1641
	s_branch .LBB2_1642
.LBB2_1855:                             ;   in Loop: Header=BB2_1597 Depth=2
	s_mov_b32 s11, -1
	s_mov_b32 s29, exec_lo
                                        ; implicit-def: $sgpr27
	v_cmpx_eq_u16_e32 0x80, v117
; %bb.1856:                             ;   in Loop: Header=BB2_1597 Depth=2
	s_mov_b32 s27, 0x7f800001
	s_xor_b32 s11, exec_lo, -1
; %bb.1857:                             ;   in Loop: Header=BB2_1597 Depth=2
	s_or_b32 exec_lo, exec_lo, s29
	s_delay_alu instid0(SALU_CYCLE_1)
	s_and_b32 s11, s11, exec_lo
                                        ; implicit-def: $vgpr117
	s_or_saveexec_b32 s28, s28
	v_mov_b32_e32 v115, s27
	s_xor_b32 exec_lo, exec_lo, s28
	s_cbranch_execz .LBB2_1644
.LBB2_1858:                             ;   in Loop: Header=BB2_1597 Depth=2
	v_cmp_ne_u16_e32 vcc_lo, 0, v117
	v_mov_b32_e32 v115, 0
	s_and_not1_b32 s11, s11, exec_lo
	s_and_b32 s27, vcc_lo, exec_lo
	s_delay_alu instid0(SALU_CYCLE_1)
	s_or_b32 s11, s11, s27
	s_or_b32 exec_lo, exec_lo, s28
	s_and_saveexec_b32 s27, s11
	s_cbranch_execnz .LBB2_1645
	s_branch .LBB2_1646
.LBB2_1859:                             ;   in Loop: Header=BB2_1597 Depth=2
	s_mov_b32 s11, -1
	s_mov_b32 s29, exec_lo
                                        ; implicit-def: $sgpr27
	v_cmpx_eq_u16_e32 0x80, v116
; %bb.1860:                             ;   in Loop: Header=BB2_1597 Depth=2
	s_mov_b32 s27, 0x7f800001
	s_xor_b32 s11, exec_lo, -1
; %bb.1861:                             ;   in Loop: Header=BB2_1597 Depth=2
	s_or_b32 exec_lo, exec_lo, s29
	s_delay_alu instid0(SALU_CYCLE_1)
	s_and_b32 s11, s11, exec_lo
                                        ; implicit-def: $vgpr116
	s_or_saveexec_b32 s28, s28
	v_mov_b32_e32 v115, s27
	s_xor_b32 exec_lo, exec_lo, s28
	s_cbranch_execz .LBB2_1658
.LBB2_1862:                             ;   in Loop: Header=BB2_1597 Depth=2
	v_cmp_ne_u16_e32 vcc_lo, 0, v116
	v_mov_b32_e32 v115, 0
	s_and_not1_b32 s11, s11, exec_lo
	s_and_b32 s27, vcc_lo, exec_lo
	s_delay_alu instid0(SALU_CYCLE_1)
	s_or_b32 s11, s11, s27
	s_or_b32 exec_lo, exec_lo, s28
	s_and_saveexec_b32 s27, s11
	s_cbranch_execnz .LBB2_1659
	s_branch .LBB2_1660
.LBB2_1863:                             ;   in Loop: Header=BB2_1597 Depth=2
	s_mov_b32 s11, -1
	s_mov_b32 s29, exec_lo
                                        ; implicit-def: $sgpr27
	v_cmpx_eq_u16_e32 0x80, v117
; %bb.1864:                             ;   in Loop: Header=BB2_1597 Depth=2
	s_mov_b32 s27, 0x7f800001
	s_xor_b32 s11, exec_lo, -1
; %bb.1865:                             ;   in Loop: Header=BB2_1597 Depth=2
	s_or_b32 exec_lo, exec_lo, s29
	s_delay_alu instid0(SALU_CYCLE_1)
	s_and_b32 s11, s11, exec_lo
                                        ; implicit-def: $vgpr117
	s_or_saveexec_b32 s28, s28
	v_mov_b32_e32 v116, s27
	s_xor_b32 exec_lo, exec_lo, s28
	s_cbranch_execz .LBB2_1662
.LBB2_1866:                             ;   in Loop: Header=BB2_1597 Depth=2
	v_cmp_ne_u16_e32 vcc_lo, 0, v117
	v_mov_b32_e32 v116, 0
	s_and_not1_b32 s11, s11, exec_lo
	s_and_b32 s27, vcc_lo, exec_lo
	s_delay_alu instid0(SALU_CYCLE_1)
	s_or_b32 s11, s11, s27
	s_or_b32 exec_lo, exec_lo, s28
	s_and_saveexec_b32 s27, s11
	s_cbranch_execnz .LBB2_1663
	s_branch .LBB2_1664
.LBB2_1867:                             ;   in Loop: Header=BB2_1597 Depth=2
	s_mov_b32 s11, -1
	s_mov_b32 s29, exec_lo
                                        ; implicit-def: $sgpr27
	v_cmpx_eq_u16_e32 0x80, v116
; %bb.1868:                             ;   in Loop: Header=BB2_1597 Depth=2
	s_mov_b32 s27, 0x7f800001
	s_xor_b32 s11, exec_lo, -1
; %bb.1869:                             ;   in Loop: Header=BB2_1597 Depth=2
	s_or_b32 exec_lo, exec_lo, s29
	s_delay_alu instid0(SALU_CYCLE_1)
	s_and_b32 s11, s11, exec_lo
                                        ; implicit-def: $vgpr116
	s_or_saveexec_b32 s28, s28
	v_mov_b32_e32 v115, s27
	s_xor_b32 exec_lo, exec_lo, s28
	s_cbranch_execz .LBB2_1669
.LBB2_1870:                             ;   in Loop: Header=BB2_1597 Depth=2
	v_cmp_ne_u16_e32 vcc_lo, 0, v116
	v_mov_b32_e32 v115, 0
	s_and_not1_b32 s11, s11, exec_lo
	s_and_b32 s27, vcc_lo, exec_lo
	s_delay_alu instid0(SALU_CYCLE_1)
	s_or_b32 s11, s11, s27
	s_or_b32 exec_lo, exec_lo, s28
	s_and_saveexec_b32 s27, s11
	s_cbranch_execnz .LBB2_1670
	s_branch .LBB2_1671
.LBB2_1871:                             ;   in Loop: Header=BB2_1597 Depth=2
	s_mov_b32 s11, -1
	s_mov_b32 s29, exec_lo
                                        ; implicit-def: $sgpr27
	v_cmpx_eq_u16_e32 0x80, v116
; %bb.1872:                             ;   in Loop: Header=BB2_1597 Depth=2
	s_mov_b32 s27, 0x7f800001
	s_xor_b32 s11, exec_lo, -1
; %bb.1873:                             ;   in Loop: Header=BB2_1597 Depth=2
	s_or_b32 exec_lo, exec_lo, s29
	s_delay_alu instid0(SALU_CYCLE_1)
	s_and_b32 s11, s11, exec_lo
                                        ; implicit-def: $vgpr116
	s_or_saveexec_b32 s28, s28
	v_mov_b32_e32 v114, s27
	s_xor_b32 exec_lo, exec_lo, s28
	s_cbranch_execz .LBB2_1673
.LBB2_1874:                             ;   in Loop: Header=BB2_1597 Depth=2
	v_cmp_ne_u16_e32 vcc_lo, 0, v116
	v_mov_b32_e32 v114, 0
	s_and_not1_b32 s11, s11, exec_lo
	s_and_b32 s27, vcc_lo, exec_lo
	s_delay_alu instid0(SALU_CYCLE_1)
	s_or_b32 s11, s11, s27
	s_or_b32 exec_lo, exec_lo, s28
	s_and_saveexec_b32 s27, s11
	s_cbranch_execnz .LBB2_1674
	s_branch .LBB2_1675
.LBB2_1875:                             ;   in Loop: Header=BB2_1597 Depth=2
	s_mov_b32 s11, -1
	s_mov_b32 s29, exec_lo
                                        ; implicit-def: $sgpr27
	v_cmpx_eq_u16_e32 0x80, v115
; %bb.1876:                             ;   in Loop: Header=BB2_1597 Depth=2
	s_mov_b32 s27, 0x7f800001
	s_xor_b32 s11, exec_lo, -1
; %bb.1877:                             ;   in Loop: Header=BB2_1597 Depth=2
	s_or_b32 exec_lo, exec_lo, s29
	s_delay_alu instid0(SALU_CYCLE_1)
	s_and_b32 s11, s11, exec_lo
                                        ; implicit-def: $vgpr115
	s_or_saveexec_b32 s28, s28
	v_mov_b32_e32 v114, s27
	s_xor_b32 exec_lo, exec_lo, s28
	s_cbranch_execz .LBB2_1687
.LBB2_1878:                             ;   in Loop: Header=BB2_1597 Depth=2
	v_cmp_ne_u16_e32 vcc_lo, 0, v115
	v_mov_b32_e32 v114, 0
	s_and_not1_b32 s11, s11, exec_lo
	s_and_b32 s27, vcc_lo, exec_lo
	s_delay_alu instid0(SALU_CYCLE_1)
	s_or_b32 s11, s11, s27
	s_or_b32 exec_lo, exec_lo, s28
	s_and_saveexec_b32 s27, s11
	s_cbranch_execnz .LBB2_1688
	s_branch .LBB2_1689
.LBB2_1879:                             ;   in Loop: Header=BB2_1597 Depth=2
	s_mov_b32 s11, -1
	s_mov_b32 s29, exec_lo
                                        ; implicit-def: $sgpr27
	v_cmpx_eq_u16_e32 0x80, v116
; %bb.1880:                             ;   in Loop: Header=BB2_1597 Depth=2
	s_mov_b32 s27, 0x7f800001
	s_xor_b32 s11, exec_lo, -1
; %bb.1881:                             ;   in Loop: Header=BB2_1597 Depth=2
	s_or_b32 exec_lo, exec_lo, s29
	s_delay_alu instid0(SALU_CYCLE_1)
	s_and_b32 s11, s11, exec_lo
                                        ; implicit-def: $vgpr116
	s_or_saveexec_b32 s28, s28
	v_mov_b32_e32 v115, s27
	s_xor_b32 exec_lo, exec_lo, s28
	s_cbranch_execz .LBB2_1691
.LBB2_1882:                             ;   in Loop: Header=BB2_1597 Depth=2
	v_cmp_ne_u16_e32 vcc_lo, 0, v116
	v_mov_b32_e32 v115, 0
	s_and_not1_b32 s11, s11, exec_lo
	s_and_b32 s27, vcc_lo, exec_lo
	s_delay_alu instid0(SALU_CYCLE_1)
	s_or_b32 s11, s11, s27
	s_or_b32 exec_lo, exec_lo, s28
	s_and_saveexec_b32 s27, s11
	s_cbranch_execnz .LBB2_1692
	s_branch .LBB2_1693
.LBB2_1883:                             ;   in Loop: Header=BB2_1597 Depth=2
	s_mov_b32 s11, -1
	s_mov_b32 s29, exec_lo
                                        ; implicit-def: $sgpr27
	v_cmpx_eq_u16_e32 0x80, v115
; %bb.1884:                             ;   in Loop: Header=BB2_1597 Depth=2
	s_mov_b32 s27, 0x7f800001
	s_xor_b32 s11, exec_lo, -1
; %bb.1885:                             ;   in Loop: Header=BB2_1597 Depth=2
	s_or_b32 exec_lo, exec_lo, s29
	s_delay_alu instid0(SALU_CYCLE_1)
	s_and_b32 s11, s11, exec_lo
                                        ; implicit-def: $vgpr115
	s_or_saveexec_b32 s28, s28
	v_mov_b32_e32 v114, s27
	s_xor_b32 exec_lo, exec_lo, s28
	s_cbranch_execz .LBB2_1698
.LBB2_1886:                             ;   in Loop: Header=BB2_1597 Depth=2
	v_cmp_ne_u16_e32 vcc_lo, 0, v115
	v_mov_b32_e32 v114, 0
	s_and_not1_b32 s11, s11, exec_lo
	s_and_b32 s27, vcc_lo, exec_lo
	s_delay_alu instid0(SALU_CYCLE_1)
	s_or_b32 s11, s11, s27
	s_or_b32 exec_lo, exec_lo, s28
	s_and_saveexec_b32 s27, s11
	s_cbranch_execnz .LBB2_1699
	s_branch .LBB2_1700
.LBB2_1887:                             ;   in Loop: Header=BB2_1597 Depth=2
	s_mov_b32 s11, -1
	s_mov_b32 s29, exec_lo
                                        ; implicit-def: $sgpr27
	v_cmpx_eq_u16_e32 0x80, v115
; %bb.1888:                             ;   in Loop: Header=BB2_1597 Depth=2
	s_mov_b32 s27, 0x7f800001
	s_xor_b32 s11, exec_lo, -1
; %bb.1889:                             ;   in Loop: Header=BB2_1597 Depth=2
	s_or_b32 exec_lo, exec_lo, s29
	s_delay_alu instid0(SALU_CYCLE_1)
	s_and_b32 s11, s11, exec_lo
                                        ; implicit-def: $vgpr115
	s_or_saveexec_b32 s28, s28
	v_mov_b32_e32 v113, s27
	s_xor_b32 exec_lo, exec_lo, s28
	s_cbranch_execz .LBB2_1702
.LBB2_1890:                             ;   in Loop: Header=BB2_1597 Depth=2
	v_cmp_ne_u16_e32 vcc_lo, 0, v115
	v_mov_b32_e32 v113, 0
	s_and_not1_b32 s11, s11, exec_lo
	s_and_b32 s27, vcc_lo, exec_lo
	s_delay_alu instid0(SALU_CYCLE_1)
	s_or_b32 s11, s11, s27
	s_or_b32 exec_lo, exec_lo, s28
	s_and_saveexec_b32 s27, s11
	s_cbranch_execnz .LBB2_1703
	s_branch .LBB2_1704
.LBB2_1891:                             ;   in Loop: Header=BB2_1597 Depth=2
	s_mov_b32 s11, -1
	s_mov_b32 s29, exec_lo
                                        ; implicit-def: $sgpr27
	v_cmpx_eq_u16_e32 0x80, v114
; %bb.1892:                             ;   in Loop: Header=BB2_1597 Depth=2
	s_mov_b32 s27, 0x7f800001
	s_xor_b32 s11, exec_lo, -1
; %bb.1893:                             ;   in Loop: Header=BB2_1597 Depth=2
	s_or_b32 exec_lo, exec_lo, s29
	s_delay_alu instid0(SALU_CYCLE_1)
	s_and_b32 s11, s11, exec_lo
                                        ; implicit-def: $vgpr114
	s_or_saveexec_b32 s28, s28
	v_mov_b32_e32 v113, s27
	s_xor_b32 exec_lo, exec_lo, s28
	s_cbranch_execz .LBB2_1716
.LBB2_1894:                             ;   in Loop: Header=BB2_1597 Depth=2
	v_cmp_ne_u16_e32 vcc_lo, 0, v114
	v_mov_b32_e32 v113, 0
	s_and_not1_b32 s11, s11, exec_lo
	s_and_b32 s27, vcc_lo, exec_lo
	s_delay_alu instid0(SALU_CYCLE_1)
	s_or_b32 s11, s11, s27
	s_or_b32 exec_lo, exec_lo, s28
	s_and_saveexec_b32 s27, s11
	s_cbranch_execnz .LBB2_1717
	s_branch .LBB2_1718
.LBB2_1895:                             ;   in Loop: Header=BB2_1597 Depth=2
	s_mov_b32 s11, -1
	s_mov_b32 s29, exec_lo
                                        ; implicit-def: $sgpr27
	v_cmpx_eq_u16_e32 0x80, v115
; %bb.1896:                             ;   in Loop: Header=BB2_1597 Depth=2
	s_mov_b32 s27, 0x7f800001
	s_xor_b32 s11, exec_lo, -1
; %bb.1897:                             ;   in Loop: Header=BB2_1597 Depth=2
	s_or_b32 exec_lo, exec_lo, s29
	s_delay_alu instid0(SALU_CYCLE_1)
	s_and_b32 s11, s11, exec_lo
                                        ; implicit-def: $vgpr115
	s_or_saveexec_b32 s28, s28
	v_mov_b32_e32 v114, s27
	s_xor_b32 exec_lo, exec_lo, s28
	s_cbranch_execz .LBB2_1720
.LBB2_1898:                             ;   in Loop: Header=BB2_1597 Depth=2
	v_cmp_ne_u16_e32 vcc_lo, 0, v115
	v_mov_b32_e32 v114, 0
	s_and_not1_b32 s11, s11, exec_lo
	s_and_b32 s27, vcc_lo, exec_lo
	s_delay_alu instid0(SALU_CYCLE_1)
	s_or_b32 s11, s11, s27
	s_or_b32 exec_lo, exec_lo, s28
	s_and_saveexec_b32 s27, s11
	s_cbranch_execnz .LBB2_1721
	s_branch .LBB2_1722
.LBB2_1899:                             ;   in Loop: Header=BB2_1597 Depth=2
	s_mov_b32 s11, -1
	s_mov_b32 s29, exec_lo
                                        ; implicit-def: $sgpr27
	v_cmpx_eq_u16_e32 0x80, v114
; %bb.1900:                             ;   in Loop: Header=BB2_1597 Depth=2
	s_mov_b32 s27, 0x7f800001
	s_xor_b32 s11, exec_lo, -1
; %bb.1901:                             ;   in Loop: Header=BB2_1597 Depth=2
	s_or_b32 exec_lo, exec_lo, s29
	s_delay_alu instid0(SALU_CYCLE_1)
	s_and_b32 s11, s11, exec_lo
                                        ; implicit-def: $vgpr114
	s_or_saveexec_b32 s28, s28
	v_mov_b32_e32 v113, s27
	s_xor_b32 exec_lo, exec_lo, s28
	s_cbranch_execz .LBB2_1727
.LBB2_1902:                             ;   in Loop: Header=BB2_1597 Depth=2
	v_cmp_ne_u16_e32 vcc_lo, 0, v114
	v_mov_b32_e32 v113, 0
	s_and_not1_b32 s11, s11, exec_lo
	s_and_b32 s27, vcc_lo, exec_lo
	s_delay_alu instid0(SALU_CYCLE_1)
	s_or_b32 s11, s11, s27
	s_or_b32 exec_lo, exec_lo, s28
	s_and_saveexec_b32 s27, s11
	s_cbranch_execnz .LBB2_1728
	s_branch .LBB2_1729
.LBB2_1903:                             ;   in Loop: Header=BB2_1597 Depth=2
	s_mov_b32 s11, -1
	s_mov_b32 s29, exec_lo
                                        ; implicit-def: $sgpr27
	v_cmpx_eq_u16_e32 0x80, v114
; %bb.1904:                             ;   in Loop: Header=BB2_1597 Depth=2
	s_mov_b32 s27, 0x7f800001
	s_xor_b32 s11, exec_lo, -1
; %bb.1905:                             ;   in Loop: Header=BB2_1597 Depth=2
	s_or_b32 exec_lo, exec_lo, s29
	s_delay_alu instid0(SALU_CYCLE_1)
	s_and_b32 s11, s11, exec_lo
                                        ; implicit-def: $vgpr114
	s_or_saveexec_b32 s28, s28
	v_mov_b32_e32 v103, s27
	s_xor_b32 exec_lo, exec_lo, s28
	s_cbranch_execz .LBB2_1731
.LBB2_1906:                             ;   in Loop: Header=BB2_1597 Depth=2
	v_cmp_ne_u16_e32 vcc_lo, 0, v114
	v_mov_b32_e32 v103, 0
	s_and_not1_b32 s11, s11, exec_lo
	s_and_b32 s27, vcc_lo, exec_lo
	s_delay_alu instid0(SALU_CYCLE_1)
	s_or_b32 s11, s11, s27
	s_or_b32 exec_lo, exec_lo, s28
	s_and_saveexec_b32 s27, s11
	s_cbranch_execnz .LBB2_1732
	s_branch .LBB2_1733
.LBB2_1907:                             ;   in Loop: Header=BB2_1597 Depth=2
	s_mov_b32 s11, -1
	s_mov_b32 s29, exec_lo
                                        ; implicit-def: $sgpr27
	v_cmpx_eq_u16_e32 0x80, v113
; %bb.1908:                             ;   in Loop: Header=BB2_1597 Depth=2
	s_mov_b32 s27, 0x7f800001
	s_xor_b32 s11, exec_lo, -1
; %bb.1909:                             ;   in Loop: Header=BB2_1597 Depth=2
	s_or_b32 exec_lo, exec_lo, s29
	s_delay_alu instid0(SALU_CYCLE_1)
	s_and_b32 s11, s11, exec_lo
                                        ; implicit-def: $vgpr113
	s_or_saveexec_b32 s28, s28
	v_mov_b32_e32 v103, s27
	s_xor_b32 exec_lo, exec_lo, s28
	s_cbranch_execz .LBB2_1745
.LBB2_1910:                             ;   in Loop: Header=BB2_1597 Depth=2
	v_cmp_ne_u16_e32 vcc_lo, 0, v113
	v_mov_b32_e32 v103, 0
	s_and_not1_b32 s11, s11, exec_lo
	s_and_b32 s27, vcc_lo, exec_lo
	s_delay_alu instid0(SALU_CYCLE_1)
	s_or_b32 s11, s11, s27
	s_or_b32 exec_lo, exec_lo, s28
	s_and_saveexec_b32 s27, s11
	s_cbranch_execnz .LBB2_1746
	s_branch .LBB2_1747
.LBB2_1911:                             ;   in Loop: Header=BB2_1597 Depth=2
	s_mov_b32 s11, -1
	s_mov_b32 s29, exec_lo
                                        ; implicit-def: $sgpr27
	v_cmpx_eq_u16_e32 0x80, v114
; %bb.1912:                             ;   in Loop: Header=BB2_1597 Depth=2
	s_mov_b32 s27, 0x7f800001
	s_xor_b32 s11, exec_lo, -1
; %bb.1913:                             ;   in Loop: Header=BB2_1597 Depth=2
	s_or_b32 exec_lo, exec_lo, s29
	s_delay_alu instid0(SALU_CYCLE_1)
	s_and_b32 s11, s11, exec_lo
                                        ; implicit-def: $vgpr114
	s_or_saveexec_b32 s28, s28
	v_mov_b32_e32 v113, s27
	s_xor_b32 exec_lo, exec_lo, s28
	s_cbranch_execz .LBB2_1749
.LBB2_1914:                             ;   in Loop: Header=BB2_1597 Depth=2
	v_cmp_ne_u16_e32 vcc_lo, 0, v114
	v_mov_b32_e32 v113, 0
	s_and_not1_b32 s11, s11, exec_lo
	s_and_b32 s27, vcc_lo, exec_lo
	s_delay_alu instid0(SALU_CYCLE_1)
	s_or_b32 s11, s11, s27
	s_or_b32 exec_lo, exec_lo, s28
	s_and_saveexec_b32 s27, s11
	s_cbranch_execnz .LBB2_1750
	s_branch .LBB2_1751
.LBB2_1915:                             ;   in Loop: Header=BB2_1597 Depth=2
	s_mov_b32 s11, -1
	s_mov_b32 s29, exec_lo
                                        ; implicit-def: $sgpr27
	v_cmpx_eq_u16_e32 0x80, v113
; %bb.1916:                             ;   in Loop: Header=BB2_1597 Depth=2
	s_mov_b32 s27, 0x7f800001
	s_xor_b32 s11, exec_lo, -1
; %bb.1917:                             ;   in Loop: Header=BB2_1597 Depth=2
	s_or_b32 exec_lo, exec_lo, s29
	s_delay_alu instid0(SALU_CYCLE_1)
	s_and_b32 s11, s11, exec_lo
                                        ; implicit-def: $vgpr113
	s_or_saveexec_b32 s28, s28
	v_mov_b32_e32 v103, s27
	s_xor_b32 exec_lo, exec_lo, s28
	s_cbranch_execz .LBB2_1756
.LBB2_1918:                             ;   in Loop: Header=BB2_1597 Depth=2
	v_cmp_ne_u16_e32 vcc_lo, 0, v113
	v_mov_b32_e32 v103, 0
	s_and_not1_b32 s11, s11, exec_lo
	s_and_b32 s27, vcc_lo, exec_lo
	s_delay_alu instid0(SALU_CYCLE_1)
	s_or_b32 s11, s11, s27
	s_or_b32 exec_lo, exec_lo, s28
	s_and_saveexec_b32 s27, s11
	s_cbranch_execnz .LBB2_1757
	s_branch .LBB2_1758
.LBB2_1919:                             ;   in Loop: Header=BB2_1597 Depth=2
	s_mov_b32 s11, -1
	s_mov_b32 s29, exec_lo
                                        ; implicit-def: $sgpr27
	v_cmpx_eq_u16_e32 0x80, v113
; %bb.1920:                             ;   in Loop: Header=BB2_1597 Depth=2
	s_mov_b32 s27, 0x7f800001
	s_xor_b32 s11, exec_lo, -1
; %bb.1921:                             ;   in Loop: Header=BB2_1597 Depth=2
	s_or_b32 exec_lo, exec_lo, s29
	s_delay_alu instid0(SALU_CYCLE_1)
	s_and_b32 s11, s11, exec_lo
                                        ; implicit-def: $vgpr113
	s_or_saveexec_b32 s28, s28
	v_mov_b32_e32 v100, s27
	s_xor_b32 exec_lo, exec_lo, s28
	s_cbranch_execz .LBB2_1760
.LBB2_1922:                             ;   in Loop: Header=BB2_1597 Depth=2
	v_cmp_ne_u16_e32 vcc_lo, 0, v113
	v_mov_b32_e32 v100, 0
	s_and_not1_b32 s11, s11, exec_lo
	s_and_b32 s27, vcc_lo, exec_lo
	s_delay_alu instid0(SALU_CYCLE_1)
	s_or_b32 s11, s11, s27
	s_or_b32 exec_lo, exec_lo, s28
	s_and_saveexec_b32 s27, s11
	s_cbranch_execnz .LBB2_1761
	s_branch .LBB2_1762
.LBB2_1923:                             ;   in Loop: Header=BB2_1597 Depth=2
	s_mov_b32 s11, -1
	s_mov_b32 s29, exec_lo
                                        ; implicit-def: $sgpr27
	v_cmpx_eq_u16_e32 0x80, v103
; %bb.1924:                             ;   in Loop: Header=BB2_1597 Depth=2
	s_mov_b32 s27, 0x7f800001
	s_xor_b32 s11, exec_lo, -1
; %bb.1925:                             ;   in Loop: Header=BB2_1597 Depth=2
	s_or_b32 exec_lo, exec_lo, s29
	s_delay_alu instid0(SALU_CYCLE_1)
	s_and_b32 s11, s11, exec_lo
                                        ; implicit-def: $vgpr103
	s_or_saveexec_b32 s28, s28
	v_mov_b32_e32 v100, s27
	s_xor_b32 exec_lo, exec_lo, s28
	s_cbranch_execz .LBB2_1774
.LBB2_1926:                             ;   in Loop: Header=BB2_1597 Depth=2
	v_cmp_ne_u16_e32 vcc_lo, 0, v103
	v_mov_b32_e32 v100, 0
	s_and_not1_b32 s11, s11, exec_lo
	s_and_b32 s27, vcc_lo, exec_lo
	s_delay_alu instid0(SALU_CYCLE_1)
	s_or_b32 s11, s11, s27
	s_or_b32 exec_lo, exec_lo, s28
	s_and_saveexec_b32 s27, s11
	s_cbranch_execnz .LBB2_1775
	s_branch .LBB2_1776
.LBB2_1927:                             ;   in Loop: Header=BB2_1597 Depth=2
	s_mov_b32 s11, -1
	s_mov_b32 s29, exec_lo
                                        ; implicit-def: $sgpr27
	v_cmpx_eq_u16_e32 0x80, v113
; %bb.1928:                             ;   in Loop: Header=BB2_1597 Depth=2
	s_mov_b32 s27, 0x7f800001
	s_xor_b32 s11, exec_lo, -1
; %bb.1929:                             ;   in Loop: Header=BB2_1597 Depth=2
	s_or_b32 exec_lo, exec_lo, s29
	s_delay_alu instid0(SALU_CYCLE_1)
	s_and_b32 s11, s11, exec_lo
                                        ; implicit-def: $vgpr113
	s_or_saveexec_b32 s28, s28
	v_mov_b32_e32 v103, s27
	s_xor_b32 exec_lo, exec_lo, s28
	s_cbranch_execz .LBB2_1778
.LBB2_1930:                             ;   in Loop: Header=BB2_1597 Depth=2
	v_cmp_ne_u16_e32 vcc_lo, 0, v113
	v_mov_b32_e32 v103, 0
	s_and_not1_b32 s11, s11, exec_lo
	s_and_b32 s27, vcc_lo, exec_lo
	s_delay_alu instid0(SALU_CYCLE_1)
	s_or_b32 s11, s11, s27
	s_or_b32 exec_lo, exec_lo, s28
	s_and_saveexec_b32 s27, s11
	s_cbranch_execnz .LBB2_1779
	s_branch .LBB2_1780
.LBB2_1931:                             ;   in Loop: Header=BB2_1597 Depth=2
	s_mov_b32 s11, -1
	s_mov_b32 s29, exec_lo
                                        ; implicit-def: $sgpr27
	v_cmpx_eq_u16_e32 0x80, v103
; %bb.1932:                             ;   in Loop: Header=BB2_1597 Depth=2
	s_mov_b32 s27, 0x7f800001
	s_xor_b32 s11, exec_lo, -1
; %bb.1933:                             ;   in Loop: Header=BB2_1597 Depth=2
	s_or_b32 exec_lo, exec_lo, s29
	s_delay_alu instid0(SALU_CYCLE_1)
	s_and_b32 s11, s11, exec_lo
                                        ; implicit-def: $vgpr103
	s_or_saveexec_b32 s28, s28
	v_mov_b32_e32 v100, s27
	s_xor_b32 exec_lo, exec_lo, s28
	s_cbranch_execz .LBB2_1785
.LBB2_1934:                             ;   in Loop: Header=BB2_1597 Depth=2
	v_cmp_ne_u16_e32 vcc_lo, 0, v103
	v_mov_b32_e32 v100, 0
	s_and_not1_b32 s11, s11, exec_lo
	s_and_b32 s27, vcc_lo, exec_lo
	s_delay_alu instid0(SALU_CYCLE_1)
	s_or_b32 s11, s11, s27
	s_or_b32 exec_lo, exec_lo, s28
	s_and_saveexec_b32 s27, s11
	s_cbranch_execnz .LBB2_1786
	s_branch .LBB2_1787
.LBB2_1935:                             ;   in Loop: Header=BB2_1597 Depth=2
	s_mov_b32 s11, -1
	s_mov_b32 s29, exec_lo
                                        ; implicit-def: $sgpr27
	v_cmpx_eq_u16_e32 0x80, v103
; %bb.1936:                             ;   in Loop: Header=BB2_1597 Depth=2
	s_mov_b32 s27, 0x7f800001
	s_xor_b32 s11, exec_lo, -1
; %bb.1937:                             ;   in Loop: Header=BB2_1597 Depth=2
	s_or_b32 exec_lo, exec_lo, s29
	s_delay_alu instid0(SALU_CYCLE_1)
	s_and_b32 s11, s11, exec_lo
                                        ; implicit-def: $vgpr103
	s_or_saveexec_b32 s28, s28
	v_mov_b32_e32 v55, s27
	s_xor_b32 exec_lo, exec_lo, s28
	s_cbranch_execz .LBB2_1789
.LBB2_1938:                             ;   in Loop: Header=BB2_1597 Depth=2
	v_cmp_ne_u16_e32 vcc_lo, 0, v103
	v_mov_b32_e32 v55, 0
	s_and_not1_b32 s11, s11, exec_lo
	s_and_b32 s27, vcc_lo, exec_lo
	s_delay_alu instid0(SALU_CYCLE_1)
	s_or_b32 s11, s11, s27
	s_or_b32 exec_lo, exec_lo, s28
	s_and_saveexec_b32 s27, s11
	s_cbranch_execnz .LBB2_1790
	s_branch .LBB2_1791
.LBB2_1939:                             ;   in Loop: Header=BB2_1597 Depth=2
	s_mov_b32 s11, -1
	s_mov_b32 s29, exec_lo
                                        ; implicit-def: $sgpr27
	v_cmpx_eq_u16_e32 0x80, v100
; %bb.1940:                             ;   in Loop: Header=BB2_1597 Depth=2
	s_mov_b32 s27, 0x7f800001
	s_xor_b32 s11, exec_lo, -1
; %bb.1941:                             ;   in Loop: Header=BB2_1597 Depth=2
	s_or_b32 exec_lo, exec_lo, s29
	s_delay_alu instid0(SALU_CYCLE_1)
	s_and_b32 s11, s11, exec_lo
                                        ; implicit-def: $vgpr100
	s_or_saveexec_b32 s28, s28
	v_mov_b32_e32 v55, s27
	s_xor_b32 exec_lo, exec_lo, s28
	s_cbranch_execz .LBB2_1803
.LBB2_1942:                             ;   in Loop: Header=BB2_1597 Depth=2
	v_cmp_ne_u16_e32 vcc_lo, 0, v100
	v_mov_b32_e32 v55, 0
	s_and_not1_b32 s11, s11, exec_lo
	s_and_b32 s27, vcc_lo, exec_lo
	s_delay_alu instid0(SALU_CYCLE_1)
	s_or_b32 s11, s11, s27
	s_or_b32 exec_lo, exec_lo, s28
	s_and_saveexec_b32 s27, s11
	s_cbranch_execnz .LBB2_1804
	s_branch .LBB2_1805
.LBB2_1943:                             ;   in Loop: Header=BB2_1597 Depth=2
	s_mov_b32 s11, -1
	s_mov_b32 s29, exec_lo
                                        ; implicit-def: $sgpr27
	v_cmpx_eq_u16_e32 0x80, v103
; %bb.1944:                             ;   in Loop: Header=BB2_1597 Depth=2
	s_mov_b32 s27, 0x7f800001
	s_xor_b32 s11, exec_lo, -1
; %bb.1945:                             ;   in Loop: Header=BB2_1597 Depth=2
	s_or_b32 exec_lo, exec_lo, s29
	s_delay_alu instid0(SALU_CYCLE_1)
	s_and_b32 s11, s11, exec_lo
                                        ; implicit-def: $vgpr103
	s_or_saveexec_b32 s28, s28
	v_mov_b32_e32 v100, s27
	s_xor_b32 exec_lo, exec_lo, s28
	s_cbranch_execz .LBB2_1807
.LBB2_1946:                             ;   in Loop: Header=BB2_1597 Depth=2
	v_cmp_ne_u16_e32 vcc_lo, 0, v103
	v_mov_b32_e32 v100, 0
	s_and_not1_b32 s11, s11, exec_lo
	s_and_b32 s27, vcc_lo, exec_lo
	s_delay_alu instid0(SALU_CYCLE_1)
	s_or_b32 s11, s11, s27
	s_or_b32 exec_lo, exec_lo, s28
	s_and_saveexec_b32 s27, s11
	s_cbranch_execnz .LBB2_1808
	s_branch .LBB2_1809
.LBB2_1947:                             ;   in Loop: Header=BB2_1597 Depth=2
	s_mov_b32 s11, -1
	s_mov_b32 s29, exec_lo
                                        ; implicit-def: $sgpr27
	v_cmpx_eq_u16_e32 0x80, v100
; %bb.1948:                             ;   in Loop: Header=BB2_1597 Depth=2
	s_mov_b32 s27, 0x7f800001
	s_xor_b32 s11, exec_lo, -1
; %bb.1949:                             ;   in Loop: Header=BB2_1597 Depth=2
	s_or_b32 exec_lo, exec_lo, s29
	s_delay_alu instid0(SALU_CYCLE_1)
	s_and_b32 s11, s11, exec_lo
                                        ; implicit-def: $vgpr100
	s_or_saveexec_b32 s28, s28
	v_mov_b32_e32 v55, s27
	s_xor_b32 exec_lo, exec_lo, s28
	s_cbranch_execz .LBB2_1814
.LBB2_1950:                             ;   in Loop: Header=BB2_1597 Depth=2
	v_cmp_ne_u16_e32 vcc_lo, 0, v100
	v_mov_b32_e32 v55, 0
	s_and_not1_b32 s11, s11, exec_lo
	s_and_b32 s27, vcc_lo, exec_lo
	s_delay_alu instid0(SALU_CYCLE_1)
	s_or_b32 s11, s11, s27
	s_or_b32 exec_lo, exec_lo, s28
	s_and_saveexec_b32 s27, s11
	s_cbranch_execnz .LBB2_1815
	s_branch .LBB2_1816
.LBB2_1951:                             ;   in Loop: Header=BB2_1597 Depth=2
	s_mov_b32 s11, -1
	s_mov_b32 s29, exec_lo
                                        ; implicit-def: $sgpr27
	v_cmpx_eq_u16_e32 0x80, v100
; %bb.1952:                             ;   in Loop: Header=BB2_1597 Depth=2
	s_mov_b32 s27, 0x7f800001
	s_xor_b32 s11, exec_lo, -1
; %bb.1953:                             ;   in Loop: Header=BB2_1597 Depth=2
	s_or_b32 exec_lo, exec_lo, s29
	s_delay_alu instid0(SALU_CYCLE_1)
	s_and_b32 s11, s11, exec_lo
                                        ; implicit-def: $vgpr100
	s_or_saveexec_b32 s28, s28
	v_mov_b32_e32 v52, s27
	s_xor_b32 exec_lo, exec_lo, s28
	s_cbranch_execz .LBB2_1818
.LBB2_1954:                             ;   in Loop: Header=BB2_1597 Depth=2
	v_cmp_ne_u16_e32 vcc_lo, 0, v100
	v_mov_b32_e32 v52, 0
	s_and_not1_b32 s11, s11, exec_lo
	s_and_b32 s27, vcc_lo, exec_lo
	s_delay_alu instid0(SALU_CYCLE_1)
	s_or_b32 s11, s11, s27
	s_or_b32 exec_lo, exec_lo, s28
	s_and_saveexec_b32 s27, s11
	s_cbranch_execnz .LBB2_1819
	s_branch .LBB2_1820
.LBB2_1955:                             ;   in Loop: Header=BB2_53 Depth=1
	s_or_b32 exec_lo, exec_lo, s26
.LBB2_1956:                             ;   in Loop: Header=BB2_53 Depth=1
	s_delay_alu instid0(SALU_CYCLE_1) | instskip(SKIP_1) | instid1(VALU_DEP_1)
	s_or_b32 exec_lo, exec_lo, s24
	v_and_b32_e32 v10, 0xffffff00, v97
	v_cmp_ne_u32_e32 vcc_lo, v97, v10
	s_and_b32 exec_lo, exec_lo, vcc_lo
	s_cbranch_execz .LBB2_2006
; %bb.1957:                             ;   in Loop: Header=BB2_53 Depth=1
	v_lshlrev_b32_e32 v11, 5, v17
	v_lshlrev_b32_e32 v12, 5, v50
	s_delay_alu instid0(VALU_DEP_2) | instskip(NEXT) | instid1(VALU_DEP_1)
	v_sub_nc_u32_e32 v11, v16, v11
	v_sub_nc_u32_e32 v11, v11, v12
	v_and_b32_e32 v12, 0xff, v97
	s_delay_alu instid0(VALU_DEP_1) | instskip(NEXT) | instid1(VALU_DEP_1)
	v_sub_nc_u32_e32 v16, v12, v11
	v_cmp_lt_i32_e32 vcc_lo, 0, v16
	s_and_b32 exec_lo, exec_lo, vcc_lo
	s_cbranch_execz .LBB2_2006
; %bb.1958:                             ;   in Loop: Header=BB2_53 Depth=1
	s_cbranch_execnz .LBB2_4591
; %bb.1959:                             ;   in Loop: Header=BB2_53 Depth=1
	ds_load_b128 v[12:15], v0
	s_waitcnt vmcnt(0)
	ds_load_b64 v[50:51], v0
	v_add3_u32 v17, v10, v96, v11
	s_bitcmp1_b32 s23, 0
	s_mov_b32 s23, 0
	s_cselect_b32 s24, -1, 0
	s_delay_alu instid0(VALU_DEP_1) | instskip(SKIP_2) | instid1(VALU_DEP_2)
	v_ashrrev_i32_e32 v52, 31, v17
	s_waitcnt lgkmcnt(1)
	v_add_co_u32 v10, vcc_lo, v12, v17
	v_add_co_ci_u32_e32 v11, vcc_lo, v13, v52, vcc_lo
	v_add_co_u32 v12, vcc_lo, v14, v17
	v_add_co_ci_u32_e32 v13, vcc_lo, v15, v52, vcc_lo
	s_waitcnt lgkmcnt(0)
	v_add_co_u32 v14, vcc_lo, v50, v17
	v_add_co_ci_u32_e32 v15, vcc_lo, v51, v52, vcc_lo
	s_branch .LBB2_1963
.LBB2_1960:                             ;   in Loop: Header=BB2_1963 Depth=2
	s_or_b32 exec_lo, exec_lo, s11
	s_delay_alu instid0(VALU_DEP_1) | instskip(NEXT) | instid1(VALU_DEP_2)
	v_lshrrev_b32_e32 v50, 20, v50
	v_cmp_gt_i32_e32 vcc_lo, 16, v17
	v_lshrrev_b32_e32 v51, 24, v52
	v_min_i32_e32 v52, 15, v17
	s_delay_alu instid0(VALU_DEP_2) | instskip(NEXT) | instid1(VALU_DEP_1)
	v_dual_cndmask_b32 v50, 7, v50 :: v_dual_and_b32 v51, 0x80, v51
	v_or_b32_e32 v17, v17, v50
	v_and_b32_e32 v53, 7, v50
	s_delay_alu instid0(VALU_DEP_2) | instskip(SKIP_1) | instid1(VALU_DEP_1)
	v_cmp_ne_u32_e32 vcc_lo, 0, v17
	v_lshlrev_b32_e32 v52, 3, v52
	v_or3_b32 v50, v52, v51, v53
	s_delay_alu instid0(VALU_DEP_1)
	v_cndmask_b32_e32 v17, 0, v50, vcc_lo
.LBB2_1961:                             ;   in Loop: Header=BB2_1963 Depth=2
	s_or_b32 exec_lo, exec_lo, s26
.LBB2_1962:                             ;   in Loop: Header=BB2_1963 Depth=2
	s_delay_alu instid0(SALU_CYCLE_1)
	s_or_b32 exec_lo, exec_lo, s25
	v_add_co_u32 v10, vcc_lo, v10, v83
	v_sub_nc_u32_e32 v16, v16, v83
	v_add_co_ci_u32_e32 v11, vcc_lo, v11, v86, vcc_lo
	v_add_co_u32 v12, vcc_lo, v12, v83
	v_add_co_ci_u32_e32 v13, vcc_lo, v13, v86, vcc_lo
	flat_store_b8 v[14:15], v17 glc slc dlc
	v_cmp_gt_i32_e32 vcc_lo, 1, v16
	v_add_co_u32 v14, s11, v14, v83
	s_delay_alu instid0(VALU_DEP_1) | instskip(SKIP_1) | instid1(SALU_CYCLE_1)
	v_add_co_ci_u32_e64 v15, s11, v15, v86, s11
	s_or_b32 s23, vcc_lo, s23
	s_and_not1_b32 exec_lo, exec_lo, s23
	s_cbranch_execz .LBB2_2006
.LBB2_1963:                             ;   Parent Loop BB2_53 Depth=1
                                        ; =>  This Inner Loop Header: Depth=2
	flat_load_u8 v50, v[12:13] slc dlc
	s_waitcnt vmcnt(1) lgkmcnt(2)
	flat_load_u8 v51, v[10:11] slc dlc
	s_waitcnt vmcnt(1) lgkmcnt(1)
	v_bfe_u32 v54, v50, 3, 4
	v_lshlrev_b32_e32 v55, 24, v50
	s_delay_alu instid0(VALU_DEP_2) | instskip(SKIP_1) | instid1(VALU_DEP_1)
	v_cmp_eq_u32_e32 vcc_lo, 0, v54
	v_and_b32_e32 v17, 7, v50
	v_clz_i32_u32_e32 v52, v17
	s_delay_alu instid0(VALU_DEP_1) | instskip(NEXT) | instid1(VALU_DEP_1)
	v_min_u32_e32 v52, 32, v52
	v_subrev_nc_u32_e32 v53, 28, v52
	v_sub_nc_u32_e32 v52, 29, v52
	s_delay_alu instid0(VALU_DEP_1) | instskip(NEXT) | instid1(VALU_DEP_1)
	v_dual_cndmask_b32 v52, v54, v52 :: v_dual_lshlrev_b32 v53, v53, v50
	v_and_b32_e32 v53, 7, v53
	s_delay_alu instid0(VALU_DEP_2) | instskip(NEXT) | instid1(VALU_DEP_2)
	v_lshl_add_u32 v52, v52, 23, 0x3b800000
	v_cndmask_b32_e32 v17, v17, v53, vcc_lo
	v_and_b32_e32 v53, 0x80000000, v55
	s_and_b32 vcc_lo, exec_lo, s24
	s_delay_alu instid0(VALU_DEP_2) | instskip(NEXT) | instid1(VALU_DEP_1)
	v_lshlrev_b32_e32 v17, 20, v17
	v_or3_b32 v17, v53, v52, v17
	s_cbranch_vccz .LBB2_1973
; %bb.1964:                             ;   in Loop: Header=BB2_1963 Depth=2
	s_waitcnt vmcnt(0) lgkmcnt(0)
	v_and_b32_e32 v53, 0xff, v51
	s_mov_b32 s11, 0
	s_mov_b32 s26, exec_lo
                                        ; implicit-def: $sgpr25
	s_delay_alu instid0(VALU_DEP_1)
	v_cmpx_lt_i16_e32 0x7f, v53
	s_xor_b32 s26, exec_lo, s26
	s_cbranch_execnz .LBB2_1990
; %bb.1965:                             ;   in Loop: Header=BB2_1963 Depth=2
	s_or_saveexec_b32 s26, s26
	v_mov_b32_e32 v52, s25
	s_xor_b32 exec_lo, exec_lo, s26
	s_cbranch_execnz .LBB2_1993
.LBB2_1966:                             ;   in Loop: Header=BB2_1963 Depth=2
	s_or_b32 exec_lo, exec_lo, s26
	s_and_saveexec_b32 s25, s11
	s_cbranch_execz .LBB2_1968
.LBB2_1967:                             ;   in Loop: Header=BB2_1963 Depth=2
	v_lshrrev_b16 v55, 3, v51
	v_lshlrev_b32_e32 v96, 24, v51
	s_delay_alu instid0(VALU_DEP_2) | instskip(NEXT) | instid1(VALU_DEP_1)
	v_and_b32_e32 v55, 15, v55
	v_cmp_eq_u32_e32 vcc_lo, 0, v55
	v_and_b32_e32 v52, 7, v51
	s_delay_alu instid0(VALU_DEP_1) | instskip(NEXT) | instid1(VALU_DEP_1)
	v_clz_i32_u32_e32 v53, v52
	v_min_u32_e32 v53, 32, v53
	s_delay_alu instid0(VALU_DEP_1) | instskip(SKIP_1) | instid1(VALU_DEP_1)
	v_subrev_nc_u32_e32 v54, 28, v53
	v_sub_nc_u32_e32 v53, 29, v53
	v_dual_cndmask_b32 v53, v55, v53 :: v_dual_lshlrev_b32 v54, v54, v51
	s_delay_alu instid0(VALU_DEP_1) | instskip(NEXT) | instid1(VALU_DEP_2)
	v_and_b32_e32 v54, 7, v54
	v_lshl_add_u32 v53, v53, 23, 0x3b800000
	s_delay_alu instid0(VALU_DEP_2) | instskip(SKIP_1) | instid1(VALU_DEP_2)
	v_cndmask_b32_e32 v52, v52, v54, vcc_lo
	v_and_b32_e32 v54, 0x80000000, v96
	v_lshlrev_b32_e32 v52, 20, v52
	s_delay_alu instid0(VALU_DEP_1)
	v_or3_b32 v52, v54, v53, v52
.LBB2_1968:                             ;   in Loop: Header=BB2_1963 Depth=2
	s_or_b32 exec_lo, exec_lo, s25
	v_and_b32_e32 v53, 0xff, v50
	s_mov_b32 s11, 0
	s_mov_b32 s26, exec_lo
                                        ; implicit-def: $sgpr25
	s_delay_alu instid0(VALU_DEP_1)
	v_cmpx_lt_i16_e32 0x7f, v53
	s_xor_b32 s26, exec_lo, s26
	s_cbranch_execnz .LBB2_1994
; %bb.1969:                             ;   in Loop: Header=BB2_1963 Depth=2
	s_or_saveexec_b32 s26, s26
	v_mov_b32_e32 v54, s25
	s_xor_b32 exec_lo, exec_lo, s26
	s_cbranch_execnz .LBB2_1997
.LBB2_1970:                             ;   in Loop: Header=BB2_1963 Depth=2
	s_or_b32 exec_lo, exec_lo, s26
	s_and_saveexec_b32 s25, s11
.LBB2_1971:                             ;   in Loop: Header=BB2_1963 Depth=2
	v_mov_b32_e32 v54, v17
.LBB2_1972:                             ;   in Loop: Header=BB2_1963 Depth=2
	s_or_b32 exec_lo, exec_lo, s25
	s_delay_alu instid0(VALU_DEP_1) | instskip(SKIP_1) | instid1(VALU_DEP_1)
	v_dual_max_f32 v53, v54, v54 :: v_dual_max_f32 v52, v52, v52
	s_mov_b32 s11, 0
	v_max_f32_e32 v52, v52, v53
	s_branch .LBB2_1974
.LBB2_1973:                             ;   in Loop: Header=BB2_1963 Depth=2
	s_mov_b32 s11, -1
                                        ; implicit-def: $vgpr52
.LBB2_1974:                             ;   in Loop: Header=BB2_1963 Depth=2
	s_delay_alu instid0(SALU_CYCLE_1)
	s_and_b32 vcc_lo, exec_lo, s11
	s_cbranch_vccz .LBB2_1984
; %bb.1975:                             ;   in Loop: Header=BB2_1963 Depth=2
	s_waitcnt vmcnt(0) lgkmcnt(0)
	v_and_b32_e32 v53, 0xff, v51
	s_mov_b32 s11, 0
	s_mov_b32 s26, exec_lo
                                        ; implicit-def: $sgpr25
	s_delay_alu instid0(VALU_DEP_1)
	v_cmpx_lt_i16_e32 0x7f, v53
	s_xor_b32 s26, exec_lo, s26
	s_cbranch_execnz .LBB2_1998
; %bb.1976:                             ;   in Loop: Header=BB2_1963 Depth=2
	s_or_saveexec_b32 s26, s26
	v_mov_b32_e32 v52, s25
	s_xor_b32 exec_lo, exec_lo, s26
	s_cbranch_execnz .LBB2_2001
.LBB2_1977:                             ;   in Loop: Header=BB2_1963 Depth=2
	s_or_b32 exec_lo, exec_lo, s26
	s_and_saveexec_b32 s25, s11
	s_cbranch_execz .LBB2_1979
.LBB2_1978:                             ;   in Loop: Header=BB2_1963 Depth=2
	v_lshrrev_b16 v55, 3, v51
	s_delay_alu instid0(VALU_DEP_1) | instskip(NEXT) | instid1(VALU_DEP_1)
	v_and_b32_e32 v55, 15, v55
	v_cmp_eq_u32_e32 vcc_lo, 0, v55
	v_and_b32_e32 v52, 7, v51
	s_delay_alu instid0(VALU_DEP_1) | instskip(NEXT) | instid1(VALU_DEP_1)
	v_clz_i32_u32_e32 v53, v52
	v_min_u32_e32 v53, 32, v53
	s_delay_alu instid0(VALU_DEP_1) | instskip(SKIP_1) | instid1(VALU_DEP_1)
	v_subrev_nc_u32_e32 v54, 28, v53
	v_sub_nc_u32_e32 v53, 29, v53
	v_dual_cndmask_b32 v53, v55, v53 :: v_dual_lshlrev_b32 v54, v54, v51
	v_lshlrev_b32_e32 v51, 24, v51
	s_delay_alu instid0(VALU_DEP_2) | instskip(NEXT) | instid1(VALU_DEP_3)
	v_and_b32_e32 v54, 7, v54
	v_lshl_add_u32 v53, v53, 23, 0x3b800000
	s_delay_alu instid0(VALU_DEP_2) | instskip(NEXT) | instid1(VALU_DEP_1)
	v_dual_cndmask_b32 v52, v52, v54 :: v_dual_and_b32 v51, 0x80000000, v51
	v_lshlrev_b32_e32 v52, 20, v52
	s_delay_alu instid0(VALU_DEP_1)
	v_or3_b32 v52, v51, v53, v52
.LBB2_1979:                             ;   in Loop: Header=BB2_1963 Depth=2
	s_or_b32 exec_lo, exec_lo, s25
	v_and_b32_e32 v50, 0xff, v50
	s_mov_b32 s11, 0
	s_mov_b32 s26, exec_lo
                                        ; implicit-def: $sgpr25
	s_delay_alu instid0(VALU_DEP_1)
	v_cmpx_lt_i16_e32 0x7f, v50
	s_xor_b32 s26, exec_lo, s26
	s_cbranch_execnz .LBB2_2002
; %bb.1980:                             ;   in Loop: Header=BB2_1963 Depth=2
	s_or_saveexec_b32 s26, s26
	v_mov_b32_e32 v51, s25
	s_xor_b32 exec_lo, exec_lo, s26
	s_cbranch_execnz .LBB2_2005
.LBB2_1981:                             ;   in Loop: Header=BB2_1963 Depth=2
	s_or_b32 exec_lo, exec_lo, s26
	s_and_saveexec_b32 s25, s11
.LBB2_1982:                             ;   in Loop: Header=BB2_1963 Depth=2
	v_mov_b32_e32 v51, v17
.LBB2_1983:                             ;   in Loop: Header=BB2_1963 Depth=2
	s_or_b32 exec_lo, exec_lo, s25
	s_delay_alu instid0(VALU_DEP_1) | instskip(NEXT) | instid1(VALU_DEP_1)
	v_dual_max_f32 v17, v51, v51 :: v_dual_max_f32 v50, v52, v52
	v_min_f32_e32 v52, v50, v17
.LBB2_1984:                             ;   in Loop: Header=BB2_1963 Depth=2
	s_delay_alu instid0(VALU_DEP_1) | instskip(NEXT) | instid1(VALU_DEP_1)
	v_and_b32_e32 v17, 0x7f800000, v52
	v_cmp_ne_u32_e32 vcc_lo, 0x7f800000, v17
	v_mov_b32_e32 v17, 0x80
	s_and_saveexec_b32 s25, vcc_lo
	s_cbranch_execz .LBB2_1962
; %bb.1985:                             ;   in Loop: Header=BB2_1963 Depth=2
	v_mov_b32_e32 v17, 0
	s_mov_b32 s26, exec_lo
	v_cmpx_ne_u32_e32 0, v52
	s_cbranch_execz .LBB2_1961
; %bb.1986:                             ;   in Loop: Header=BB2_1963 Depth=2
	v_bfe_u32 v17, v52, 23, 8
	s_waitcnt vmcnt(0) lgkmcnt(0)
	s_delay_alu instid0(VALU_DEP_1) | instskip(SKIP_1) | instid1(VALU_DEP_2)
	v_sub_nc_u32_e32 v51, 0x78, v17
	v_cmp_gt_u32_e32 vcc_lo, 0x79, v17
	v_dual_cndmask_b32 v51, 0, v51 :: v_dual_and_b32 v50, 0x7fffff, v52
	s_delay_alu instid0(VALU_DEP_1) | instskip(SKIP_2) | instid1(VALU_DEP_4)
	v_or_b32_e32 v53, 0x800000, v50
	v_cmp_eq_u32_e32 vcc_lo, 0, v17
	v_add_nc_u32_e32 v17, 0xffffff89, v17
	v_cndmask_b32_e64 v51, v51, 0x77, vcc_lo
	s_delay_alu instid0(VALU_DEP_4) | instskip(NEXT) | instid1(VALU_DEP_3)
	v_cndmask_b32_e32 v50, v53, v50, vcc_lo
	v_cndmask_b32_e64 v17, v17, 0xffffff8a, vcc_lo
	s_delay_alu instid0(VALU_DEP_3) | instskip(NEXT) | instid1(VALU_DEP_3)
	v_lshl_add_u32 v53, 0x100000, v51, -1
	v_lshrrev_b32_e32 v54, v51, v50
	v_lshlrev_b32_e64 v96, v51, 0x80000
	s_delay_alu instid0(VALU_DEP_4) | instskip(NEXT) | instid1(VALU_DEP_4)
	v_add_nc_u32_e32 v51, v51, v17
	v_and_b32_e32 v50, v53, v50
	s_delay_alu instid0(VALU_DEP_4) | instskip(NEXT) | instid1(VALU_DEP_2)
	v_bfe_u32 v55, v54, 20, 1
	v_cmp_eq_u32_e64 s11, v50, v96
	s_delay_alu instid0(VALU_DEP_2) | instskip(NEXT) | instid1(VALU_DEP_1)
	v_add_nc_u32_e32 v53, -1, v55
	v_cndmask_b32_e64 v50, 0, v53, s11
	v_lshrrev_b32_e32 v53, 23, v54
	s_mov_b32 s11, exec_lo
	s_delay_alu instid0(VALU_DEP_2) | instskip(NEXT) | instid1(VALU_DEP_2)
	v_add_nc_u32_e32 v50, v50, v54
	v_xor_b32_e32 v53, 1, v53
	s_delay_alu instid0(VALU_DEP_2) | instskip(NEXT) | instid1(VALU_DEP_1)
	v_and_b32_e32 v17, 0xfffff, v50
	v_add_nc_u32_e32 v50, v17, v54
                                        ; implicit-def: $vgpr17
	s_delay_alu instid0(VALU_DEP_3)
	v_cmpx_ne_u32_e64 v51, v53
	s_xor_b32 s11, exec_lo, s11
; %bb.1987:                             ;   in Loop: Header=BB2_1963 Depth=2
	s_delay_alu instid0(VALU_DEP_2) | instskip(SKIP_2) | instid1(VALU_DEP_2)
	v_cmp_lt_u32_e32 vcc_lo, 0xffffff, v50
	v_sub_nc_u32_e32 v17, v51, v53
	v_cndmask_b32_e64 v51, 0, 1, vcc_lo
	v_add_co_ci_u32_e32 v17, vcc_lo, 0, v17, vcc_lo
	s_delay_alu instid0(VALU_DEP_2)
	v_lshrrev_b32_e32 v50, v51, v50
; %bb.1988:                             ;   in Loop: Header=BB2_1963 Depth=2
	s_and_not1_saveexec_b32 s11, s11
	s_cbranch_execz .LBB2_1960
; %bb.1989:                             ;   in Loop: Header=BB2_1963 Depth=2
	s_delay_alu instid0(VALU_DEP_1)
	v_bfe_u32 v17, v50, 23, 1
	s_branch .LBB2_1960
.LBB2_1990:                             ;   in Loop: Header=BB2_1963 Depth=2
	s_mov_b32 s11, -1
	s_mov_b32 s27, exec_lo
                                        ; implicit-def: $sgpr25
	v_cmpx_eq_u16_e32 0x80, v53
; %bb.1991:                             ;   in Loop: Header=BB2_1963 Depth=2
	s_mov_b32 s25, 0x7f800001
	s_xor_b32 s11, exec_lo, -1
; %bb.1992:                             ;   in Loop: Header=BB2_1963 Depth=2
	s_or_b32 exec_lo, exec_lo, s27
	s_delay_alu instid0(SALU_CYCLE_1)
	s_and_b32 s11, s11, exec_lo
                                        ; implicit-def: $vgpr53
	s_or_saveexec_b32 s26, s26
	v_mov_b32_e32 v52, s25
	s_xor_b32 exec_lo, exec_lo, s26
	s_cbranch_execz .LBB2_1966
.LBB2_1993:                             ;   in Loop: Header=BB2_1963 Depth=2
	v_cmp_ne_u16_e32 vcc_lo, 0, v53
	v_mov_b32_e32 v52, 0
	s_and_not1_b32 s11, s11, exec_lo
	s_and_b32 s25, vcc_lo, exec_lo
	s_delay_alu instid0(SALU_CYCLE_1)
	s_or_b32 s11, s11, s25
	s_or_b32 exec_lo, exec_lo, s26
	s_and_saveexec_b32 s25, s11
	s_cbranch_execnz .LBB2_1967
	s_branch .LBB2_1968
.LBB2_1994:                             ;   in Loop: Header=BB2_1963 Depth=2
	s_mov_b32 s11, -1
	s_mov_b32 s27, exec_lo
                                        ; implicit-def: $sgpr25
	v_cmpx_eq_u16_e32 0x80, v53
; %bb.1995:                             ;   in Loop: Header=BB2_1963 Depth=2
	s_mov_b32 s25, 0x7f800001
	s_xor_b32 s11, exec_lo, -1
; %bb.1996:                             ;   in Loop: Header=BB2_1963 Depth=2
	s_or_b32 exec_lo, exec_lo, s27
	s_delay_alu instid0(SALU_CYCLE_1)
	s_and_b32 s11, s11, exec_lo
                                        ; implicit-def: $vgpr53
	s_or_saveexec_b32 s26, s26
	v_mov_b32_e32 v54, s25
	s_xor_b32 exec_lo, exec_lo, s26
	s_cbranch_execz .LBB2_1970
.LBB2_1997:                             ;   in Loop: Header=BB2_1963 Depth=2
	v_cmp_ne_u16_e32 vcc_lo, 0, v53
	v_mov_b32_e32 v54, 0
	s_and_not1_b32 s11, s11, exec_lo
	s_and_b32 s25, vcc_lo, exec_lo
	s_delay_alu instid0(SALU_CYCLE_1)
	s_or_b32 s11, s11, s25
	s_or_b32 exec_lo, exec_lo, s26
	s_and_saveexec_b32 s25, s11
	s_cbranch_execnz .LBB2_1971
	s_branch .LBB2_1972
.LBB2_1998:                             ;   in Loop: Header=BB2_1963 Depth=2
	s_mov_b32 s11, -1
	s_mov_b32 s27, exec_lo
                                        ; implicit-def: $sgpr25
	v_cmpx_eq_u16_e32 0x80, v53
; %bb.1999:                             ;   in Loop: Header=BB2_1963 Depth=2
	s_mov_b32 s25, 0x7f800001
	s_xor_b32 s11, exec_lo, -1
; %bb.2000:                             ;   in Loop: Header=BB2_1963 Depth=2
	s_or_b32 exec_lo, exec_lo, s27
	s_delay_alu instid0(SALU_CYCLE_1)
	s_and_b32 s11, s11, exec_lo
                                        ; implicit-def: $vgpr53
	s_or_saveexec_b32 s26, s26
	v_mov_b32_e32 v52, s25
	s_xor_b32 exec_lo, exec_lo, s26
	s_cbranch_execz .LBB2_1977
.LBB2_2001:                             ;   in Loop: Header=BB2_1963 Depth=2
	v_cmp_ne_u16_e32 vcc_lo, 0, v53
	v_mov_b32_e32 v52, 0
	s_and_not1_b32 s11, s11, exec_lo
	s_and_b32 s25, vcc_lo, exec_lo
	s_delay_alu instid0(SALU_CYCLE_1)
	s_or_b32 s11, s11, s25
	s_or_b32 exec_lo, exec_lo, s26
	s_and_saveexec_b32 s25, s11
	s_cbranch_execnz .LBB2_1978
	s_branch .LBB2_1979
.LBB2_2002:                             ;   in Loop: Header=BB2_1963 Depth=2
	s_mov_b32 s11, -1
	s_mov_b32 s27, exec_lo
                                        ; implicit-def: $sgpr25
	v_cmpx_eq_u16_e32 0x80, v50
; %bb.2003:                             ;   in Loop: Header=BB2_1963 Depth=2
	s_mov_b32 s25, 0x7f800001
	s_xor_b32 s11, exec_lo, -1
; %bb.2004:                             ;   in Loop: Header=BB2_1963 Depth=2
	s_or_b32 exec_lo, exec_lo, s27
	s_delay_alu instid0(SALU_CYCLE_1)
	s_and_b32 s11, s11, exec_lo
                                        ; implicit-def: $vgpr50
	s_or_saveexec_b32 s26, s26
	v_mov_b32_e32 v51, s25
	s_xor_b32 exec_lo, exec_lo, s26
	s_cbranch_execz .LBB2_1981
.LBB2_2005:                             ;   in Loop: Header=BB2_1963 Depth=2
	v_cmp_ne_u16_e32 vcc_lo, 0, v50
	v_mov_b32_e32 v51, 0
	s_and_not1_b32 s11, s11, exec_lo
	s_and_b32 s25, vcc_lo, exec_lo
	s_delay_alu instid0(SALU_CYCLE_1)
	s_or_b32 s11, s11, s25
	s_or_b32 exec_lo, exec_lo, s26
	s_and_saveexec_b32 s25, s11
	s_cbranch_execnz .LBB2_1982
	s_branch .LBB2_1983
.LBB2_2006:                             ;   in Loop: Header=BB2_53 Depth=1
	s_or_b32 exec_lo, exec_lo, s12
	v_cmp_ne_u32_e64 s11, 0, v36
.LBB2_2007:                             ;   in Loop: Header=BB2_53 Depth=1
	s_and_saveexec_b32 s12, s3
	s_cbranch_execz .LBB2_2029
; %bb.2008:                             ;   in Loop: Header=BB2_53 Depth=1
	s_and_saveexec_b32 s23, s4
	s_delay_alu instid0(SALU_CYCLE_1)
	s_xor_b32 s23, exec_lo, s23
	s_cbranch_execz .LBB2_2026
; %bb.2009:                             ;   in Loop: Header=BB2_53 Depth=1
	s_and_saveexec_b32 s24, s5
	s_cbranch_execz .LBB2_2025
; %bb.2010:                             ;   in Loop: Header=BB2_53 Depth=1
	s_mov_b32 s26, exec_lo
	s_mov_b32 s25, exec_lo
	v_mbcnt_lo_u32_b32 v10, s26, 0
	s_waitcnt vmcnt(0) lgkmcnt(0)
	s_waitcnt_vscnt null, 0x0
	buffer_gl1_inv
	buffer_gl0_inv
	v_cmpx_eq_u32_e32 0, v10
	s_cbranch_execz .LBB2_2012
; %bb.2011:                             ;   in Loop: Header=BB2_53 Depth=1
	s_bcnt1_i32_b32 s26, s26
	s_delay_alu instid0(SALU_CYCLE_1)
	v_mov_b32_e32 v36, s26
	ds_add_u64 v0, v[36:37]
	s_cbranch_execnz .LBB2_4585
.LBB2_2012:                             ;   in Loop: Header=BB2_53 Depth=1
	s_or_b32 exec_lo, exec_lo, s25
	s_cbranch_execnz .LBB2_4563
; %bb.2013:                             ;   in Loop: Header=BB2_53 Depth=1
	ds_load_b64 v[10:11], v0
	v_add_co_u32 v28, vcc_lo, v28, v67
	v_add_co_ci_u32_e32 v29, vcc_lo, 0, v29, vcc_lo
	s_mov_b32 s25, exec_lo
	s_waitcnt lgkmcnt(0)
	s_delay_alu instid0(VALU_DEP_1)
	v_cmpx_lt_u64_e64 v[10:11], v[28:29]
	s_cbranch_execz .LBB2_2024
; %bb.2014:                             ;   in Loop: Header=BB2_53 Depth=1
	s_mov_b32 s26, 0
	s_mov_b32 s29, 0
                                        ; implicit-def: $sgpr27
                                        ; implicit-def: $sgpr28
	s_branch .LBB2_2016
.LBB2_2015:                             ;   in Loop: Header=BB2_2016 Depth=2
	s_or_b32 exec_lo, exec_lo, s30
	s_delay_alu instid0(SALU_CYCLE_1) | instskip(NEXT) | instid1(SALU_CYCLE_1)
	s_and_b32 vcc_lo, exec_lo, vcc_lo
	s_or_b32 s26, vcc_lo, s26
	s_and_not1_b32 s27, s27, exec_lo
	s_and_b32 vcc_lo, s28, exec_lo
	s_delay_alu instid0(SALU_CYCLE_1)
	s_or_b32 s27, s27, vcc_lo
	s_and_not1_b32 exec_lo, exec_lo, s26
	s_cbranch_execz .LBB2_2022
.LBB2_2016:                             ;   Parent Loop BB2_53 Depth=1
                                        ; =>  This Inner Loop Header: Depth=2
	s_add_i32 s29, s29, 1
                                        ; implicit-def: $sgpr30
	s_delay_alu instid0(SALU_CYCLE_1) | instskip(SKIP_1) | instid1(SALU_CYCLE_1)
	s_cmpk_lg_i32 s29, 0x2710
	s_cselect_b32 vcc_hi, -1, 0
	s_and_b32 vcc_lo, exec_lo, vcc_hi
	s_cbranch_vccz .LBB2_2020
.LBB2_2017:                             ;   in Loop: Header=BB2_2016 Depth=2
	s_and_not1_b32 s28, s28, exec_lo
	s_and_b32 s30, s30, exec_lo
	s_mov_b32 vcc_lo, -1
	s_or_b32 s28, s28, s30
	s_and_saveexec_b32 s30, vcc_hi
	s_cbranch_execz .LBB2_2015
; %bb.2018:                             ;   in Loop: Header=BB2_2016 Depth=2
	s_sleep 1
	s_cbranch_execnz .LBB2_4601
; %bb.2019:                             ;   in Loop: Header=BB2_2016 Depth=2
	ds_load_b64 v[10:11], v0
	s_and_not1_b32 s28, s28, exec_lo
	s_waitcnt lgkmcnt(0)
	v_cmp_ge_u64_e32 vcc_lo, v[10:11], v[28:29]
	s_or_not1_b32 vcc_lo, vcc_lo, exec_lo
	s_branch .LBB2_2015
.LBB2_2020:                             ;   in Loop: Header=BB2_2016 Depth=2
	s_cbranch_execnz .LBB2_4605
; %bb.2021:                             ;   in Loop: Header=BB2_2016 Depth=2
	ds_load_b64 v[10:11], v0
	s_mov_b32 s29, 0
	s_mov_b32 s30, -1
	s_waitcnt lgkmcnt(0)
	flat_load_b32 v10, v[10:11] glc
	s_waitcnt vmcnt(0) lgkmcnt(0)
	buffer_gl1_inv
	buffer_gl0_inv
	v_cmp_eq_u32_e32 vcc_lo, 0, v10
	s_and_not1_b32 vcc_hi, vcc_hi, exec_lo
	s_and_b32 vcc_lo, vcc_lo, exec_lo
	s_delay_alu instid0(SALU_CYCLE_1)
	s_or_b32 vcc_hi, vcc_hi, vcc_lo
	s_branch .LBB2_2017
.LBB2_2022:                             ;   in Loop: Header=BB2_53 Depth=1
	s_or_b32 exec_lo, exec_lo, s26
	s_and_saveexec_b32 s26, s27
	s_delay_alu instid0(SALU_CYCLE_1)
	s_xor_b32 s26, exec_lo, s26
	s_cbranch_execz .LBB2_2024
; %bb.2023:                             ;   in Loop: Header=BB2_53 Depth=1
	ds_store_b32 v0, v87
	s_cbranch_execnz .LBB2_4629
.LBB2_2024:                             ;   in Loop: Header=BB2_53 Depth=1
	s_or_b32 exec_lo, exec_lo, s25
	;;#ASMSTART
	s_wakeup
	;;#ASMEND
.LBB2_2025:                             ;   in Loop: Header=BB2_53 Depth=1
	s_or_b32 exec_lo, exec_lo, s24
.LBB2_2026:                             ;   in Loop: Header=BB2_53 Depth=1
	s_and_not1_saveexec_b32 s23, s23
	s_cbranch_execz .LBB2_2028
; %bb.2027:                             ;   in Loop: Header=BB2_53 Depth=1
	s_waitcnt vmcnt(0) lgkmcnt(0)
	s_waitcnt_vscnt null, 0x0
	buffer_gl1_inv
	buffer_gl0_inv
	s_barrier
.LBB2_2028:                             ;   in Loop: Header=BB2_53 Depth=1
	s_or_b32 exec_lo, exec_lo, s23
.LBB2_2029:                             ;   in Loop: Header=BB2_53 Depth=1
	s_delay_alu instid0(SALU_CYCLE_1) | instskip(SKIP_1) | instid1(VALU_DEP_1)
	s_or_b32 exec_lo, exec_lo, s12
	v_and_b32_e32 v10, 16, v64
	v_cmp_ne_u32_e32 vcc_lo, 0, v10
	s_and_b32 s12, vcc_lo, s11
	s_delay_alu instid0(SALU_CYCLE_1)
	s_and_saveexec_b32 s11, s12
	s_cbranch_execz .LBB2_2031
; %bb.2030:                             ;   in Loop: Header=BB2_53 Depth=1
	s_waitcnt vmcnt(0) lgkmcnt(0)
	s_waitcnt_vscnt null, 0x0
	buffer_gl1_inv
	buffer_gl0_inv
.LBB2_2031:                             ;   in Loop: Header=BB2_53 Depth=1
	s_or_b32 exec_lo, exec_lo, s11
	v_cmp_ne_u32_e32 vcc_lo, 0, v10
	s_xor_b32 s11, s10, -1
	s_delay_alu instid0(SALU_CYCLE_1) | instskip(NEXT) | instid1(SALU_CYCLE_1)
	s_and_b32 s12, vcc_lo, s11
	s_and_saveexec_b32 s11, s12
	s_cbranch_execz .LBB2_2033
; %bb.2032:                             ;   in Loop: Header=BB2_53 Depth=1
	s_waitcnt vmcnt(0) lgkmcnt(0)
	s_waitcnt_vscnt null, 0x0
	flat_store_b32 v[34:35], v87
.LBB2_2033:                             ;   in Loop: Header=BB2_53 Depth=1
	s_or_b32 exec_lo, exec_lo, s11
	v_and_b32_e32 v10, 48, v64
	s_mov_b32 s11, exec_lo
	s_delay_alu instid0(VALU_DEP_1)
	v_cmpx_ne_u32_e32 0, v10
	s_cbranch_execz .LBB2_2035
; %bb.2034:                             ;   in Loop: Header=BB2_53 Depth=1
	v_add_co_u32 v8, vcc_lo, v8, 1
	v_add_co_ci_u32_e32 v9, vcc_lo, 0, v9, vcc_lo
	s_waitcnt vmcnt(0) lgkmcnt(0)
	s_waitcnt_vscnt null, 0x0
	flat_store_b64 v[22:23], v[8:9]
.LBB2_2035:                             ;   in Loop: Header=BB2_53 Depth=1
	s_or_b32 exec_lo, exec_lo, s11
	v_mov_b32_e32 v12, v49
.LBB2_2036:                             ;   in Loop: Header=BB2_53 Depth=1
	s_or_b32 exec_lo, exec_lo, s22
	s_and_saveexec_b32 s12, s21
	s_cbranch_execz .LBB2_2096
; %bb.2037:                             ;   in Loop: Header=BB2_53 Depth=1
	v_and_b32_e32 v10, 12, v64
	s_mov_b32 s21, -1
	s_mov_b32 s11, exec_lo
	s_delay_alu instid0(VALU_DEP_1)
	v_cmpx_ne_u32_e32 0, v10
	s_cbranch_execz .LBB2_2051
; %bb.2038:                             ;   in Loop: Header=BB2_53 Depth=1
	v_and_b32_e32 v13, 8, v64
	s_delay_alu instid0(VALU_DEP_1) | instskip(SKIP_3) | instid1(VALU_DEP_1)
	v_add_co_u32 v14, vcc_lo, v26, v13
	v_add_co_ci_u32_e32 v15, vcc_lo, 0, v27, vcc_lo
	v_add_co_u32 v10, vcc_lo, v8, 1
	v_add_co_ci_u32_e32 v11, vcc_lo, 0, v9, vcc_lo
	v_cmp_lt_u64_e32 vcc_lo, v[14:15], v[10:11]
	v_mov_b32_e32 v14, 1
	s_and_saveexec_b32 s21, vcc_lo
	s_cbranch_execz .LBB2_2050
; %bb.2039:                             ;   in Loop: Header=BB2_53 Depth=1
	v_mov_b32_e32 v14, 0
	s_mov_b32 s22, 0
                                        ; implicit-def: $sgpr23
	s_branch .LBB2_2043
.LBB2_2040:                             ;   in Loop: Header=BB2_2043 Depth=2
	s_or_b32 exec_lo, exec_lo, s27
	v_mov_b32_e32 v15, 0
	s_or_not1_b32 s26, s26, exec_lo
.LBB2_2041:                             ;   in Loop: Header=BB2_2043 Depth=2
	s_or_b32 exec_lo, exec_lo, s25
	s_delay_alu instid0(VALU_DEP_1) | instskip(SKIP_2) | instid1(SALU_CYCLE_1)
	v_mov_b32_e32 v14, v15
	s_and_not1_b32 s23, s23, exec_lo
	s_and_b32 s25, s26, exec_lo
	s_or_b32 s23, s23, s25
.LBB2_2042:                             ;   in Loop: Header=BB2_2043 Depth=2
	s_or_b32 exec_lo, exec_lo, s24
	s_waitcnt vmcnt(0) lgkmcnt(0)
	v_add_co_u32 v15, vcc_lo, v26, v13
	v_add_co_ci_u32_e32 v16, vcc_lo, 0, v27, vcc_lo
	s_xor_b32 s24, s23, -1
	s_delay_alu instid0(VALU_DEP_1) | instskip(SKIP_1) | instid1(SALU_CYCLE_1)
	v_cmp_ge_u64_e32 vcc_lo, v[15:16], v[10:11]
	s_or_b32 s24, s24, vcc_lo
	s_and_b32 s24, exec_lo, s24
	s_delay_alu instid0(SALU_CYCLE_1) | instskip(NEXT) | instid1(SALU_CYCLE_1)
	s_or_b32 s22, s24, s22
	s_and_not1_b32 exec_lo, exec_lo, s22
	s_cbranch_execz .LBB2_2049
.LBB2_2043:                             ;   Parent Loop BB2_53 Depth=1
                                        ; =>  This Inner Loop Header: Depth=2
	s_sleep 1
	flat_load_b64 v[26:27], v[22:23] glc
	v_and_b32_e32 v15, 64, v64
	s_and_not1_b32 s23, s23, exec_lo
	s_mov_b32 s24, exec_lo
	s_delay_alu instid0(VALU_DEP_1)
	v_cmpx_eq_u32_e32 0, v15
	s_cbranch_execz .LBB2_2042
; %bb.2044:                             ;   in Loop: Header=BB2_2043 Depth=2
	v_add_nc_u32_e32 v15, 1, v14
	s_mov_b32 s26, -1
	s_mov_b32 s25, exec_lo
	v_cmpx_lt_i32_e32 0x270e, v14
	s_cbranch_execz .LBB2_2041
; %bb.2045:                             ;   in Loop: Header=BB2_2043 Depth=2
	s_cbranch_execnz .LBB2_4449
; %bb.2046:                             ;   in Loop: Header=BB2_2043 Depth=2
	ds_load_b64 v[14:15], v0
	s_mov_b32 s27, exec_lo
	s_waitcnt vmcnt(0) lgkmcnt(0)
	s_waitcnt_vscnt null, 0x0
	flat_load_b32 v14, v[14:15] glc
	s_waitcnt vmcnt(0) lgkmcnt(0)
	buffer_gl1_inv
	buffer_gl0_inv
	v_cmpx_ne_u32_e32 0, v14
	s_cbranch_execz .LBB2_2040
; %bb.2047:                             ;   in Loop: Header=BB2_2043 Depth=2
	ds_store_b32 v0, v14
	s_cbranch_execnz .LBB2_4475
; %bb.2048:                             ;   in Loop: Header=BB2_2043 Depth=2
	v_or_b32_e32 v64, 64, v64
	s_xor_b32 s26, exec_lo, -1
	s_branch .LBB2_2040
.LBB2_2049:                             ;   in Loop: Header=BB2_53 Depth=1
	s_or_b32 exec_lo, exec_lo, s22
	v_and_b32_e32 v14, 12, v64
.LBB2_2050:                             ;   in Loop: Header=BB2_53 Depth=1
	s_or_b32 exec_lo, exec_lo, s21
	s_delay_alu instid0(VALU_DEP_1)
	v_cmp_eq_u32_e32 vcc_lo, 0, v14
	;;#ASMSTART
	s_wakeup
	;;#ASMEND
	s_or_not1_b32 s21, vcc_lo, exec_lo
.LBB2_2051:                             ;   in Loop: Header=BB2_53 Depth=1
	s_or_b32 exec_lo, exec_lo, s11
	v_sub_nc_u32_e32 v10, v48, v12
	s_xor_b32 s11, s21, -1
	s_delay_alu instid0(VALU_DEP_1)
	v_min_i32_e32 v10, v49, v10
	s_and_saveexec_b32 s21, s11
	s_cbranch_execz .LBB2_2066
; %bb.2052:                             ;   in Loop: Header=BB2_53 Depth=1
	v_and_b32_e32 v11, 0x108, v64
	s_mov_b32 s11, exec_lo
	s_delay_alu instid0(VALU_DEP_1)
	v_cmpx_ne_u32_e32 0x108, v11
	s_xor_b32 s11, exec_lo, s11
                                        ; implicit-def: $vgpr12_vgpr13
; %bb.2053:                             ;   in Loop: Header=BB2_53 Depth=1
	v_and_b32_e32 v12, 7, v8
; %bb.2054:                             ;   in Loop: Header=BB2_53 Depth=1
	s_and_not1_saveexec_b32 s11, s11
	s_cbranch_execz .LBB2_2056
; %bb.2055:                             ;   in Loop: Header=BB2_53 Depth=1
	v_and_b32_e32 v12, 7, v8
	v_ashrrev_i32_e32 v11, 31, v10
	s_delay_alu instid0(VALU_DEP_2)
	v_mad_u64_u32 v[13:14], null, v12, 24, v[6:7]
	flat_store_b64 v[13:14], v[10:11] offset:8
.LBB2_2056:                             ;   in Loop: Header=BB2_53 Depth=1
	s_or_b32 exec_lo, exec_lo, s11
	v_and_b32_e32 v11, 0x100, v64
	s_mov_b32 s11, -1
	s_mov_b32 s22, exec_lo
                                        ; implicit-def: $vgpr13_vgpr14
	s_delay_alu instid0(VALU_DEP_1)
	v_cmpx_ne_u32_e32 0, v11
	s_cbranch_execnz .LBB2_2059
; %bb.2057:                             ;   in Loop: Header=BB2_53 Depth=1
	s_or_b32 exec_lo, exec_lo, s22
	s_and_saveexec_b32 s22, s11
	s_cbranch_execnz .LBB2_2062
.LBB2_2058:                             ;   in Loop: Header=BB2_53 Depth=1
	s_or_b32 exec_lo, exec_lo, s22
	s_cbranch_execnz .LBB2_4441
	s_branch .LBB2_2063
.LBB2_2059:                             ;   in Loop: Header=BB2_53 Depth=1
	v_mad_u64_u32 v[15:16], null, v12, 24, v[6:7]
	s_mov_b32 s23, exec_lo
	s_delay_alu instid0(VALU_DEP_1) | instskip(NEXT) | instid1(VALU_DEP_1)
	v_mov_b32_e32 v11, v16
	v_mad_u64_u32 v[13:14], null, v37, 24, v[11:12]
	s_delay_alu instid0(VALU_DEP_1)
	v_mov_b32_e32 v16, v13
                                        ; implicit-def: $vgpr13_vgpr14
	flat_load_b32 v11, v[15:16]
	s_waitcnt vmcnt(0) lgkmcnt(0)
	v_cmp_ne_u32_e32 vcc_lo, 1, v11
	v_cmpx_eq_u32_e32 1, v11
	s_cbranch_execz .LBB2_2061
; %bb.2060:                             ;   in Loop: Header=BB2_53 Depth=1
	flat_load_b32 v13, v[15:16] offset:4 glc
	s_waitcnt vmcnt(0) lgkmcnt(0)
	v_ashrrev_i32_e32 v14, 31, v13
.LBB2_2061:                             ;   in Loop: Header=BB2_53 Depth=1
	s_or_b32 exec_lo, exec_lo, s23
	s_delay_alu instid0(SALU_CYCLE_1)
	s_or_not1_b32 s11, vcc_lo, exec_lo
	s_or_b32 exec_lo, exec_lo, s22
	s_and_saveexec_b32 s22, s11
	s_cbranch_execz .LBB2_2058
.LBB2_2062:                             ;   in Loop: Header=BB2_53 Depth=1
	v_mul_lo_u32 v11, v37, v65
	v_mul_lo_u32 v15, v12, v66
	v_mad_u64_u32 v[13:14], null, v12, v65, 0
	s_delay_alu instid0(VALU_DEP_1)
	v_add3_u32 v14, v14, v15, v11
	s_or_b32 exec_lo, exec_lo, s22
	s_cbranch_execnz .LBB2_4441
.LBB2_2063:                             ;   in Loop: Header=BB2_53 Depth=1
	s_delay_alu instid0(VALU_DEP_2)
	v_add_co_u32 v11, vcc_lo, v24, v13
	v_and_b32_e32 v15, 0x2000, v64
	v_add_co_ci_u32_e32 v12, vcc_lo, v25, v14, vcc_lo
	s_mov_b32 s11, exec_lo
	ds_store_b64 v0, v[11:12]
	v_cmpx_ne_u32_e32 0, v15
	s_cbranch_execz .LBB2_2065
; %bb.2064:                             ;   in Loop: Header=BB2_53 Depth=1
	ds_load_b64 v[11:12], v0 offset:584
	s_waitcnt lgkmcnt(0)
	v_add_co_u32 v11, vcc_lo, v11, 1
	v_add_co_ci_u32_e32 v12, vcc_lo, 0, v12, vcc_lo
	ds_store_b64 v0, v[11:12] offset:584
.LBB2_2065:                             ;   in Loop: Header=BB2_53 Depth=1
	s_or_b32 exec_lo, exec_lo, s11
	v_add_co_u32 v8, vcc_lo, v8, 1
	v_add_co_ci_u32_e32 v9, vcc_lo, 0, v9, vcc_lo
.LBB2_2066:                             ;   in Loop: Header=BB2_53 Depth=1
	s_or_b32 exec_lo, exec_lo, s21
	s_and_saveexec_b32 s11, s3
	s_cbranch_execz .LBB2_2088
; %bb.2067:                             ;   in Loop: Header=BB2_53 Depth=1
	s_and_saveexec_b32 s21, s4
	s_delay_alu instid0(SALU_CYCLE_1)
	s_xor_b32 s21, exec_lo, s21
	s_cbranch_execz .LBB2_2085
; %bb.2068:                             ;   in Loop: Header=BB2_53 Depth=1
	s_and_saveexec_b32 s22, s5
	s_cbranch_execz .LBB2_2084
; %bb.2069:                             ;   in Loop: Header=BB2_53 Depth=1
	s_mov_b32 s24, exec_lo
	s_mov_b32 s23, exec_lo
	v_mbcnt_lo_u32_b32 v11, s24, 0
	s_waitcnt vmcnt(0) lgkmcnt(0)
	s_waitcnt_vscnt null, 0x0
	buffer_gl1_inv
	buffer_gl0_inv
	v_cmpx_eq_u32_e32 0, v11
	s_cbranch_execz .LBB2_2071
; %bb.2070:                             ;   in Loop: Header=BB2_53 Depth=1
	s_bcnt1_i32_b32 s24, s24
	s_delay_alu instid0(SALU_CYCLE_1)
	v_mov_b32_e32 v36, s24
	ds_add_u64 v0, v[36:37]
	s_cbranch_execnz .LBB2_4507
.LBB2_2071:                             ;   in Loop: Header=BB2_53 Depth=1
	s_or_b32 exec_lo, exec_lo, s23
	s_cbranch_execnz .LBB2_4491
; %bb.2072:                             ;   in Loop: Header=BB2_53 Depth=1
	ds_load_b64 v[11:12], v0
	v_add_co_u32 v28, vcc_lo, v28, v67
	v_add_co_ci_u32_e32 v29, vcc_lo, 0, v29, vcc_lo
	s_mov_b32 s23, exec_lo
	s_waitcnt lgkmcnt(0)
	s_delay_alu instid0(VALU_DEP_1)
	v_cmpx_lt_u64_e64 v[11:12], v[28:29]
	s_cbranch_execz .LBB2_2083
; %bb.2073:                             ;   in Loop: Header=BB2_53 Depth=1
	s_mov_b32 s24, 0
	s_mov_b32 s27, 0
                                        ; implicit-def: $sgpr25
                                        ; implicit-def: $sgpr26
	s_branch .LBB2_2075
.LBB2_2074:                             ;   in Loop: Header=BB2_2075 Depth=2
	s_or_b32 exec_lo, exec_lo, vcc_hi
	s_delay_alu instid0(SALU_CYCLE_1) | instskip(NEXT) | instid1(SALU_CYCLE_1)
	s_and_b32 s28, exec_lo, s29
	s_or_b32 s24, s28, s24
	s_and_not1_b32 s25, s25, exec_lo
	s_and_b32 s28, s26, exec_lo
	s_delay_alu instid0(SALU_CYCLE_1)
	s_or_b32 s25, s25, s28
	s_and_not1_b32 exec_lo, exec_lo, s24
	s_cbranch_execz .LBB2_2081
.LBB2_2075:                             ;   Parent Loop BB2_53 Depth=1
                                        ; =>  This Inner Loop Header: Depth=2
	s_add_i32 s27, s27, 1
                                        ; implicit-def: $sgpr29
	s_delay_alu instid0(SALU_CYCLE_1) | instskip(SKIP_1) | instid1(SALU_CYCLE_1)
	s_cmpk_lg_i32 s27, 0x2710
	s_cselect_b32 s28, -1, 0
	s_and_b32 vcc_lo, exec_lo, s28
	s_cbranch_vccz .LBB2_2079
.LBB2_2076:                             ;   in Loop: Header=BB2_2075 Depth=2
	s_and_not1_b32 s26, s26, exec_lo
	s_and_b32 vcc_lo, s29, exec_lo
	s_mov_b32 s29, -1
	s_or_b32 s26, s26, vcc_lo
	s_and_saveexec_b32 vcc_hi, s28
	s_cbranch_execz .LBB2_2074
; %bb.2077:                             ;   in Loop: Header=BB2_2075 Depth=2
	s_sleep 1
	s_cbranch_execnz .LBB2_4543
; %bb.2078:                             ;   in Loop: Header=BB2_2075 Depth=2
	ds_load_b64 v[11:12], v0
	s_and_not1_b32 s26, s26, exec_lo
	s_waitcnt lgkmcnt(0)
	v_cmp_ge_u64_e32 vcc_lo, v[11:12], v[28:29]
	s_or_not1_b32 s29, vcc_lo, exec_lo
	s_branch .LBB2_2074
.LBB2_2079:                             ;   in Loop: Header=BB2_2075 Depth=2
	s_cbranch_execnz .LBB2_4559
; %bb.2080:                             ;   in Loop: Header=BB2_2075 Depth=2
	ds_load_b64 v[11:12], v0
	s_and_not1_b32 s28, s28, exec_lo
	s_mov_b32 s27, 0
	s_mov_b32 s29, -1
	s_waitcnt lgkmcnt(0)
	flat_load_b32 v11, v[11:12] glc
	s_waitcnt vmcnt(0) lgkmcnt(0)
	buffer_gl1_inv
	buffer_gl0_inv
	v_cmp_eq_u32_e32 vcc_lo, 0, v11
	s_and_b32 vcc_lo, vcc_lo, exec_lo
	s_delay_alu instid0(SALU_CYCLE_1)
	s_or_b32 s28, s28, vcc_lo
	s_branch .LBB2_2076
.LBB2_2081:                             ;   in Loop: Header=BB2_53 Depth=1
	s_or_b32 exec_lo, exec_lo, s24
	s_and_saveexec_b32 s24, s25
	s_delay_alu instid0(SALU_CYCLE_1)
	s_xor_b32 s24, exec_lo, s24
	s_cbranch_execz .LBB2_2083
; %bb.2082:                             ;   in Loop: Header=BB2_53 Depth=1
	ds_store_b32 v0, v87
	s_cbranch_execnz .LBB2_4619
.LBB2_2083:                             ;   in Loop: Header=BB2_53 Depth=1
	s_or_b32 exec_lo, exec_lo, s23
	;;#ASMSTART
	s_wakeup
	;;#ASMEND
.LBB2_2084:                             ;   in Loop: Header=BB2_53 Depth=1
	s_or_b32 exec_lo, exec_lo, s22
.LBB2_2085:                             ;   in Loop: Header=BB2_53 Depth=1
	s_and_not1_saveexec_b32 s21, s21
	s_cbranch_execz .LBB2_2087
; %bb.2086:                             ;   in Loop: Header=BB2_53 Depth=1
	s_waitcnt vmcnt(0) lgkmcnt(0)
	s_waitcnt_vscnt null, 0x0
	buffer_gl1_inv
	buffer_gl0_inv
	s_barrier
.LBB2_2087:                             ;   in Loop: Header=BB2_53 Depth=1
	s_or_b32 exec_lo, exec_lo, s21
.LBB2_2088:                             ;   in Loop: Header=BB2_53 Depth=1
	s_delay_alu instid0(SALU_CYCLE_1)
	s_or_b32 exec_lo, exec_lo, s11
	s_cbranch_execnz .LBB2_4430
; %bb.2089:                             ;   in Loop: Header=BB2_53 Depth=1
	ds_load_b32 v11, v0
	v_cmp_lt_i32_e32 vcc_lo, 0, v10
	s_waitcnt lgkmcnt(0)
	v_readfirstlane_b32 s11, v11
	v_and_b32_e32 v11, 16, v64
	s_delay_alu instid0(VALU_DEP_2) | instskip(NEXT) | instid1(VALU_DEP_1)
	s_cmp_eq_u32 s11, 0
	v_cmp_ne_u32_e64 s11, 0, v11
	s_cselect_b32 s21, -1, 0
	s_delay_alu instid0(SALU_CYCLE_1)
	s_and_b32 s21, vcc_lo, s21
	s_delay_alu instid0(VALU_DEP_1) | instid1(SALU_CYCLE_1)
	s_and_b32 s21, s11, s21
	s_delay_alu instid0(SALU_CYCLE_1)
	s_and_saveexec_b32 s11, s21
	s_cbranch_execz .LBB2_2091
; %bb.2090:                             ;   in Loop: Header=BB2_53 Depth=1
	s_waitcnt vmcnt(0)
	s_waitcnt_vscnt null, 0x0
	buffer_gl1_inv
	buffer_gl0_inv
.LBB2_2091:                             ;   in Loop: Header=BB2_53 Depth=1
	s_or_b32 exec_lo, exec_lo, s11
	v_cmp_ne_u32_e32 vcc_lo, 0, v11
	s_xor_b32 s11, s10, -1
	s_delay_alu instid0(SALU_CYCLE_1) | instskip(NEXT) | instid1(SALU_CYCLE_1)
	s_and_b32 s21, vcc_lo, s11
	s_and_saveexec_b32 s11, s21
	s_cbranch_execz .LBB2_2093
; %bb.2092:                             ;   in Loop: Header=BB2_53 Depth=1
	s_waitcnt vmcnt(0)
	s_waitcnt_vscnt null, 0x0
	flat_store_b32 v[34:35], v87
.LBB2_2093:                             ;   in Loop: Header=BB2_53 Depth=1
	s_or_b32 exec_lo, exec_lo, s11
	v_and_b32_e32 v10, 48, v64
	s_mov_b32 s11, exec_lo
	s_delay_alu instid0(VALU_DEP_1)
	v_cmpx_ne_u32_e32 0, v10
	s_cbranch_execz .LBB2_2095
; %bb.2094:                             ;   in Loop: Header=BB2_53 Depth=1
	v_add_co_u32 v8, vcc_lo, v8, 1
	v_add_co_ci_u32_e32 v9, vcc_lo, 0, v9, vcc_lo
	s_waitcnt vmcnt(0) lgkmcnt(0)
	s_waitcnt_vscnt null, 0x0
	flat_store_b64 v[22:23], v[8:9]
.LBB2_2095:                             ;   in Loop: Header=BB2_53 Depth=1
	s_or_b32 exec_lo, exec_lo, s11
.LBB2_2096:                             ;   in Loop: Header=BB2_53 Depth=1
	s_delay_alu instid0(SALU_CYCLE_1) | instskip(SKIP_2) | instid1(VALU_DEP_1)
	s_or_b32 exec_lo, exec_lo, s12
	v_add_co_u32 v38, vcc_lo, v38, v32
	v_add_co_ci_u32_e32 v39, vcc_lo, 0, v39, vcc_lo
	v_cmp_ge_u64_e32 vcc_lo, v[38:39], v[4:5]
	s_or_b32 s18, vcc_lo, s18
	s_delay_alu instid0(SALU_CYCLE_1)
	s_and_not1_b32 exec_lo, exec_lo, s18
	s_cbranch_execnz .LBB2_53
; %bb.2097:
	s_or_b32 exec_lo, exec_lo, s18
.LBB2_2098:
	s_delay_alu instid0(SALU_CYCLE_1)
	s_or_b32 exec_lo, exec_lo, s17
                                        ; implicit-def: $vgpr18_vgpr19
                                        ; implicit-def: $vgpr4_vgpr5
                                        ; implicit-def: $vgpr65
                                        ; implicit-def: $vgpr26_vgpr27
                                        ; implicit-def: $vgpr24_vgpr25
                                        ; implicit-def: $vgpr22_vgpr23
                                        ; implicit-def: $vgpr0
                                        ; implicit-def: $vgpr17
                                        ; implicit-def: $vgpr32_vgpr33
.LBB2_2099:
	s_and_not1_saveexec_b32 s11, s16
	s_cbranch_execz .LBB2_4137
; %bb.2100:
	v_mov_b32_e32 v28, 0
	v_mov_b32_e32 v29, 0
	s_and_saveexec_b32 s12, s1
	s_cbranch_execz .LBB2_4136
; %bb.2101:
	v_cmp_ge_i32_e64 s1, v0, v1
	s_cbranch_execnz .LBB2_4386
; %bb.2102:
	v_ashrrev_i32_e32 v10, 31, v0
	v_lshrrev_b32_e32 v54, 5, v1
	v_dual_mov_b32 v36, 0 :: v_dual_and_b32 v11, 31, v31
	s_ashr_i32 s4, s14, 31
	s_delay_alu instid0(VALU_DEP_3) | instskip(NEXT) | instid1(VALU_DEP_3)
	v_lshrrev_b32_e32 v10, 27, v10
	v_dual_mov_b32 v37, 0 :: v_dual_lshlrev_b32 v66, 9, v54
	s_lshr_b32 s4, s4, 24
	v_dual_mov_b32 v84, 1 :: v_dual_lshlrev_b32 v55, 4, v0
	s_delay_alu instid0(VALU_DEP_3) | instskip(SKIP_3) | instid1(VALU_DEP_3)
	v_dual_mov_b32 v35, 0 :: v_dual_add_nc_u32 v10, v0, v10
	s_add_i32 s10, s14, s4
	v_cmp_eq_u32_e64 s4, 0, v11
	v_dual_mov_b32 v28, v36 :: v_dual_add_nc_u32 v11, 0xfffffe00, v66
	v_dual_mov_b32 v29, v37 :: v_dual_and_b32 v12, 0xffffffe0, v10
	v_ashrrev_i32_e32 v10, 5, v10
	s_delay_alu instid0(VALU_DEP_3) | instskip(SKIP_1) | instid1(VALU_DEP_4)
	v_ashrrev_i32_e32 v13, 31, v11
	v_add_co_u32 v70, s7, 0x200, v11
	v_sub_nc_u32_e32 v67, v0, v12
	v_lshl_add_u32 v12, v54, 8, 0xffffff00
	v_sub_nc_u32_e32 v69, 0, v10
	v_and_b32_e32 v80, 0xffffffe0, v1
	v_add_co_ci_u32_e64 v71, s7, 0, v13, s7
	s_delay_alu instid0(VALU_DEP_4)
	v_ashrrev_i32_e32 v10, 31, v12
	v_cmp_eq_u32_e32 vcc_lo, 32, v1
	v_add_co_u32 v81, s7, 0x100, v12
	v_cmp_ne_u32_e64 s2, 32, v1
	v_cmp_ne_u32_e64 s3, v30, v1
	v_ashrrev_i32_e32 v68, 31, v55
	v_cmp_le_i32_e64 s5, v67, v17
	v_cmp_gt_i32_e64 s6, 1, v67
	v_add_co_ci_u32_e64 v82, s7, 0, v10, s7
	v_ashrrev_i32_e32 v83, 31, v80
	s_ashr_i32 s17, s10, 8
	s_mov_b32 s16, 0
	s_xor_b32 s18, vcc_lo, -1
.LBB2_2103:                             ; =>This Loop Header: Depth=1
                                        ;     Child Loop BB2_2113 Depth 2
                                        ;     Child Loop BB2_2140 Depth 2
	;; [unrolled: 1-line block ×10, first 2 shown]
	v_sub_co_u32 v10, vcc_lo, v4, v36
	v_sub_co_ci_u32_e32 v11, vcc_lo, v5, v37, vcc_lo
	v_mov_b32_e32 v14, 0
	s_delay_alu instid0(VALU_DEP_2) | instskip(SKIP_2) | instid1(VALU_DEP_2)
	v_cmp_lt_u64_e32 vcc_lo, v[32:33], v[10:11]
	v_cndmask_b32_e32 v38, v10, v32, vcc_lo
	v_cndmask_b32_e64 v39, v11, 0, vcc_lo
	v_add_nc_u32_e32 v10, 15, v38
	s_delay_alu instid0(VALU_DEP_2) | instskip(NEXT) | instid1(VALU_DEP_2)
	v_cmp_eq_u64_e32 vcc_lo, 0, v[38:39]
	v_and_b32_e32 v10, 0x7ffffff0, v10
	s_or_b32 s19, s1, vcc_lo
	s_delay_alu instid0(SALU_CYCLE_1) | instskip(NEXT) | instid1(VALU_DEP_1)
	s_xor_b32 s7, s19, -1
	v_max_i32_e32 v39, s17, v10
	s_and_saveexec_b32 s20, s7
	s_cbranch_execz .LBB2_4081
; %bb.2104:                             ;   in Loop: Header=BB2_2103 Depth=1
	s_and_saveexec_b32 s10, s0
	s_cbranch_execz .LBB2_2107
; %bb.2105:                             ;   in Loop: Header=BB2_2103 Depth=1
	s_cbranch_execnz .LBB2_4420
; %bb.2106:                             ;   in Loop: Header=BB2_2103 Depth=1
	ds_load_2addr_b64 v[10:13], v0 offset1:1
	ds_load_b64 v[14:15], v0
	v_add_co_u32 v16, vcc_lo, v36, v18
	v_add_co_ci_u32_e32 v17, vcc_lo, v37, v19, vcc_lo
	s_waitcnt lgkmcnt(1)
	s_delay_alu instid0(VALU_DEP_2) | instskip(NEXT) | instid1(VALU_DEP_2)
	v_add_co_u32 v10, vcc_lo, v10, v16
	v_add_co_ci_u32_e32 v11, vcc_lo, v11, v17, vcc_lo
	s_waitcnt lgkmcnt(0)
	v_add_co_u32 v34, vcc_lo, v14, v16
	v_add_co_ci_u32_e32 v48, vcc_lo, v15, v17, vcc_lo
	v_cmp_ne_u64_e32 vcc_lo, 0, v[14:15]
	v_add_co_u32 v12, s7, v12, v16
	s_delay_alu instid0(VALU_DEP_1) | instskip(NEXT) | instid1(VALU_DEP_4)
	v_add_co_ci_u32_e64 v13, s7, v13, v17, s7
	v_dual_cndmask_b32 v15, 0, v48 :: v_dual_cndmask_b32 v14, 0, v34
	ds_store_b64 v0, v[10:11]
	ds_store_b64 v0, v[12:13]
	;; [unrolled: 1-line block ×3, first 2 shown]
.LBB2_2107:                             ;   in Loop: Header=BB2_2103 Depth=1
	s_or_b32 exec_lo, exec_lo, s10
	v_and_b32_e32 v10, 4, v64
	s_mov_b32 s10, -1
	s_mov_b32 s7, exec_lo
	s_delay_alu instid0(VALU_DEP_1)
	v_cmpx_ne_u32_e32 0, v10
	s_cbranch_execz .LBB2_2121
; %bb.2108:                             ;   in Loop: Header=BB2_2103 Depth=1
	v_add_co_u32 v10, vcc_lo, v8, 1
	v_add_co_ci_u32_e32 v11, vcc_lo, 0, v9, vcc_lo
	v_mov_b32_e32 v12, 1
	s_mov_b32 s10, exec_lo
	s_delay_alu instid0(VALU_DEP_2)
	v_cmpx_lt_u64_e64 v[26:27], v[10:11]
	s_cbranch_execz .LBB2_2120
; %bb.2109:                             ;   in Loop: Header=BB2_2103 Depth=1
	v_mov_b32_e32 v12, 0
	s_mov_b32 s21, 0
                                        ; implicit-def: $sgpr22
	s_branch .LBB2_2113
.LBB2_2110:                             ;   in Loop: Header=BB2_2113 Depth=2
	s_or_b32 exec_lo, exec_lo, s26
	v_mov_b32_e32 v13, 0
	s_or_not1_b32 s25, s25, exec_lo
.LBB2_2111:                             ;   in Loop: Header=BB2_2113 Depth=2
	s_or_b32 exec_lo, exec_lo, s24
	s_delay_alu instid0(VALU_DEP_1) | instskip(SKIP_2) | instid1(SALU_CYCLE_1)
	v_mov_b32_e32 v12, v13
	s_and_not1_b32 s22, s22, exec_lo
	s_and_b32 s24, s25, exec_lo
	s_or_b32 s22, s22, s24
.LBB2_2112:                             ;   in Loop: Header=BB2_2113 Depth=2
	s_or_b32 exec_lo, exec_lo, s23
	s_waitcnt vmcnt(0) lgkmcnt(0)
	v_cmp_ge_u64_e32 vcc_lo, v[26:27], v[10:11]
	s_xor_b32 s23, s22, -1
	s_delay_alu instid0(SALU_CYCLE_1) | instskip(NEXT) | instid1(SALU_CYCLE_1)
	s_or_b32 s23, s23, vcc_lo
	s_and_b32 s23, exec_lo, s23
	s_delay_alu instid0(SALU_CYCLE_1) | instskip(NEXT) | instid1(SALU_CYCLE_1)
	s_or_b32 s21, s23, s21
	s_and_not1_b32 exec_lo, exec_lo, s21
	s_cbranch_execz .LBB2_2119
.LBB2_2113:                             ;   Parent Loop BB2_2103 Depth=1
                                        ; =>  This Inner Loop Header: Depth=2
	s_sleep 1
	flat_load_b64 v[26:27], v[22:23] glc
	v_and_b32_e32 v13, 64, v64
	s_and_not1_b32 s22, s22, exec_lo
	s_mov_b32 s23, exec_lo
	s_delay_alu instid0(VALU_DEP_1)
	v_cmpx_eq_u32_e32 0, v13
	s_cbranch_execz .LBB2_2112
; %bb.2114:                             ;   in Loop: Header=BB2_2113 Depth=2
	v_add_nc_u32_e32 v13, 1, v12
	s_mov_b32 s25, -1
	s_mov_b32 s24, exec_lo
	v_cmpx_lt_i32_e32 0x270e, v12
	s_cbranch_execz .LBB2_2111
; %bb.2115:                             ;   in Loop: Header=BB2_2113 Depth=2
	s_cbranch_execnz .LBB2_4443
; %bb.2116:                             ;   in Loop: Header=BB2_2113 Depth=2
	ds_load_b64 v[12:13], v0
	s_mov_b32 s26, exec_lo
	s_waitcnt vmcnt(0) lgkmcnt(0)
	s_waitcnt_vscnt null, 0x0
	flat_load_b32 v12, v[12:13] glc
	s_waitcnt vmcnt(0) lgkmcnt(0)
	buffer_gl1_inv
	buffer_gl0_inv
	v_cmpx_ne_u32_e32 0, v12
	s_cbranch_execz .LBB2_2110
; %bb.2117:                             ;   in Loop: Header=BB2_2113 Depth=2
	ds_store_b32 v0, v12
	s_cbranch_execnz .LBB2_4471
; %bb.2118:                             ;   in Loop: Header=BB2_2113 Depth=2
	v_or_b32_e32 v64, 64, v64
	s_xor_b32 s25, exec_lo, -1
	s_branch .LBB2_2110
.LBB2_2119:                             ;   in Loop: Header=BB2_2103 Depth=1
	s_or_b32 exec_lo, exec_lo, s21
	v_and_b32_e32 v12, 4, v64
.LBB2_2120:                             ;   in Loop: Header=BB2_2103 Depth=1
	s_or_b32 exec_lo, exec_lo, s10
	s_delay_alu instid0(VALU_DEP_1)
	v_cmp_eq_u32_e32 vcc_lo, 0, v12
	;;#ASMSTART
	s_wakeup
	;;#ASMEND
	s_or_not1_b32 s10, vcc_lo, exec_lo
.LBB2_2121:                             ;   in Loop: Header=BB2_2103 Depth=1
	s_or_b32 exec_lo, exec_lo, s7
	s_xor_b32 s7, s10, -1
	s_delay_alu instid0(SALU_CYCLE_1)
	s_and_saveexec_b32 s10, s7
	s_cbranch_execz .LBB2_2131
; %bb.2122:                             ;   in Loop: Header=BB2_2103 Depth=1
	v_and_b32_e32 v10, 0x100, v64
	v_and_b32_e32 v14, 7, v8
	s_mov_b32 s7, -1
	s_delay_alu instid0(VALU_DEP_2)
	v_cmp_ne_u32_e32 vcc_lo, 0, v10
                                        ; implicit-def: $vgpr10_vgpr11
	s_and_saveexec_b32 s21, vcc_lo
	s_cbranch_execz .LBB2_2126
; %bb.2123:                             ;   in Loop: Header=BB2_2103 Depth=1
	v_mad_u64_u32 v[12:13], null, v14, 24, v[6:7]
	flat_load_b32 v10, v[12:13]
	s_waitcnt vmcnt(0) lgkmcnt(0)
	v_cmp_ne_u32_e32 vcc_lo, 1, v10
	v_cmp_eq_u32_e64 s7, 1, v10
                                        ; implicit-def: $vgpr10_vgpr11
	s_delay_alu instid0(VALU_DEP_1)
	s_and_saveexec_b32 s22, s7
	s_cbranch_execz .LBB2_2125
; %bb.2124:                             ;   in Loop: Header=BB2_2103 Depth=1
	flat_load_b32 v10, v[12:13] offset:4 glc
	s_waitcnt vmcnt(0) lgkmcnt(0)
	v_ashrrev_i32_e32 v11, 31, v10
.LBB2_2125:                             ;   in Loop: Header=BB2_2103 Depth=1
	s_or_b32 exec_lo, exec_lo, s22
	s_delay_alu instid0(SALU_CYCLE_1)
	s_or_not1_b32 s7, vcc_lo, exec_lo
.LBB2_2126:                             ;   in Loop: Header=BB2_2103 Depth=1
	s_or_b32 exec_lo, exec_lo, s21
	s_and_saveexec_b32 s21, s7
; %bb.2127:                             ;   in Loop: Header=BB2_2103 Depth=1
	v_mad_i64_i32 v[10:11], null, v14, v65, 0
; %bb.2128:                             ;   in Loop: Header=BB2_2103 Depth=1
	s_or_b32 exec_lo, exec_lo, s21
	s_delay_alu instid0(VALU_DEP_1) | instskip(SKIP_1) | instid1(VALU_DEP_3)
	v_add_co_u32 v10, vcc_lo, v24, v10
	v_and_b32_e32 v12, 0x2000, v64
	v_add_co_ci_u32_e32 v11, vcc_lo, v25, v11, vcc_lo
	s_mov_b32 s7, exec_lo
	ds_store_b64 v0, v[10:11] offset:728
	v_cmpx_ne_u32_e32 0, v12
	s_cbranch_execz .LBB2_2130
; %bb.2129:                             ;   in Loop: Header=BB2_2103 Depth=1
	ds_load_b64 v[10:11], v0 offset:584
	s_waitcnt lgkmcnt(0)
	v_add_co_u32 v10, vcc_lo, v10, 1
	v_add_co_ci_u32_e32 v11, vcc_lo, 0, v11, vcc_lo
	ds_store_b64 v0, v[10:11] offset:584
.LBB2_2130:                             ;   in Loop: Header=BB2_2103 Depth=1
	s_or_b32 exec_lo, exec_lo, s7
	v_add_co_u32 v8, vcc_lo, v8, 1
	v_add_co_ci_u32_e32 v9, vcc_lo, 0, v9, vcc_lo
.LBB2_2131:                             ;   in Loop: Header=BB2_2103 Depth=1
	s_or_b32 exec_lo, exec_lo, s10
	s_and_saveexec_b32 s7, s2
	s_cbranch_execz .LBB2_2153
; %bb.2132:                             ;   in Loop: Header=BB2_2103 Depth=1
	s_and_saveexec_b32 s10, s3
	s_delay_alu instid0(SALU_CYCLE_1)
	s_xor_b32 s10, exec_lo, s10
	s_cbranch_execz .LBB2_2150
; %bb.2133:                             ;   in Loop: Header=BB2_2103 Depth=1
	s_and_saveexec_b32 s21, s4
	s_cbranch_execz .LBB2_2149
; %bb.2134:                             ;   in Loop: Header=BB2_2103 Depth=1
	s_mov_b32 s23, exec_lo
	s_mov_b32 s22, exec_lo
	v_mbcnt_lo_u32_b32 v10, s23, 0
	s_waitcnt vmcnt(0) lgkmcnt(0)
	s_waitcnt_vscnt null, 0x0
	buffer_gl1_inv
	buffer_gl0_inv
	v_cmpx_eq_u32_e32 0, v10
	s_cbranch_execz .LBB2_2136
; %bb.2135:                             ;   in Loop: Header=BB2_2103 Depth=1
	s_bcnt1_i32_b32 s23, s23
	s_delay_alu instid0(SALU_CYCLE_1)
	v_mov_b32_e32 v34, s23
	ds_add_u64 v0, v[34:35]
	s_cbranch_execnz .LBB2_4493
.LBB2_2136:                             ;   in Loop: Header=BB2_2103 Depth=1
	s_or_b32 exec_lo, exec_lo, s22
	s_cbranch_execnz .LBB2_4481
; %bb.2137:                             ;   in Loop: Header=BB2_2103 Depth=1
	ds_load_b64 v[10:11], v0
	v_add_co_u32 v28, vcc_lo, v28, v54
	v_add_co_ci_u32_e32 v29, vcc_lo, 0, v29, vcc_lo
	s_mov_b32 s22, exec_lo
	s_waitcnt lgkmcnt(0)
	s_delay_alu instid0(VALU_DEP_1)
	v_cmpx_lt_u64_e64 v[10:11], v[28:29]
	s_cbranch_execz .LBB2_2148
; %bb.2138:                             ;   in Loop: Header=BB2_2103 Depth=1
	s_mov_b32 s23, 0
	s_mov_b32 s26, 0
                                        ; implicit-def: $sgpr24
                                        ; implicit-def: $sgpr25
	s_branch .LBB2_2140
.LBB2_2139:                             ;   in Loop: Header=BB2_2140 Depth=2
	s_or_b32 exec_lo, exec_lo, s29
	s_delay_alu instid0(SALU_CYCLE_1) | instskip(NEXT) | instid1(SALU_CYCLE_1)
	s_and_b32 s27, exec_lo, s28
	s_or_b32 s23, s27, s23
	s_and_not1_b32 s24, s24, exec_lo
	s_and_b32 s27, s25, exec_lo
	s_delay_alu instid0(SALU_CYCLE_1)
	s_or_b32 s24, s24, s27
	s_and_not1_b32 exec_lo, exec_lo, s23
	s_cbranch_execz .LBB2_2146
.LBB2_2140:                             ;   Parent Loop BB2_2103 Depth=1
                                        ; =>  This Inner Loop Header: Depth=2
	s_add_i32 s26, s26, 1
                                        ; implicit-def: $sgpr28
	s_delay_alu instid0(SALU_CYCLE_1) | instskip(SKIP_1) | instid1(SALU_CYCLE_1)
	s_cmpk_lg_i32 s26, 0x2710
	s_cselect_b32 s27, -1, 0
	s_and_b32 vcc_lo, exec_lo, s27
	s_cbranch_vccz .LBB2_2144
.LBB2_2141:                             ;   in Loop: Header=BB2_2140 Depth=2
	s_and_not1_b32 s25, s25, exec_lo
	s_and_b32 s29, s28, exec_lo
	s_mov_b32 s28, -1
	s_or_b32 s25, s25, s29
	s_and_saveexec_b32 s29, s27
	s_cbranch_execz .LBB2_2139
; %bb.2142:                             ;   in Loop: Header=BB2_2140 Depth=2
	s_sleep 1
	s_cbranch_execnz .LBB2_4525
; %bb.2143:                             ;   in Loop: Header=BB2_2140 Depth=2
	ds_load_b64 v[10:11], v0
	s_and_not1_b32 s25, s25, exec_lo
	s_waitcnt lgkmcnt(0)
	v_cmp_ge_u64_e32 vcc_lo, v[10:11], v[28:29]
	s_or_not1_b32 s28, vcc_lo, exec_lo
	s_branch .LBB2_2139
.LBB2_2144:                             ;   in Loop: Header=BB2_2140 Depth=2
	s_cbranch_execnz .LBB2_4533
; %bb.2145:                             ;   in Loop: Header=BB2_2140 Depth=2
	ds_load_b64 v[10:11], v0
	s_and_not1_b32 s27, s27, exec_lo
	s_mov_b32 s26, 0
	s_mov_b32 s28, -1
	s_waitcnt lgkmcnt(0)
	flat_load_b32 v10, v[10:11] glc
	s_waitcnt vmcnt(0) lgkmcnt(0)
	buffer_gl1_inv
	buffer_gl0_inv
	v_cmp_eq_u32_e32 vcc_lo, 0, v10
	s_and_b32 s29, vcc_lo, exec_lo
	s_delay_alu instid0(SALU_CYCLE_1)
	s_or_b32 s27, s27, s29
	s_branch .LBB2_2141
.LBB2_2146:                             ;   in Loop: Header=BB2_2103 Depth=1
	s_or_b32 exec_lo, exec_lo, s23
	s_and_saveexec_b32 s23, s24
	s_delay_alu instid0(SALU_CYCLE_1)
	s_xor_b32 s23, exec_lo, s23
	s_cbranch_execz .LBB2_2148
; %bb.2147:                             ;   in Loop: Header=BB2_2103 Depth=1
	ds_store_b32 v0, v84
	s_cbranch_execnz .LBB2_4611
.LBB2_2148:                             ;   in Loop: Header=BB2_2103 Depth=1
	s_or_b32 exec_lo, exec_lo, s22
	;;#ASMSTART
	s_wakeup
	;;#ASMEND
.LBB2_2149:                             ;   in Loop: Header=BB2_2103 Depth=1
	s_or_b32 exec_lo, exec_lo, s21
.LBB2_2150:                             ;   in Loop: Header=BB2_2103 Depth=1
	s_and_not1_saveexec_b32 s10, s10
	s_cbranch_execz .LBB2_2152
; %bb.2151:                             ;   in Loop: Header=BB2_2103 Depth=1
	s_waitcnt vmcnt(0) lgkmcnt(0)
	s_waitcnt_vscnt null, 0x0
	buffer_gl1_inv
	buffer_gl0_inv
	s_barrier
.LBB2_2152:                             ;   in Loop: Header=BB2_2103 Depth=1
	s_or_b32 exec_lo, exec_lo, s10
.LBB2_2153:                             ;   in Loop: Header=BB2_2103 Depth=1
	s_delay_alu instid0(SALU_CYCLE_1)
	s_or_b32 exec_lo, exec_lo, s7
	s_cbranch_execnz .LBB2_4414
; %bb.2154:                             ;   in Loop: Header=BB2_2103 Depth=1
	ds_load_b32 v10, v0
	v_and_b32_e32 v11, 0x4000, v64
	s_delay_alu instid0(VALU_DEP_1) | instskip(SKIP_1) | instid1(SALU_CYCLE_1)
	v_cmp_ne_u32_e32 vcc_lo, 0, v11
	s_and_b32 s10, s18, vcc_lo
	s_and_saveexec_b32 s7, s10
	s_cbranch_execz .LBB2_2176
; %bb.2155:                             ;   in Loop: Header=BB2_2103 Depth=1
	s_and_saveexec_b32 s10, s3
	s_delay_alu instid0(SALU_CYCLE_1)
	s_xor_b32 s10, exec_lo, s10
	s_cbranch_execz .LBB2_2173
; %bb.2156:                             ;   in Loop: Header=BB2_2103 Depth=1
	s_and_saveexec_b32 s21, s4
	s_cbranch_execz .LBB2_2172
; %bb.2157:                             ;   in Loop: Header=BB2_2103 Depth=1
	s_mov_b32 s23, exec_lo
	s_mov_b32 s22, exec_lo
	v_mbcnt_lo_u32_b32 v11, s23, 0
	s_waitcnt vmcnt(0) lgkmcnt(0)
	s_waitcnt_vscnt null, 0x0
	buffer_gl1_inv
	buffer_gl0_inv
	v_cmpx_eq_u32_e32 0, v11
	s_cbranch_execz .LBB2_2159
; %bb.2158:                             ;   in Loop: Header=BB2_2103 Depth=1
	s_bcnt1_i32_b32 s23, s23
	s_delay_alu instid0(SALU_CYCLE_1)
	v_mov_b32_e32 v34, s23
	ds_add_u64 v0, v[34:35]
	s_cbranch_execnz .LBB2_4521
.LBB2_2159:                             ;   in Loop: Header=BB2_2103 Depth=1
	s_or_b32 exec_lo, exec_lo, s22
	s_cbranch_execnz .LBB2_4505
; %bb.2160:                             ;   in Loop: Header=BB2_2103 Depth=1
	ds_load_b64 v[11:12], v0
	v_add_co_u32 v28, vcc_lo, v28, v54
	v_add_co_ci_u32_e32 v29, vcc_lo, 0, v29, vcc_lo
	s_mov_b32 s22, exec_lo
	s_waitcnt lgkmcnt(0)
	s_delay_alu instid0(VALU_DEP_1)
	v_cmpx_lt_u64_e64 v[11:12], v[28:29]
	s_cbranch_execz .LBB2_2171
; %bb.2161:                             ;   in Loop: Header=BB2_2103 Depth=1
	s_mov_b32 s23, 0
	s_mov_b32 s26, 0
                                        ; implicit-def: $sgpr24
                                        ; implicit-def: $sgpr25
	s_branch .LBB2_2163
.LBB2_2162:                             ;   in Loop: Header=BB2_2163 Depth=2
	s_or_b32 exec_lo, exec_lo, s29
	s_delay_alu instid0(SALU_CYCLE_1) | instskip(NEXT) | instid1(SALU_CYCLE_1)
	s_and_b32 s27, exec_lo, s28
	s_or_b32 s23, s27, s23
	s_and_not1_b32 s24, s24, exec_lo
	s_and_b32 s27, s25, exec_lo
	s_delay_alu instid0(SALU_CYCLE_1)
	s_or_b32 s24, s24, s27
	s_and_not1_b32 exec_lo, exec_lo, s23
	s_cbranch_execz .LBB2_2169
.LBB2_2163:                             ;   Parent Loop BB2_2103 Depth=1
                                        ; =>  This Inner Loop Header: Depth=2
	s_add_i32 s26, s26, 1
                                        ; implicit-def: $sgpr28
	s_delay_alu instid0(SALU_CYCLE_1) | instskip(SKIP_1) | instid1(SALU_CYCLE_1)
	s_cmpk_lg_i32 s26, 0x2710
	s_cselect_b32 s27, -1, 0
	s_and_b32 vcc_lo, exec_lo, s27
	s_cbranch_vccz .LBB2_2167
.LBB2_2164:                             ;   in Loop: Header=BB2_2163 Depth=2
	s_and_not1_b32 s25, s25, exec_lo
	s_and_b32 s29, s28, exec_lo
	s_mov_b32 s28, -1
	s_or_b32 s25, s25, s29
	s_and_saveexec_b32 s29, s27
	s_cbranch_execz .LBB2_2162
; %bb.2165:                             ;   in Loop: Header=BB2_2163 Depth=2
	s_sleep 1
	s_cbranch_execnz .LBB2_4565
; %bb.2166:                             ;   in Loop: Header=BB2_2163 Depth=2
	ds_load_b64 v[11:12], v0
	s_and_not1_b32 s25, s25, exec_lo
	s_waitcnt lgkmcnt(0)
	v_cmp_ge_u64_e32 vcc_lo, v[11:12], v[28:29]
	s_or_not1_b32 s28, vcc_lo, exec_lo
	s_branch .LBB2_2162
.LBB2_2167:                             ;   in Loop: Header=BB2_2163 Depth=2
	s_cbranch_execnz .LBB2_4579
; %bb.2168:                             ;   in Loop: Header=BB2_2163 Depth=2
	ds_load_b64 v[11:12], v0
	s_and_not1_b32 s27, s27, exec_lo
	s_mov_b32 s26, 0
	s_mov_b32 s28, -1
	s_waitcnt lgkmcnt(0)
	flat_load_b32 v11, v[11:12] glc
	s_waitcnt vmcnt(0) lgkmcnt(0)
	buffer_gl1_inv
	buffer_gl0_inv
	v_cmp_eq_u32_e32 vcc_lo, 0, v11
	s_and_b32 s29, vcc_lo, exec_lo
	s_delay_alu instid0(SALU_CYCLE_1)
	s_or_b32 s27, s27, s29
	s_branch .LBB2_2164
.LBB2_2169:                             ;   in Loop: Header=BB2_2103 Depth=1
	s_or_b32 exec_lo, exec_lo, s23
	s_and_saveexec_b32 s23, s24
	s_delay_alu instid0(SALU_CYCLE_1)
	s_xor_b32 s23, exec_lo, s23
	s_cbranch_execz .LBB2_2171
; %bb.2170:                             ;   in Loop: Header=BB2_2103 Depth=1
	ds_store_b32 v0, v84
	s_cbranch_execnz .LBB2_4621
.LBB2_2171:                             ;   in Loop: Header=BB2_2103 Depth=1
	s_or_b32 exec_lo, exec_lo, s22
	;;#ASMSTART
	s_wakeup
	;;#ASMEND
.LBB2_2172:                             ;   in Loop: Header=BB2_2103 Depth=1
	s_or_b32 exec_lo, exec_lo, s21
.LBB2_2173:                             ;   in Loop: Header=BB2_2103 Depth=1
	s_and_not1_saveexec_b32 s10, s10
	s_cbranch_execz .LBB2_2175
; %bb.2174:                             ;   in Loop: Header=BB2_2103 Depth=1
	s_waitcnt vmcnt(0) lgkmcnt(0)
	s_waitcnt_vscnt null, 0x0
	buffer_gl1_inv
	buffer_gl0_inv
	s_barrier
.LBB2_2175:                             ;   in Loop: Header=BB2_2103 Depth=1
	s_or_b32 exec_lo, exec_lo, s10
.LBB2_2176:                             ;   in Loop: Header=BB2_2103 Depth=1
	s_delay_alu instid0(SALU_CYCLE_1)
	s_or_b32 exec_lo, exec_lo, s7
	s_cbranch_execnz .LBB2_4447
; %bb.2177:                             ;   in Loop: Header=BB2_2103 Depth=1
	ds_load_b64 v[11:12], v0
	v_min_u32_e32 v39, v39, v38
	s_waitcnt lgkmcnt(0)
	v_cmp_eq_u64_e32 vcc_lo, 0, v[11:12]
	s_or_b32 s7, vcc_lo, vcc_lo
	s_delay_alu instid0(SALU_CYCLE_1)
	s_and_b32 vcc_lo, exec_lo, s7
	s_mov_b32 s7, 0
	s_cbranch_vccnz .LBB2_4054
; %bb.2178:                             ;   in Loop: Header=BB2_2103 Depth=1
	s_cbranch_execnz .LBB2_4473
; %bb.2179:                             ;   in Loop: Header=BB2_2103 Depth=1
	ds_load_b64 v[11:12], v0
	s_mov_b32 s7, -1
	s_waitcnt lgkmcnt(0)
	v_readfirstlane_b32 s21, v11
	s_and_saveexec_b32 s10, s5
	s_cbranch_execz .LBB2_2181
; %bb.2180:                             ;   in Loop: Header=BB2_2103 Depth=1
	ds_load_b32 v11, v0 offset:720
	s_waitcnt lgkmcnt(0)
	v_and_b32_e32 v11, 15, v11
	s_delay_alu instid0(VALU_DEP_1)
	v_cmp_eq_u32_e32 vcc_lo, 0, v11
	s_or_not1_b32 s7, vcc_lo, exec_lo
.LBB2_2181:                             ;   in Loop: Header=BB2_2103 Depth=1
	s_or_b32 exec_lo, exec_lo, s10
	s_and_saveexec_b32 s10, s6
	s_cbranch_execz .LBB2_2183
; %bb.2182:                             ;   in Loop: Header=BB2_2103 Depth=1
	ds_load_b32 v11, v0 offset:784
	s_waitcnt lgkmcnt(0)
	v_and_b32_e32 v11, 15, v11
	s_delay_alu instid0(VALU_DEP_1) | instskip(SKIP_3) | instid1(SALU_CYCLE_1)
	v_cmp_eq_u32_e32 vcc_lo, 0, v11
	s_and_b32 s22, s7, vcc_lo
	s_and_not1_b32 s7, s7, exec_lo
	s_and_b32 s22, s22, exec_lo
	s_or_b32 s7, s7, s22
.LBB2_2183:                             ;   in Loop: Header=BB2_2103 Depth=1
	s_or_b32 exec_lo, exec_lo, s10
	v_cmp_eq_u32_e32 vcc_lo, 0, v10
	s_xor_b32 s7, s7, -1
	v_mov_b32_e32 v16, v0
	v_cndmask_b32_e64 v11, 0, 1, s7
	;;#ASMSTART
	;;#ASMEND
	v_dual_cndmask_b32 v34, 0, v39 :: v_dual_mov_b32 v85, 0
	s_delay_alu instid0(VALU_DEP_2) | instskip(SKIP_1) | instid1(VALU_DEP_2)
	v_cmp_ne_u32_e32 vcc_lo, 0, v11
	s_mov_b32 s22, -1
	v_mov_b32_e32 v86, v34
	s_cbranch_vccnz .LBB2_3637
; %bb.2184:                             ;   in Loop: Header=BB2_2103 Depth=1
	v_and_b32_e32 v87, 0x1ff, v34
	v_lshrrev_b32_e32 v10, 9, v34
	v_sub_nc_u32_e32 v85, v34, v55
	s_mov_b32 s22, exec_lo
	s_delay_alu instid0(VALU_DEP_3) | instskip(NEXT) | instid1(VALU_DEP_1)
	v_cmp_lt_u32_e64 s7, 15, v87
	v_add_co_ci_u32_e64 v96, vcc_lo, v10, v69, s7
	s_delay_alu instid0(VALU_DEP_3)
	v_cmpx_lt_i32_e32 15, v85
	s_cbranch_execz .LBB2_2909
; %bb.2185:                             ;   in Loop: Header=BB2_2103 Depth=1
	s_cbranch_execnz .LBB2_4573
; %bb.2186:                             ;   in Loop: Header=BB2_2103 Depth=1
	ds_load_b128 v[10:13], v0
	ds_load_b64 v[14:15], v0
	s_bitcmp1_b32 s21, 0
	s_mov_b32 s23, 0
	s_cselect_b32 s24, -1, 0
	s_waitcnt lgkmcnt(1)
	v_add_co_u32 v48, vcc_lo, v10, v55
	s_waitcnt vmcnt(0)
	v_add_co_ci_u32_e32 v49, vcc_lo, v11, v68, vcc_lo
	v_add_co_u32 v50, vcc_lo, v12, v55
	s_waitcnt vmcnt(0)
	v_add_co_ci_u32_e32 v51, vcc_lo, v13, v68, vcc_lo
	s_waitcnt lgkmcnt(0)
	v_add_co_u32 v52, vcc_lo, v14, v55
	v_add_co_ci_u32_e32 v53, vcc_lo, v15, v68, vcc_lo
	s_branch .LBB2_2190
.LBB2_2187:                             ;   in Loop: Header=BB2_2190 Depth=2
	s_or_b32 exec_lo, exec_lo, s10
	s_delay_alu instid0(VALU_DEP_1) | instskip(NEXT) | instid1(VALU_DEP_2)
	v_lshrrev_b32_e32 v17, 20, v17
	v_min_i32_e32 v113, 15, v13
	v_cmp_gt_i32_e32 vcc_lo, 16, v13
	v_lshrrev_b32_e32 v114, 24, v115
	s_delay_alu instid0(VALU_DEP_3) | instskip(NEXT) | instid1(VALU_DEP_2)
	v_lshlrev_b32_e32 v113, 3, v113
	v_dual_cndmask_b32 v17, 7, v17 :: v_dual_and_b32 v114, 0x80, v114
	s_delay_alu instid0(VALU_DEP_2) | instskip(NEXT) | instid1(VALU_DEP_2)
	v_and_b32_e32 v113, 0xf8, v113
	v_and_b32_e32 v115, 7, v17
	v_or_b32_e32 v13, v13, v17
	s_delay_alu instid0(VALU_DEP_2) | instskip(NEXT) | instid1(VALU_DEP_2)
	v_or3_b32 v113, v114, v113, v115
	v_cmp_ne_u32_e32 vcc_lo, 0, v13
	s_delay_alu instid0(VALU_DEP_2) | instskip(NEXT) | instid1(VALU_DEP_1)
	v_lshlrev_b32_e32 v17, 8, v113
	v_cndmask_b32_e32 v13, 0, v17, vcc_lo
.LBB2_2188:                             ;   in Loop: Header=BB2_2190 Depth=2
	s_or_b32 exec_lo, exec_lo, s26
.LBB2_2189:                             ;   in Loop: Header=BB2_2190 Depth=2
	s_delay_alu instid0(SALU_CYCLE_1)
	s_or_b32 exec_lo, exec_lo, s25
	v_lshlrev_b32_e32 v17, 8, v99
	v_and_b32_e32 v98, 0xff, v98
	v_or_b32_e32 v11, v11, v100
	v_lshlrev_b32_e32 v97, 8, v97
	v_lshlrev_b32_e32 v99, 8, v101
	v_perm_b32 v14, v17, v14, 0xc0c0500
	v_lshlrev_b32_e32 v17, 16, v98
	v_and_b32_e32 v98, 0xff, v102
	v_lshlrev_b32_e32 v100, 8, v103
	v_lshlrev_b32_e32 v10, 24, v10
	v_perm_b32 v86, v97, v86, 0xc0c0500
	v_lshlrev_b32_e32 v12, 24, v12
	v_lshlrev_b32_e32 v97, 16, v98
	v_perm_b32 v15, v99, v15, 0xc0c0500
	v_perm_b32 v16, v100, v16, 0xc0c0500
	v_or_b32_e32 v13, v13, v112
	v_add_co_u32 v48, vcc_lo, v48, v70
	v_lshl_or_b32 v11, v11, 16, v14
	v_or3_b32 v10, v10, v17, v86
	v_or3_b32 v12, v12, v97, v15
	v_lshl_or_b32 v13, v13, 16, v16
	v_sub_nc_u32_e32 v85, v85, v66
	v_add_co_ci_u32_e32 v49, vcc_lo, v49, v71, vcc_lo
	v_add_co_u32 v50, vcc_lo, v50, v70
	v_add_co_ci_u32_e32 v51, vcc_lo, v51, v71, vcc_lo
	global_store_b128 v[52:53], v[10:13], off glc slc dlc
	v_cmp_gt_i32_e32 vcc_lo, 16, v85
	v_add_co_u32 v52, s10, v52, v70
	s_delay_alu instid0(VALU_DEP_1) | instskip(SKIP_2) | instid1(SALU_CYCLE_1)
	v_add_co_ci_u32_e64 v53, s10, v53, v71, s10
	v_sub_nc_u32_e32 v96, v96, v54
	s_or_b32 s23, vcc_lo, s23
	s_and_not1_b32 exec_lo, exec_lo, s23
	s_cbranch_execz .LBB2_2908
.LBB2_2190:                             ;   Parent Loop BB2_2103 Depth=1
                                        ; =>  This Inner Loop Header: Depth=2
	global_load_b128 v[14:17], v[48:49], off slc dlc
	global_load_b128 v[10:13], v[50:51], off slc dlc
	s_and_b32 vcc_lo, exec_lo, s24
	s_cbranch_vccz .LBB2_2200
; %bb.2191:                             ;   in Loop: Header=BB2_2190 Depth=2
	s_waitcnt vmcnt(1)
	v_and_b32_e32 v97, 0xff, v14
	s_mov_b32 s10, 0
	s_mov_b32 s26, exec_lo
                                        ; implicit-def: $sgpr25
	s_delay_alu instid0(VALU_DEP_1)
	v_cmpx_lt_i16_e32 0x7f, v97
	s_xor_b32 s26, exec_lo, s26
	s_cbranch_execnz .LBB2_2652
; %bb.2192:                             ;   in Loop: Header=BB2_2190 Depth=2
	s_or_saveexec_b32 s26, s26
	v_mov_b32_e32 v86, s25
	s_xor_b32 exec_lo, exec_lo, s26
	s_cbranch_execnz .LBB2_2655
.LBB2_2193:                             ;   in Loop: Header=BB2_2190 Depth=2
	s_or_b32 exec_lo, exec_lo, s26
	s_and_saveexec_b32 s25, s10
	s_cbranch_execz .LBB2_2195
.LBB2_2194:                             ;   in Loop: Header=BB2_2190 Depth=2
	v_bfe_u32 v99, v14, 3, 4
	v_lshlrev_b32_e32 v100, 24, v14
	s_delay_alu instid0(VALU_DEP_2) | instskip(SKIP_1) | instid1(VALU_DEP_1)
	v_cmp_eq_u32_e32 vcc_lo, 0, v99
	v_and_b32_e32 v86, 7, v14
	v_clz_i32_u32_e32 v97, v86
	s_delay_alu instid0(VALU_DEP_1) | instskip(NEXT) | instid1(VALU_DEP_1)
	v_min_u32_e32 v97, 32, v97
	v_subrev_nc_u32_e32 v98, 28, v97
	v_sub_nc_u32_e32 v97, 29, v97
	s_delay_alu instid0(VALU_DEP_1) | instskip(NEXT) | instid1(VALU_DEP_1)
	v_dual_cndmask_b32 v97, v99, v97 :: v_dual_lshlrev_b32 v98, v98, v14
	v_and_b32_e32 v98, 7, v98
	s_delay_alu instid0(VALU_DEP_2) | instskip(NEXT) | instid1(VALU_DEP_2)
	v_lshl_add_u32 v97, v97, 23, 0x3b800000
	v_cndmask_b32_e32 v86, v86, v98, vcc_lo
	v_and_b32_e32 v98, 0x80000000, v100
	s_delay_alu instid0(VALU_DEP_2) | instskip(NEXT) | instid1(VALU_DEP_1)
	v_lshlrev_b32_e32 v86, 20, v86
	v_or3_b32 v86, v98, v97, v86
.LBB2_2195:                             ;   in Loop: Header=BB2_2190 Depth=2
	s_or_b32 exec_lo, exec_lo, s25
	s_waitcnt vmcnt(0)
	v_and_b32_e32 v98, 0xff, v10
	s_mov_b32 s10, 0
	s_mov_b32 s26, exec_lo
                                        ; implicit-def: $sgpr25
	s_delay_alu instid0(VALU_DEP_1)
	v_cmpx_lt_i16_e32 0x7f, v98
	s_xor_b32 s26, exec_lo, s26
	s_cbranch_execnz .LBB2_2656
; %bb.2196:                             ;   in Loop: Header=BB2_2190 Depth=2
	s_or_saveexec_b32 s26, s26
	v_mov_b32_e32 v97, s25
	s_xor_b32 exec_lo, exec_lo, s26
	s_cbranch_execnz .LBB2_2659
.LBB2_2197:                             ;   in Loop: Header=BB2_2190 Depth=2
	s_or_b32 exec_lo, exec_lo, s26
	s_and_saveexec_b32 s25, s10
	s_cbranch_execz .LBB2_2199
.LBB2_2198:                             ;   in Loop: Header=BB2_2190 Depth=2
	v_and_b32_e32 v97, 7, v10
	v_bfe_u32 v100, v10, 3, 4
	v_lshlrev_b32_e32 v101, 24, v10
	s_delay_alu instid0(VALU_DEP_3) | instskip(NEXT) | instid1(VALU_DEP_3)
	v_clz_i32_u32_e32 v98, v97
	v_cmp_eq_u32_e32 vcc_lo, 0, v100
	s_delay_alu instid0(VALU_DEP_2) | instskip(NEXT) | instid1(VALU_DEP_1)
	v_min_u32_e32 v98, 32, v98
	v_subrev_nc_u32_e32 v99, 28, v98
	v_sub_nc_u32_e32 v98, 29, v98
	s_delay_alu instid0(VALU_DEP_2) | instskip(NEXT) | instid1(VALU_DEP_1)
	v_lshlrev_b32_e32 v99, v99, v10
	v_dual_cndmask_b32 v98, v100, v98 :: v_dual_and_b32 v99, 7, v99
	s_delay_alu instid0(VALU_DEP_1) | instskip(NEXT) | instid1(VALU_DEP_2)
	v_lshl_add_u32 v98, v98, 23, 0x3b800000
	v_cndmask_b32_e32 v97, v97, v99, vcc_lo
	v_and_b32_e32 v99, 0x80000000, v101
	s_delay_alu instid0(VALU_DEP_2) | instskip(NEXT) | instid1(VALU_DEP_1)
	v_lshlrev_b32_e32 v97, 20, v97
	v_or3_b32 v97, v99, v98, v97
.LBB2_2199:                             ;   in Loop: Header=BB2_2190 Depth=2
	s_or_b32 exec_lo, exec_lo, s25
	s_delay_alu instid0(VALU_DEP_1) | instskip(SKIP_1) | instid1(VALU_DEP_1)
	v_dual_max_f32 v97, v97, v97 :: v_dual_max_f32 v86, v86, v86
	s_mov_b32 s10, 0
	v_max_f32_e32 v97, v86, v97
	s_branch .LBB2_2201
.LBB2_2200:                             ;   in Loop: Header=BB2_2190 Depth=2
	s_mov_b32 s10, -1
                                        ; implicit-def: $vgpr97
.LBB2_2201:                             ;   in Loop: Header=BB2_2190 Depth=2
	s_delay_alu instid0(SALU_CYCLE_1)
	s_and_b32 vcc_lo, exec_lo, s10
	s_cbranch_vccz .LBB2_2211
; %bb.2202:                             ;   in Loop: Header=BB2_2190 Depth=2
	s_waitcnt vmcnt(1)
	v_and_b32_e32 v97, 0xff, v14
	s_mov_b32 s10, 0
	s_mov_b32 s26, exec_lo
                                        ; implicit-def: $sgpr25
	s_delay_alu instid0(VALU_DEP_1)
	v_cmpx_lt_i16_e32 0x7f, v97
	s_xor_b32 s26, exec_lo, s26
	s_cbranch_execnz .LBB2_2660
; %bb.2203:                             ;   in Loop: Header=BB2_2190 Depth=2
	s_or_saveexec_b32 s26, s26
	v_mov_b32_e32 v86, s25
	s_xor_b32 exec_lo, exec_lo, s26
	s_cbranch_execnz .LBB2_2663
.LBB2_2204:                             ;   in Loop: Header=BB2_2190 Depth=2
	s_or_b32 exec_lo, exec_lo, s26
	s_and_saveexec_b32 s25, s10
	s_cbranch_execz .LBB2_2206
.LBB2_2205:                             ;   in Loop: Header=BB2_2190 Depth=2
	v_bfe_u32 v99, v14, 3, 4
	v_lshlrev_b32_e32 v100, 24, v14
	s_delay_alu instid0(VALU_DEP_2) | instskip(SKIP_1) | instid1(VALU_DEP_1)
	v_cmp_eq_u32_e32 vcc_lo, 0, v99
	v_and_b32_e32 v86, 7, v14
	v_clz_i32_u32_e32 v97, v86
	s_delay_alu instid0(VALU_DEP_1) | instskip(NEXT) | instid1(VALU_DEP_1)
	v_min_u32_e32 v97, 32, v97
	v_subrev_nc_u32_e32 v98, 28, v97
	v_sub_nc_u32_e32 v97, 29, v97
	s_delay_alu instid0(VALU_DEP_1) | instskip(NEXT) | instid1(VALU_DEP_1)
	v_dual_cndmask_b32 v97, v99, v97 :: v_dual_lshlrev_b32 v98, v98, v14
	v_and_b32_e32 v98, 7, v98
	s_delay_alu instid0(VALU_DEP_2) | instskip(NEXT) | instid1(VALU_DEP_2)
	v_lshl_add_u32 v97, v97, 23, 0x3b800000
	v_cndmask_b32_e32 v86, v86, v98, vcc_lo
	v_and_b32_e32 v98, 0x80000000, v100
	s_delay_alu instid0(VALU_DEP_2) | instskip(NEXT) | instid1(VALU_DEP_1)
	v_lshlrev_b32_e32 v86, 20, v86
	v_or3_b32 v86, v98, v97, v86
.LBB2_2206:                             ;   in Loop: Header=BB2_2190 Depth=2
	s_or_b32 exec_lo, exec_lo, s25
	s_waitcnt vmcnt(0)
	v_and_b32_e32 v98, 0xff, v10
	s_mov_b32 s10, 0
	s_mov_b32 s26, exec_lo
                                        ; implicit-def: $sgpr25
	s_delay_alu instid0(VALU_DEP_1)
	v_cmpx_lt_i16_e32 0x7f, v98
	s_xor_b32 s26, exec_lo, s26
	s_cbranch_execnz .LBB2_2664
; %bb.2207:                             ;   in Loop: Header=BB2_2190 Depth=2
	s_or_saveexec_b32 s26, s26
	v_mov_b32_e32 v97, s25
	s_xor_b32 exec_lo, exec_lo, s26
	s_cbranch_execnz .LBB2_2667
.LBB2_2208:                             ;   in Loop: Header=BB2_2190 Depth=2
	s_or_b32 exec_lo, exec_lo, s26
	s_and_saveexec_b32 s25, s10
	s_cbranch_execz .LBB2_2210
.LBB2_2209:                             ;   in Loop: Header=BB2_2190 Depth=2
	v_and_b32_e32 v97, 7, v10
	v_bfe_u32 v100, v10, 3, 4
	v_lshlrev_b32_e32 v101, 24, v10
	s_delay_alu instid0(VALU_DEP_3) | instskip(NEXT) | instid1(VALU_DEP_3)
	v_clz_i32_u32_e32 v98, v97
	v_cmp_eq_u32_e32 vcc_lo, 0, v100
	s_delay_alu instid0(VALU_DEP_2) | instskip(NEXT) | instid1(VALU_DEP_1)
	v_min_u32_e32 v98, 32, v98
	v_subrev_nc_u32_e32 v99, 28, v98
	v_sub_nc_u32_e32 v98, 29, v98
	s_delay_alu instid0(VALU_DEP_2) | instskip(NEXT) | instid1(VALU_DEP_1)
	v_lshlrev_b32_e32 v99, v99, v10
	v_dual_cndmask_b32 v98, v100, v98 :: v_dual_and_b32 v99, 7, v99
	s_delay_alu instid0(VALU_DEP_1) | instskip(NEXT) | instid1(VALU_DEP_2)
	v_lshl_add_u32 v98, v98, 23, 0x3b800000
	v_cndmask_b32_e32 v97, v97, v99, vcc_lo
	v_and_b32_e32 v99, 0x80000000, v101
	s_delay_alu instid0(VALU_DEP_2) | instskip(NEXT) | instid1(VALU_DEP_1)
	v_lshlrev_b32_e32 v97, 20, v97
	v_or3_b32 v97, v99, v98, v97
.LBB2_2210:                             ;   in Loop: Header=BB2_2190 Depth=2
	s_or_b32 exec_lo, exec_lo, s25
	s_delay_alu instid0(VALU_DEP_1) | instskip(NEXT) | instid1(VALU_DEP_1)
	v_dual_max_f32 v97, v97, v97 :: v_dual_max_f32 v86, v86, v86
	v_min_f32_e32 v97, v86, v97
.LBB2_2211:                             ;   in Loop: Header=BB2_2190 Depth=2
	s_delay_alu instid0(VALU_DEP_1) | instskip(NEXT) | instid1(VALU_DEP_1)
	v_and_b32_e32 v86, 0x7f800000, v97
	v_cmp_ne_u32_e32 vcc_lo, 0x7f800000, v86
	v_mov_b32_e32 v86, 0x80
	s_and_saveexec_b32 s25, vcc_lo
	s_cbranch_execz .LBB2_2219
; %bb.2212:                             ;   in Loop: Header=BB2_2190 Depth=2
	v_mov_b32_e32 v86, 0
	s_mov_b32 s26, exec_lo
	v_cmpx_ne_u32_e32 0, v97
	s_cbranch_execz .LBB2_2218
; %bb.2213:                             ;   in Loop: Header=BB2_2190 Depth=2
	v_bfe_u32 v86, v97, 23, 8
	s_delay_alu instid0(VALU_DEP_1) | instskip(SKIP_1) | instid1(VALU_DEP_2)
	v_sub_nc_u32_e32 v99, 0x78, v86
	v_cmp_gt_u32_e32 vcc_lo, 0x79, v86
	v_dual_cndmask_b32 v99, 0, v99 :: v_dual_and_b32 v98, 0x7fffff, v97
	s_delay_alu instid0(VALU_DEP_1) | instskip(SKIP_2) | instid1(VALU_DEP_4)
	v_or_b32_e32 v100, 0x800000, v98
	v_cmp_eq_u32_e32 vcc_lo, 0, v86
	v_add_nc_u32_e32 v86, 0xffffff89, v86
	v_cndmask_b32_e64 v99, v99, 0x77, vcc_lo
	s_delay_alu instid0(VALU_DEP_4) | instskip(NEXT) | instid1(VALU_DEP_3)
	v_cndmask_b32_e32 v98, v100, v98, vcc_lo
	v_cndmask_b32_e64 v86, v86, 0xffffff8a, vcc_lo
	s_delay_alu instid0(VALU_DEP_3) | instskip(NEXT) | instid1(VALU_DEP_3)
	v_lshl_add_u32 v100, 0x100000, v99, -1
	v_lshrrev_b32_e32 v101, v99, v98
	v_lshlrev_b32_e64 v103, v99, 0x80000
	s_delay_alu instid0(VALU_DEP_4) | instskip(NEXT) | instid1(VALU_DEP_4)
	v_add_nc_u32_e32 v99, v99, v86
	v_and_b32_e32 v98, v100, v98
	s_delay_alu instid0(VALU_DEP_4) | instskip(NEXT) | instid1(VALU_DEP_2)
	v_bfe_u32 v102, v101, 20, 1
	v_cmp_eq_u32_e64 s10, v98, v103
	s_delay_alu instid0(VALU_DEP_2) | instskip(NEXT) | instid1(VALU_DEP_1)
	v_add_nc_u32_e32 v100, -1, v102
	v_cndmask_b32_e64 v98, 0, v100, s10
	v_lshrrev_b32_e32 v100, 23, v101
	s_mov_b32 s10, exec_lo
	s_delay_alu instid0(VALU_DEP_2) | instskip(NEXT) | instid1(VALU_DEP_2)
	v_add_nc_u32_e32 v98, v98, v101
	v_xor_b32_e32 v100, 1, v100
	s_delay_alu instid0(VALU_DEP_2) | instskip(NEXT) | instid1(VALU_DEP_1)
	v_and_b32_e32 v86, 0xfffff, v98
	v_add_nc_u32_e32 v98, v86, v101
                                        ; implicit-def: $vgpr86
	s_delay_alu instid0(VALU_DEP_3)
	v_cmpx_ne_u32_e64 v99, v100
	s_xor_b32 s10, exec_lo, s10
; %bb.2214:                             ;   in Loop: Header=BB2_2190 Depth=2
	s_delay_alu instid0(VALU_DEP_2) | instskip(SKIP_2) | instid1(VALU_DEP_2)
	v_cmp_lt_u32_e32 vcc_lo, 0xffffff, v98
	v_sub_nc_u32_e32 v86, v99, v100
	v_cndmask_b32_e64 v99, 0, 1, vcc_lo
	v_add_co_ci_u32_e32 v86, vcc_lo, 0, v86, vcc_lo
	s_delay_alu instid0(VALU_DEP_2)
	v_lshrrev_b32_e32 v98, v99, v98
; %bb.2215:                             ;   in Loop: Header=BB2_2190 Depth=2
	s_and_not1_saveexec_b32 s10, s10
; %bb.2216:                             ;   in Loop: Header=BB2_2190 Depth=2
	s_delay_alu instid0(VALU_DEP_1)
	v_bfe_u32 v86, v98, 23, 1
; %bb.2217:                             ;   in Loop: Header=BB2_2190 Depth=2
	s_or_b32 exec_lo, exec_lo, s10
	v_lshrrev_b32_e32 v98, 20, v98
	s_delay_alu instid0(VALU_DEP_2) | instskip(SKIP_2) | instid1(VALU_DEP_2)
	v_cmp_gt_i32_e32 vcc_lo, 16, v86
	v_lshrrev_b32_e32 v97, 24, v97
	v_min_i32_e32 v99, 15, v86
	v_dual_cndmask_b32 v98, 7, v98 :: v_dual_and_b32 v97, 0x80, v97
	s_delay_alu instid0(VALU_DEP_1) | instskip(SKIP_1) | instid1(VALU_DEP_2)
	v_or_b32_e32 v86, v86, v98
	v_and_b32_e32 v100, 7, v98
	v_cmp_ne_u32_e32 vcc_lo, 0, v86
	v_lshlrev_b32_e32 v99, 3, v99
	s_delay_alu instid0(VALU_DEP_1) | instskip(NEXT) | instid1(VALU_DEP_1)
	v_or3_b32 v97, v99, v97, v100
	v_cndmask_b32_e32 v86, 0, v97, vcc_lo
.LBB2_2218:                             ;   in Loop: Header=BB2_2190 Depth=2
	s_or_b32 exec_lo, exec_lo, s26
.LBB2_2219:                             ;   in Loop: Header=BB2_2190 Depth=2
	s_delay_alu instid0(SALU_CYCLE_1)
	s_or_b32 exec_lo, exec_lo, s25
	s_waitcnt vmcnt(1)
	v_lshrrev_b16 v98, 8, v14
	s_waitcnt vmcnt(0)
	v_lshrrev_b16 v97, 8, v10
	s_and_b32 vcc_lo, exec_lo, s24
	s_cbranch_vccz .LBB2_2229
; %bb.2220:                             ;   in Loop: Header=BB2_2190 Depth=2
	s_mov_b32 s10, 0
	s_mov_b32 s26, exec_lo
                                        ; implicit-def: $sgpr25
	v_cmpx_lt_i16_e32 0x7f, v98
	s_xor_b32 s26, exec_lo, s26
	s_cbranch_execnz .LBB2_2668
; %bb.2221:                             ;   in Loop: Header=BB2_2190 Depth=2
	s_or_saveexec_b32 s26, s26
	v_mov_b32_e32 v99, s25
	s_xor_b32 exec_lo, exec_lo, s26
	s_cbranch_execnz .LBB2_2671
.LBB2_2222:                             ;   in Loop: Header=BB2_2190 Depth=2
	s_or_b32 exec_lo, exec_lo, s26
	s_and_saveexec_b32 s25, s10
	s_cbranch_execz .LBB2_2224
.LBB2_2223:                             ;   in Loop: Header=BB2_2190 Depth=2
	v_and_b32_e32 v99, 0xffff, v98
	v_lshlrev_b32_e32 v103, 16, v14
	s_delay_alu instid0(VALU_DEP_2) | instskip(NEXT) | instid1(VALU_DEP_1)
	v_and_b32_e32 v100, 7, v99
	v_clz_i32_u32_e32 v101, v100
	s_delay_alu instid0(VALU_DEP_1) | instskip(NEXT) | instid1(VALU_DEP_1)
	v_min_u32_e32 v101, 32, v101
	v_subrev_nc_u32_e32 v102, 28, v101
	v_sub_nc_u32_e32 v101, 29, v101
	s_delay_alu instid0(VALU_DEP_2) | instskip(SKIP_1) | instid1(VALU_DEP_2)
	v_lshlrev_b32_e32 v102, v102, v99
	v_bfe_u32 v99, v99, 3, 4
	v_and_b32_e32 v102, 7, v102
	s_delay_alu instid0(VALU_DEP_2) | instskip(NEXT) | instid1(VALU_DEP_2)
	v_cmp_eq_u32_e32 vcc_lo, 0, v99
	v_dual_cndmask_b32 v99, v99, v101 :: v_dual_cndmask_b32 v100, v100, v102
	v_and_b32_e32 v101, 0x80000000, v103
	s_delay_alu instid0(VALU_DEP_2) | instskip(NEXT) | instid1(VALU_DEP_3)
	v_lshl_add_u32 v99, v99, 23, 0x3b800000
	v_lshlrev_b32_e32 v100, 20, v100
	s_delay_alu instid0(VALU_DEP_1)
	v_or3_b32 v99, v101, v99, v100
.LBB2_2224:                             ;   in Loop: Header=BB2_2190 Depth=2
	s_or_b32 exec_lo, exec_lo, s25
	s_mov_b32 s10, 0
	s_mov_b32 s26, exec_lo
                                        ; implicit-def: $sgpr25
	v_cmpx_lt_i16_e32 0x7f, v97
	s_xor_b32 s26, exec_lo, s26
	s_cbranch_execnz .LBB2_2672
; %bb.2225:                             ;   in Loop: Header=BB2_2190 Depth=2
	s_or_saveexec_b32 s26, s26
	v_mov_b32_e32 v100, s25
	s_xor_b32 exec_lo, exec_lo, s26
	s_cbranch_execnz .LBB2_2675
.LBB2_2226:                             ;   in Loop: Header=BB2_2190 Depth=2
	s_or_b32 exec_lo, exec_lo, s26
	s_and_saveexec_b32 s25, s10
	s_cbranch_execz .LBB2_2228
.LBB2_2227:                             ;   in Loop: Header=BB2_2190 Depth=2
	v_and_b32_e32 v100, 0xffff, v97
	v_lshlrev_b32_e32 v112, 16, v10
	s_delay_alu instid0(VALU_DEP_2) | instskip(NEXT) | instid1(VALU_DEP_1)
	v_and_b32_e32 v101, 7, v100
	v_clz_i32_u32_e32 v102, v101
	s_delay_alu instid0(VALU_DEP_1) | instskip(NEXT) | instid1(VALU_DEP_1)
	v_min_u32_e32 v102, 32, v102
	v_subrev_nc_u32_e32 v103, 28, v102
	v_sub_nc_u32_e32 v102, 29, v102
	s_delay_alu instid0(VALU_DEP_2) | instskip(SKIP_1) | instid1(VALU_DEP_2)
	v_lshlrev_b32_e32 v103, v103, v100
	v_bfe_u32 v100, v100, 3, 4
	v_and_b32_e32 v103, 7, v103
	s_delay_alu instid0(VALU_DEP_2) | instskip(NEXT) | instid1(VALU_DEP_2)
	v_cmp_eq_u32_e32 vcc_lo, 0, v100
	v_dual_cndmask_b32 v100, v100, v102 :: v_dual_cndmask_b32 v101, v101, v103
	v_and_b32_e32 v102, 0x80000000, v112
	s_delay_alu instid0(VALU_DEP_2) | instskip(NEXT) | instid1(VALU_DEP_3)
	v_lshl_add_u32 v100, v100, 23, 0x3b800000
	v_lshlrev_b32_e32 v101, 20, v101
	s_delay_alu instid0(VALU_DEP_1)
	v_or3_b32 v100, v102, v100, v101
.LBB2_2228:                             ;   in Loop: Header=BB2_2190 Depth=2
	s_or_b32 exec_lo, exec_lo, s25
	s_delay_alu instid0(VALU_DEP_1) | instskip(SKIP_1) | instid1(VALU_DEP_1)
	v_dual_max_f32 v100, v100, v100 :: v_dual_max_f32 v99, v99, v99
	s_mov_b32 s10, 0
	v_max_f32_e32 v99, v99, v100
	s_branch .LBB2_2230
.LBB2_2229:                             ;   in Loop: Header=BB2_2190 Depth=2
	s_mov_b32 s10, -1
                                        ; implicit-def: $vgpr99
.LBB2_2230:                             ;   in Loop: Header=BB2_2190 Depth=2
	s_delay_alu instid0(SALU_CYCLE_1)
	s_and_b32 vcc_lo, exec_lo, s10
	s_cbranch_vccz .LBB2_2240
; %bb.2231:                             ;   in Loop: Header=BB2_2190 Depth=2
	s_mov_b32 s10, 0
	s_mov_b32 s26, exec_lo
                                        ; implicit-def: $sgpr25
	v_cmpx_lt_i16_e32 0x7f, v98
	s_xor_b32 s26, exec_lo, s26
	s_cbranch_execnz .LBB2_2676
; %bb.2232:                             ;   in Loop: Header=BB2_2190 Depth=2
	s_or_saveexec_b32 s26, s26
	v_mov_b32_e32 v99, s25
	s_xor_b32 exec_lo, exec_lo, s26
	s_cbranch_execnz .LBB2_2679
.LBB2_2233:                             ;   in Loop: Header=BB2_2190 Depth=2
	s_or_b32 exec_lo, exec_lo, s26
	s_and_saveexec_b32 s25, s10
	s_cbranch_execz .LBB2_2235
.LBB2_2234:                             ;   in Loop: Header=BB2_2190 Depth=2
	v_and_b32_e32 v98, 0xffff, v98
	v_lshlrev_b32_e32 v102, 16, v14
	s_delay_alu instid0(VALU_DEP_2) | instskip(NEXT) | instid1(VALU_DEP_1)
	v_and_b32_e32 v99, 7, v98
	v_clz_i32_u32_e32 v100, v99
	s_delay_alu instid0(VALU_DEP_1) | instskip(NEXT) | instid1(VALU_DEP_1)
	v_min_u32_e32 v100, 32, v100
	v_subrev_nc_u32_e32 v101, 28, v100
	v_sub_nc_u32_e32 v100, 29, v100
	s_delay_alu instid0(VALU_DEP_2) | instskip(SKIP_1) | instid1(VALU_DEP_2)
	v_lshlrev_b32_e32 v101, v101, v98
	v_bfe_u32 v98, v98, 3, 4
	v_and_b32_e32 v101, 7, v101
	s_delay_alu instid0(VALU_DEP_2) | instskip(NEXT) | instid1(VALU_DEP_2)
	v_cmp_eq_u32_e32 vcc_lo, 0, v98
	v_dual_cndmask_b32 v98, v98, v100 :: v_dual_cndmask_b32 v99, v99, v101
	v_and_b32_e32 v100, 0x80000000, v102
	s_delay_alu instid0(VALU_DEP_2) | instskip(NEXT) | instid1(VALU_DEP_3)
	v_lshl_add_u32 v98, v98, 23, 0x3b800000
	v_lshlrev_b32_e32 v99, 20, v99
	s_delay_alu instid0(VALU_DEP_1)
	v_or3_b32 v99, v100, v98, v99
.LBB2_2235:                             ;   in Loop: Header=BB2_2190 Depth=2
	s_or_b32 exec_lo, exec_lo, s25
	s_mov_b32 s10, 0
	s_mov_b32 s26, exec_lo
                                        ; implicit-def: $sgpr25
	v_cmpx_lt_i16_e32 0x7f, v97
	s_xor_b32 s26, exec_lo, s26
	s_cbranch_execnz .LBB2_2680
; %bb.2236:                             ;   in Loop: Header=BB2_2190 Depth=2
	s_or_saveexec_b32 s26, s26
	v_mov_b32_e32 v98, s25
	s_xor_b32 exec_lo, exec_lo, s26
	s_cbranch_execnz .LBB2_2683
.LBB2_2237:                             ;   in Loop: Header=BB2_2190 Depth=2
	s_or_b32 exec_lo, exec_lo, s26
	s_and_saveexec_b32 s25, s10
	s_cbranch_execz .LBB2_2239
.LBB2_2238:                             ;   in Loop: Header=BB2_2190 Depth=2
	v_and_b32_e32 v97, 0xffff, v97
	v_lshlrev_b32_e32 v102, 16, v10
	s_delay_alu instid0(VALU_DEP_2) | instskip(NEXT) | instid1(VALU_DEP_1)
	v_and_b32_e32 v98, 7, v97
	v_clz_i32_u32_e32 v100, v98
	s_delay_alu instid0(VALU_DEP_1) | instskip(NEXT) | instid1(VALU_DEP_1)
	v_min_u32_e32 v100, 32, v100
	v_subrev_nc_u32_e32 v101, 28, v100
	v_sub_nc_u32_e32 v100, 29, v100
	s_delay_alu instid0(VALU_DEP_2) | instskip(SKIP_1) | instid1(VALU_DEP_2)
	v_lshlrev_b32_e32 v101, v101, v97
	v_bfe_u32 v97, v97, 3, 4
	v_and_b32_e32 v101, 7, v101
	s_delay_alu instid0(VALU_DEP_2) | instskip(NEXT) | instid1(VALU_DEP_2)
	v_cmp_eq_u32_e32 vcc_lo, 0, v97
	v_dual_cndmask_b32 v97, v97, v100 :: v_dual_cndmask_b32 v98, v98, v101
	v_and_b32_e32 v100, 0x80000000, v102
	s_delay_alu instid0(VALU_DEP_2) | instskip(NEXT) | instid1(VALU_DEP_3)
	v_lshl_add_u32 v97, v97, 23, 0x3b800000
	v_lshlrev_b32_e32 v98, 20, v98
	s_delay_alu instid0(VALU_DEP_1)
	v_or3_b32 v98, v100, v97, v98
.LBB2_2239:                             ;   in Loop: Header=BB2_2190 Depth=2
	s_or_b32 exec_lo, exec_lo, s25
	s_delay_alu instid0(VALU_DEP_1) | instskip(NEXT) | instid1(VALU_DEP_1)
	v_dual_max_f32 v97, v98, v98 :: v_dual_max_f32 v98, v99, v99
	v_min_f32_e32 v99, v98, v97
.LBB2_2240:                             ;   in Loop: Header=BB2_2190 Depth=2
	s_delay_alu instid0(VALU_DEP_1) | instskip(NEXT) | instid1(VALU_DEP_1)
	v_and_b32_e32 v97, 0x7f800000, v99
	v_cmp_ne_u32_e32 vcc_lo, 0x7f800000, v97
	v_mov_b32_e32 v97, 0x80
	s_and_saveexec_b32 s25, vcc_lo
	s_cbranch_execz .LBB2_2248
; %bb.2241:                             ;   in Loop: Header=BB2_2190 Depth=2
	v_mov_b32_e32 v97, 0
	s_mov_b32 s26, exec_lo
	v_cmpx_ne_u32_e32 0, v99
	s_cbranch_execz .LBB2_2247
; %bb.2242:                             ;   in Loop: Header=BB2_2190 Depth=2
	v_bfe_u32 v97, v99, 23, 8
	v_and_b32_e32 v98, 0x7fffff, v99
	s_delay_alu instid0(VALU_DEP_2) | instskip(SKIP_1) | instid1(VALU_DEP_3)
	v_sub_nc_u32_e32 v100, 0x78, v97
	v_cmp_gt_u32_e32 vcc_lo, 0x79, v97
	v_or_b32_e32 v101, 0x800000, v98
	s_delay_alu instid0(VALU_DEP_3) | instskip(SKIP_2) | instid1(VALU_DEP_3)
	v_cndmask_b32_e32 v100, 0, v100, vcc_lo
	v_cmp_eq_u32_e32 vcc_lo, 0, v97
	v_add_nc_u32_e32 v97, 0xffffff89, v97
	v_cndmask_b32_e64 v100, v100, 0x77, vcc_lo
	v_cndmask_b32_e32 v98, v101, v98, vcc_lo
	s_delay_alu instid0(VALU_DEP_3) | instskip(NEXT) | instid1(VALU_DEP_3)
	v_cndmask_b32_e64 v97, v97, 0xffffff8a, vcc_lo
	v_lshl_add_u32 v101, 0x100000, v100, -1
	s_delay_alu instid0(VALU_DEP_3) | instskip(SKIP_1) | instid1(VALU_DEP_4)
	v_lshrrev_b32_e32 v102, v100, v98
	v_lshlrev_b32_e64 v112, v100, 0x80000
	v_add_nc_u32_e32 v100, v100, v97
	s_delay_alu instid0(VALU_DEP_4) | instskip(NEXT) | instid1(VALU_DEP_4)
	v_and_b32_e32 v98, v101, v98
	v_bfe_u32 v103, v102, 20, 1
	s_delay_alu instid0(VALU_DEP_2) | instskip(NEXT) | instid1(VALU_DEP_2)
	v_cmp_eq_u32_e64 s10, v98, v112
	v_add_nc_u32_e32 v101, -1, v103
	s_delay_alu instid0(VALU_DEP_1) | instskip(SKIP_2) | instid1(VALU_DEP_2)
	v_cndmask_b32_e64 v98, 0, v101, s10
	v_lshrrev_b32_e32 v101, 23, v102
	s_mov_b32 s10, exec_lo
	v_add_nc_u32_e32 v98, v98, v102
	s_delay_alu instid0(VALU_DEP_2) | instskip(NEXT) | instid1(VALU_DEP_2)
	v_xor_b32_e32 v101, 1, v101
	v_and_b32_e32 v97, 0xfffff, v98
	s_delay_alu instid0(VALU_DEP_1) | instskip(NEXT) | instid1(VALU_DEP_3)
	v_add_nc_u32_e32 v98, v97, v102
                                        ; implicit-def: $vgpr97
	v_cmpx_ne_u32_e64 v100, v101
	s_xor_b32 s10, exec_lo, s10
; %bb.2243:                             ;   in Loop: Header=BB2_2190 Depth=2
	s_delay_alu instid0(VALU_DEP_2) | instskip(SKIP_2) | instid1(VALU_DEP_2)
	v_cmp_lt_u32_e32 vcc_lo, 0xffffff, v98
	v_sub_nc_u32_e32 v97, v100, v101
	v_cndmask_b32_e64 v100, 0, 1, vcc_lo
	v_add_co_ci_u32_e32 v97, vcc_lo, 0, v97, vcc_lo
	s_delay_alu instid0(VALU_DEP_2)
	v_lshrrev_b32_e32 v98, v100, v98
; %bb.2244:                             ;   in Loop: Header=BB2_2190 Depth=2
	s_and_not1_saveexec_b32 s10, s10
; %bb.2245:                             ;   in Loop: Header=BB2_2190 Depth=2
	s_delay_alu instid0(VALU_DEP_1)
	v_bfe_u32 v97, v98, 23, 1
; %bb.2246:                             ;   in Loop: Header=BB2_2190 Depth=2
	s_or_b32 exec_lo, exec_lo, s10
	v_lshrrev_b32_e32 v98, 20, v98
	s_delay_alu instid0(VALU_DEP_2) | instskip(SKIP_2) | instid1(VALU_DEP_2)
	v_cmp_gt_i32_e32 vcc_lo, 16, v97
	v_lshrrev_b32_e32 v99, 24, v99
	v_min_i32_e32 v100, 15, v97
	v_dual_cndmask_b32 v98, 7, v98 :: v_dual_and_b32 v99, 0x80, v99
	s_delay_alu instid0(VALU_DEP_1) | instskip(SKIP_1) | instid1(VALU_DEP_2)
	v_or_b32_e32 v97, v97, v98
	v_and_b32_e32 v101, 7, v98
	v_cmp_ne_u32_e32 vcc_lo, 0, v97
	v_lshlrev_b32_e32 v100, 3, v100
	s_delay_alu instid0(VALU_DEP_1) | instskip(NEXT) | instid1(VALU_DEP_1)
	v_or3_b32 v98, v100, v99, v101
	v_cndmask_b32_e32 v97, 0, v98, vcc_lo
.LBB2_2247:                             ;   in Loop: Header=BB2_2190 Depth=2
	s_or_b32 exec_lo, exec_lo, s26
.LBB2_2248:                             ;   in Loop: Header=BB2_2190 Depth=2
	s_delay_alu instid0(SALU_CYCLE_1)
	s_or_b32 exec_lo, exec_lo, s25
	v_lshrrev_b32_e32 v99, 16, v14
	v_lshrrev_b32_e32 v98, 16, v10
	s_and_b32 vcc_lo, exec_lo, s24
	s_cbranch_vccz .LBB2_2258
; %bb.2249:                             ;   in Loop: Header=BB2_2190 Depth=2
	s_delay_alu instid0(VALU_DEP_2) | instskip(SKIP_2) | instid1(VALU_DEP_1)
	v_and_b32_e32 v101, 0xff, v99
	s_mov_b32 s10, 0
	s_mov_b32 s26, exec_lo
                                        ; implicit-def: $sgpr25
	v_cmpx_lt_i16_e32 0x7f, v101
	s_xor_b32 s26, exec_lo, s26
	s_cbranch_execnz .LBB2_2684
; %bb.2250:                             ;   in Loop: Header=BB2_2190 Depth=2
	s_or_saveexec_b32 s26, s26
	v_mov_b32_e32 v100, s25
	s_xor_b32 exec_lo, exec_lo, s26
	s_cbranch_execnz .LBB2_2687
.LBB2_2251:                             ;   in Loop: Header=BB2_2190 Depth=2
	s_or_b32 exec_lo, exec_lo, s26
	s_and_saveexec_b32 s25, s10
	s_cbranch_execz .LBB2_2253
.LBB2_2252:                             ;   in Loop: Header=BB2_2190 Depth=2
	v_bfe_u32 v100, v14, 16, 3
	v_bfe_u32 v103, v14, 19, 4
	v_lshlrev_b32_e32 v112, 24, v99
	s_delay_alu instid0(VALU_DEP_3) | instskip(NEXT) | instid1(VALU_DEP_3)
	v_clz_i32_u32_e32 v101, v100
	v_cmp_eq_u32_e32 vcc_lo, 0, v103
	s_delay_alu instid0(VALU_DEP_2) | instskip(NEXT) | instid1(VALU_DEP_1)
	v_min_u32_e32 v101, 32, v101
	v_subrev_nc_u32_e32 v102, 28, v101
	v_sub_nc_u32_e32 v101, 29, v101
	s_delay_alu instid0(VALU_DEP_1) | instskip(NEXT) | instid1(VALU_DEP_1)
	v_dual_cndmask_b32 v101, v103, v101 :: v_dual_lshlrev_b32 v102, v102, v99
	v_and_b32_e32 v102, 7, v102
	s_delay_alu instid0(VALU_DEP_2) | instskip(NEXT) | instid1(VALU_DEP_2)
	v_lshl_add_u32 v101, v101, 23, 0x3b800000
	v_cndmask_b32_e32 v100, v100, v102, vcc_lo
	v_and_b32_e32 v102, 0x80000000, v112
	s_delay_alu instid0(VALU_DEP_2) | instskip(NEXT) | instid1(VALU_DEP_1)
	v_lshlrev_b32_e32 v100, 20, v100
	v_or3_b32 v100, v102, v101, v100
.LBB2_2253:                             ;   in Loop: Header=BB2_2190 Depth=2
	s_or_b32 exec_lo, exec_lo, s25
	v_and_b32_e32 v102, 0xff, v98
	s_mov_b32 s10, 0
	s_mov_b32 s26, exec_lo
                                        ; implicit-def: $sgpr25
	s_delay_alu instid0(VALU_DEP_1)
	v_cmpx_lt_i16_e32 0x7f, v102
	s_xor_b32 s26, exec_lo, s26
	s_cbranch_execnz .LBB2_2688
; %bb.2254:                             ;   in Loop: Header=BB2_2190 Depth=2
	s_or_saveexec_b32 s26, s26
	v_mov_b32_e32 v101, s25
	s_xor_b32 exec_lo, exec_lo, s26
	s_cbranch_execnz .LBB2_2691
.LBB2_2255:                             ;   in Loop: Header=BB2_2190 Depth=2
	s_or_b32 exec_lo, exec_lo, s26
	s_and_saveexec_b32 s25, s10
	s_cbranch_execz .LBB2_2257
.LBB2_2256:                             ;   in Loop: Header=BB2_2190 Depth=2
	v_bfe_u32 v101, v10, 16, 3
	v_bfe_u32 v112, v10, 19, 4
	v_lshlrev_b32_e32 v113, 24, v98
	s_delay_alu instid0(VALU_DEP_3) | instskip(NEXT) | instid1(VALU_DEP_3)
	v_clz_i32_u32_e32 v102, v101
	v_cmp_eq_u32_e32 vcc_lo, 0, v112
	s_delay_alu instid0(VALU_DEP_2) | instskip(NEXT) | instid1(VALU_DEP_1)
	v_min_u32_e32 v102, 32, v102
	v_subrev_nc_u32_e32 v103, 28, v102
	v_sub_nc_u32_e32 v102, 29, v102
	s_delay_alu instid0(VALU_DEP_2) | instskip(NEXT) | instid1(VALU_DEP_1)
	v_lshlrev_b32_e32 v103, v103, v98
	v_dual_cndmask_b32 v102, v112, v102 :: v_dual_and_b32 v103, 7, v103
	s_delay_alu instid0(VALU_DEP_1) | instskip(NEXT) | instid1(VALU_DEP_2)
	v_lshl_add_u32 v102, v102, 23, 0x3b800000
	v_cndmask_b32_e32 v101, v101, v103, vcc_lo
	v_and_b32_e32 v103, 0x80000000, v113
	s_delay_alu instid0(VALU_DEP_2) | instskip(NEXT) | instid1(VALU_DEP_1)
	v_lshlrev_b32_e32 v101, 20, v101
	v_or3_b32 v101, v103, v102, v101
.LBB2_2257:                             ;   in Loop: Header=BB2_2190 Depth=2
	s_or_b32 exec_lo, exec_lo, s25
	s_delay_alu instid0(VALU_DEP_1) | instskip(SKIP_1) | instid1(VALU_DEP_1)
	v_dual_max_f32 v101, v101, v101 :: v_dual_max_f32 v100, v100, v100
	s_mov_b32 s10, 0
	v_max_f32_e32 v100, v100, v101
	s_branch .LBB2_2259
.LBB2_2258:                             ;   in Loop: Header=BB2_2190 Depth=2
	s_mov_b32 s10, -1
                                        ; implicit-def: $vgpr100
.LBB2_2259:                             ;   in Loop: Header=BB2_2190 Depth=2
	s_delay_alu instid0(SALU_CYCLE_1)
	s_and_b32 vcc_lo, exec_lo, s10
	s_cbranch_vccz .LBB2_2269
; %bb.2260:                             ;   in Loop: Header=BB2_2190 Depth=2
	v_and_b32_e32 v101, 0xff, v99
	s_mov_b32 s10, 0
	s_mov_b32 s26, exec_lo
                                        ; implicit-def: $sgpr25
	s_delay_alu instid0(VALU_DEP_1)
	v_cmpx_lt_i16_e32 0x7f, v101
	s_xor_b32 s26, exec_lo, s26
	s_cbranch_execnz .LBB2_2692
; %bb.2261:                             ;   in Loop: Header=BB2_2190 Depth=2
	s_or_saveexec_b32 s26, s26
	v_mov_b32_e32 v100, s25
	s_xor_b32 exec_lo, exec_lo, s26
	s_cbranch_execnz .LBB2_2695
.LBB2_2262:                             ;   in Loop: Header=BB2_2190 Depth=2
	s_or_b32 exec_lo, exec_lo, s26
	s_and_saveexec_b32 s25, s10
	s_cbranch_execz .LBB2_2264
.LBB2_2263:                             ;   in Loop: Header=BB2_2190 Depth=2
	v_bfe_u32 v100, v14, 16, 3
	v_bfe_u32 v103, v14, 19, 4
	s_delay_alu instid0(VALU_DEP_2) | instskip(NEXT) | instid1(VALU_DEP_2)
	v_clz_i32_u32_e32 v101, v100
	v_cmp_eq_u32_e32 vcc_lo, 0, v103
	s_delay_alu instid0(VALU_DEP_2) | instskip(NEXT) | instid1(VALU_DEP_1)
	v_min_u32_e32 v101, 32, v101
	v_subrev_nc_u32_e32 v102, 28, v101
	v_sub_nc_u32_e32 v101, 29, v101
	s_delay_alu instid0(VALU_DEP_1) | instskip(NEXT) | instid1(VALU_DEP_1)
	v_dual_cndmask_b32 v101, v103, v101 :: v_dual_lshlrev_b32 v102, v102, v99
	v_and_b32_e32 v102, 7, v102
	v_lshlrev_b32_e32 v99, 24, v99
	s_delay_alu instid0(VALU_DEP_3) | instskip(NEXT) | instid1(VALU_DEP_2)
	v_lshl_add_u32 v101, v101, 23, 0x3b800000
	v_dual_cndmask_b32 v100, v100, v102 :: v_dual_and_b32 v99, 0x80000000, v99
	s_delay_alu instid0(VALU_DEP_1) | instskip(NEXT) | instid1(VALU_DEP_1)
	v_lshlrev_b32_e32 v100, 20, v100
	v_or3_b32 v100, v99, v101, v100
.LBB2_2264:                             ;   in Loop: Header=BB2_2190 Depth=2
	s_or_b32 exec_lo, exec_lo, s25
	v_and_b32_e32 v101, 0xff, v98
	s_mov_b32 s10, 0
	s_mov_b32 s26, exec_lo
                                        ; implicit-def: $sgpr25
	s_delay_alu instid0(VALU_DEP_1)
	v_cmpx_lt_i16_e32 0x7f, v101
	s_xor_b32 s26, exec_lo, s26
	s_cbranch_execnz .LBB2_2696
; %bb.2265:                             ;   in Loop: Header=BB2_2190 Depth=2
	s_or_saveexec_b32 s26, s26
	v_mov_b32_e32 v99, s25
	s_xor_b32 exec_lo, exec_lo, s26
	s_cbranch_execnz .LBB2_2699
.LBB2_2266:                             ;   in Loop: Header=BB2_2190 Depth=2
	s_or_b32 exec_lo, exec_lo, s26
	s_and_saveexec_b32 s25, s10
	s_cbranch_execz .LBB2_2268
.LBB2_2267:                             ;   in Loop: Header=BB2_2190 Depth=2
	v_bfe_u32 v99, v10, 16, 3
	v_bfe_u32 v103, v10, 19, 4
	s_delay_alu instid0(VALU_DEP_2) | instskip(NEXT) | instid1(VALU_DEP_2)
	v_clz_i32_u32_e32 v101, v99
	v_cmp_eq_u32_e32 vcc_lo, 0, v103
	s_delay_alu instid0(VALU_DEP_2) | instskip(NEXT) | instid1(VALU_DEP_1)
	v_min_u32_e32 v101, 32, v101
	v_subrev_nc_u32_e32 v102, 28, v101
	v_sub_nc_u32_e32 v101, 29, v101
	s_delay_alu instid0(VALU_DEP_1) | instskip(SKIP_1) | instid1(VALU_DEP_2)
	v_dual_cndmask_b32 v101, v103, v101 :: v_dual_lshlrev_b32 v102, v102, v98
	v_lshlrev_b32_e32 v98, 24, v98
	v_and_b32_e32 v102, 7, v102
	s_delay_alu instid0(VALU_DEP_3) | instskip(NEXT) | instid1(VALU_DEP_3)
	v_lshl_add_u32 v101, v101, 23, 0x3b800000
	v_and_b32_e32 v98, 0x80000000, v98
	s_delay_alu instid0(VALU_DEP_3) | instskip(NEXT) | instid1(VALU_DEP_1)
	v_cndmask_b32_e32 v99, v99, v102, vcc_lo
	v_lshlrev_b32_e32 v99, 20, v99
	s_delay_alu instid0(VALU_DEP_1)
	v_or3_b32 v99, v98, v101, v99
.LBB2_2268:                             ;   in Loop: Header=BB2_2190 Depth=2
	s_or_b32 exec_lo, exec_lo, s25
	s_delay_alu instid0(VALU_DEP_1) | instskip(NEXT) | instid1(VALU_DEP_1)
	v_dual_max_f32 v98, v99, v99 :: v_dual_max_f32 v99, v100, v100
	v_min_f32_e32 v100, v99, v98
.LBB2_2269:                             ;   in Loop: Header=BB2_2190 Depth=2
	s_delay_alu instid0(VALU_DEP_1) | instskip(NEXT) | instid1(VALU_DEP_1)
	v_and_b32_e32 v98, 0x7f800000, v100
	v_cmp_ne_u32_e32 vcc_lo, 0x7f800000, v98
	v_mov_b32_e32 v98, 0x80
	s_and_saveexec_b32 s25, vcc_lo
	s_cbranch_execz .LBB2_2277
; %bb.2270:                             ;   in Loop: Header=BB2_2190 Depth=2
	v_mov_b32_e32 v98, 0
	s_mov_b32 s26, exec_lo
	v_cmpx_ne_u32_e32 0, v100
	s_cbranch_execz .LBB2_2276
; %bb.2271:                             ;   in Loop: Header=BB2_2190 Depth=2
	v_bfe_u32 v98, v100, 23, 8
	v_and_b32_e32 v99, 0x7fffff, v100
	s_delay_alu instid0(VALU_DEP_2) | instskip(SKIP_1) | instid1(VALU_DEP_3)
	v_sub_nc_u32_e32 v101, 0x78, v98
	v_cmp_gt_u32_e32 vcc_lo, 0x79, v98
	v_or_b32_e32 v102, 0x800000, v99
	s_delay_alu instid0(VALU_DEP_3) | instskip(SKIP_2) | instid1(VALU_DEP_3)
	v_cndmask_b32_e32 v101, 0, v101, vcc_lo
	v_cmp_eq_u32_e32 vcc_lo, 0, v98
	v_add_nc_u32_e32 v98, 0xffffff89, v98
	v_cndmask_b32_e64 v101, v101, 0x77, vcc_lo
	v_cndmask_b32_e32 v99, v102, v99, vcc_lo
	s_delay_alu instid0(VALU_DEP_3) | instskip(NEXT) | instid1(VALU_DEP_3)
	v_cndmask_b32_e64 v98, v98, 0xffffff8a, vcc_lo
	v_lshl_add_u32 v102, 0x100000, v101, -1
	s_delay_alu instid0(VALU_DEP_3) | instskip(SKIP_1) | instid1(VALU_DEP_4)
	v_lshrrev_b32_e32 v103, v101, v99
	v_lshlrev_b32_e64 v113, v101, 0x80000
	v_add_nc_u32_e32 v101, v101, v98
	s_delay_alu instid0(VALU_DEP_4) | instskip(NEXT) | instid1(VALU_DEP_4)
	v_and_b32_e32 v99, v102, v99
	v_bfe_u32 v112, v103, 20, 1
	s_delay_alu instid0(VALU_DEP_2) | instskip(NEXT) | instid1(VALU_DEP_2)
	v_cmp_eq_u32_e64 s10, v99, v113
	v_add_nc_u32_e32 v102, -1, v112
	s_delay_alu instid0(VALU_DEP_1) | instskip(SKIP_2) | instid1(VALU_DEP_2)
	v_cndmask_b32_e64 v99, 0, v102, s10
	v_lshrrev_b32_e32 v102, 23, v103
	s_mov_b32 s10, exec_lo
	v_add_nc_u32_e32 v99, v99, v103
	s_delay_alu instid0(VALU_DEP_2) | instskip(NEXT) | instid1(VALU_DEP_2)
	v_xor_b32_e32 v102, 1, v102
	v_and_b32_e32 v98, 0xfffff, v99
	s_delay_alu instid0(VALU_DEP_1) | instskip(NEXT) | instid1(VALU_DEP_3)
	v_add_nc_u32_e32 v99, v98, v103
                                        ; implicit-def: $vgpr98
	v_cmpx_ne_u32_e64 v101, v102
	s_xor_b32 s10, exec_lo, s10
; %bb.2272:                             ;   in Loop: Header=BB2_2190 Depth=2
	s_delay_alu instid0(VALU_DEP_2) | instskip(SKIP_2) | instid1(VALU_DEP_2)
	v_cmp_lt_u32_e32 vcc_lo, 0xffffff, v99
	v_sub_nc_u32_e32 v98, v101, v102
	v_cndmask_b32_e64 v101, 0, 1, vcc_lo
	v_add_co_ci_u32_e32 v98, vcc_lo, 0, v98, vcc_lo
	s_delay_alu instid0(VALU_DEP_2)
	v_lshrrev_b32_e32 v99, v101, v99
; %bb.2273:                             ;   in Loop: Header=BB2_2190 Depth=2
	s_and_not1_saveexec_b32 s10, s10
; %bb.2274:                             ;   in Loop: Header=BB2_2190 Depth=2
	s_delay_alu instid0(VALU_DEP_1)
	v_bfe_u32 v98, v99, 23, 1
; %bb.2275:                             ;   in Loop: Header=BB2_2190 Depth=2
	s_or_b32 exec_lo, exec_lo, s10
	v_lshrrev_b32_e32 v99, 20, v99
	s_delay_alu instid0(VALU_DEP_2) | instskip(SKIP_2) | instid1(VALU_DEP_2)
	v_cmp_gt_i32_e32 vcc_lo, 16, v98
	v_lshrrev_b32_e32 v100, 24, v100
	v_min_i32_e32 v101, 15, v98
	v_dual_cndmask_b32 v99, 7, v99 :: v_dual_and_b32 v100, 0x80, v100
	s_delay_alu instid0(VALU_DEP_1) | instskip(SKIP_1) | instid1(VALU_DEP_2)
	v_or_b32_e32 v98, v98, v99
	v_and_b32_e32 v102, 7, v99
	v_cmp_ne_u32_e32 vcc_lo, 0, v98
	v_lshlrev_b32_e32 v101, 3, v101
	s_delay_alu instid0(VALU_DEP_1) | instskip(NEXT) | instid1(VALU_DEP_1)
	v_or3_b32 v99, v101, v100, v102
	v_cndmask_b32_e32 v98, 0, v99, vcc_lo
.LBB2_2276:                             ;   in Loop: Header=BB2_2190 Depth=2
	s_or_b32 exec_lo, exec_lo, s26
.LBB2_2277:                             ;   in Loop: Header=BB2_2190 Depth=2
	s_delay_alu instid0(SALU_CYCLE_1)
	s_or_b32 exec_lo, exec_lo, s25
	v_lshrrev_b32_e32 v100, 24, v14
	v_lshrrev_b32_e32 v99, 24, v10
	s_and_b32 vcc_lo, exec_lo, s24
	s_cbranch_vccz .LBB2_2287
; %bb.2278:                             ;   in Loop: Header=BB2_2190 Depth=2
	s_mov_b32 s10, 0
	s_mov_b32 s26, exec_lo
                                        ; implicit-def: $sgpr25
	v_cmpx_lt_i16_e32 0x7f, v100
	s_xor_b32 s26, exec_lo, s26
	s_cbranch_execnz .LBB2_2700
; %bb.2279:                             ;   in Loop: Header=BB2_2190 Depth=2
	s_or_saveexec_b32 s26, s26
	v_mov_b32_e32 v101, s25
	s_xor_b32 exec_lo, exec_lo, s26
	s_cbranch_execnz .LBB2_2703
.LBB2_2280:                             ;   in Loop: Header=BB2_2190 Depth=2
	s_or_b32 exec_lo, exec_lo, s26
	s_and_saveexec_b32 s25, s10
	s_cbranch_execz .LBB2_2282
.LBB2_2281:                             ;   in Loop: Header=BB2_2190 Depth=2
	v_bfe_u32 v101, v14, 24, 3
	v_bfe_u32 v112, v14, 27, 4
	s_delay_alu instid0(VALU_DEP_2) | instskip(NEXT) | instid1(VALU_DEP_2)
	v_clz_i32_u32_e32 v102, v101
	v_cmp_eq_u32_e32 vcc_lo, 0, v112
	s_delay_alu instid0(VALU_DEP_2) | instskip(NEXT) | instid1(VALU_DEP_1)
	v_min_u32_e32 v102, 32, v102
	v_subrev_nc_u32_e32 v103, 28, v102
	v_sub_nc_u32_e32 v102, 29, v102
	s_delay_alu instid0(VALU_DEP_1) | instskip(NEXT) | instid1(VALU_DEP_1)
	v_dual_cndmask_b32 v102, v112, v102 :: v_dual_lshlrev_b32 v103, v103, v100
	v_and_b32_e32 v103, 7, v103
	s_delay_alu instid0(VALU_DEP_2) | instskip(NEXT) | instid1(VALU_DEP_2)
	v_lshl_add_u32 v102, v102, 23, 0x3b800000
	v_cndmask_b32_e32 v101, v101, v103, vcc_lo
	v_and_b32_e32 v103, 0x80000000, v14
	s_delay_alu instid0(VALU_DEP_2) | instskip(NEXT) | instid1(VALU_DEP_1)
	v_lshlrev_b32_e32 v101, 20, v101
	v_or3_b32 v101, v103, v102, v101
.LBB2_2282:                             ;   in Loop: Header=BB2_2190 Depth=2
	s_or_b32 exec_lo, exec_lo, s25
	s_mov_b32 s10, 0
	s_mov_b32 s26, exec_lo
                                        ; implicit-def: $sgpr25
	v_cmpx_lt_i16_e32 0x7f, v99
	s_xor_b32 s26, exec_lo, s26
	s_cbranch_execnz .LBB2_2704
; %bb.2283:                             ;   in Loop: Header=BB2_2190 Depth=2
	s_or_saveexec_b32 s26, s26
	v_mov_b32_e32 v102, s25
	s_xor_b32 exec_lo, exec_lo, s26
	s_cbranch_execnz .LBB2_2707
.LBB2_2284:                             ;   in Loop: Header=BB2_2190 Depth=2
	s_or_b32 exec_lo, exec_lo, s26
	s_and_saveexec_b32 s25, s10
	s_cbranch_execz .LBB2_2286
.LBB2_2285:                             ;   in Loop: Header=BB2_2190 Depth=2
	v_bfe_u32 v102, v10, 24, 3
	v_bfe_u32 v113, v10, 27, 4
	s_delay_alu instid0(VALU_DEP_2) | instskip(NEXT) | instid1(VALU_DEP_2)
	v_clz_i32_u32_e32 v103, v102
	v_cmp_eq_u32_e32 vcc_lo, 0, v113
	s_delay_alu instid0(VALU_DEP_2) | instskip(NEXT) | instid1(VALU_DEP_1)
	v_min_u32_e32 v103, 32, v103
	v_subrev_nc_u32_e32 v112, 28, v103
	v_sub_nc_u32_e32 v103, 29, v103
	s_delay_alu instid0(VALU_DEP_2) | instskip(NEXT) | instid1(VALU_DEP_1)
	v_lshlrev_b32_e32 v112, v112, v99
	v_dual_cndmask_b32 v103, v113, v103 :: v_dual_and_b32 v112, 7, v112
	s_delay_alu instid0(VALU_DEP_1) | instskip(NEXT) | instid1(VALU_DEP_2)
	v_lshl_add_u32 v103, v103, 23, 0x3b800000
	v_cndmask_b32_e32 v102, v102, v112, vcc_lo
	v_and_b32_e32 v112, 0x80000000, v10
	s_delay_alu instid0(VALU_DEP_2) | instskip(NEXT) | instid1(VALU_DEP_1)
	v_lshlrev_b32_e32 v102, 20, v102
	v_or3_b32 v102, v112, v103, v102
.LBB2_2286:                             ;   in Loop: Header=BB2_2190 Depth=2
	s_or_b32 exec_lo, exec_lo, s25
	s_delay_alu instid0(VALU_DEP_1) | instskip(SKIP_1) | instid1(VALU_DEP_1)
	v_dual_max_f32 v102, v102, v102 :: v_dual_max_f32 v101, v101, v101
	s_mov_b32 s10, 0
	v_max_f32_e32 v101, v101, v102
	s_branch .LBB2_2288
.LBB2_2287:                             ;   in Loop: Header=BB2_2190 Depth=2
	s_mov_b32 s10, -1
                                        ; implicit-def: $vgpr101
.LBB2_2288:                             ;   in Loop: Header=BB2_2190 Depth=2
	s_delay_alu instid0(SALU_CYCLE_1)
	s_and_b32 vcc_lo, exec_lo, s10
	s_cbranch_vccz .LBB2_2298
; %bb.2289:                             ;   in Loop: Header=BB2_2190 Depth=2
	s_mov_b32 s10, 0
	s_mov_b32 s26, exec_lo
                                        ; implicit-def: $sgpr25
	v_cmpx_lt_i16_e32 0x7f, v100
	s_xor_b32 s26, exec_lo, s26
	s_cbranch_execnz .LBB2_2708
; %bb.2290:                             ;   in Loop: Header=BB2_2190 Depth=2
	s_or_saveexec_b32 s26, s26
	v_mov_b32_e32 v101, s25
	s_xor_b32 exec_lo, exec_lo, s26
	s_cbranch_execnz .LBB2_2711
.LBB2_2291:                             ;   in Loop: Header=BB2_2190 Depth=2
	s_or_b32 exec_lo, exec_lo, s26
	s_and_saveexec_b32 s25, s10
	s_cbranch_execz .LBB2_2293
.LBB2_2292:                             ;   in Loop: Header=BB2_2190 Depth=2
	v_bfe_u32 v101, v14, 24, 3
	s_delay_alu instid0(VALU_DEP_1) | instskip(NEXT) | instid1(VALU_DEP_1)
	v_clz_i32_u32_e32 v102, v101
	v_min_u32_e32 v102, 32, v102
	s_delay_alu instid0(VALU_DEP_1) | instskip(SKIP_1) | instid1(VALU_DEP_2)
	v_subrev_nc_u32_e32 v103, 28, v102
	v_sub_nc_u32_e32 v102, 29, v102
	v_lshlrev_b32_e32 v100, v103, v100
	v_bfe_u32 v103, v14, 27, 4
	v_and_b32_e32 v14, 0x80000000, v14
	s_delay_alu instid0(VALU_DEP_3) | instskip(NEXT) | instid1(VALU_DEP_3)
	v_and_b32_e32 v100, 7, v100
	v_cmp_eq_u32_e32 vcc_lo, 0, v103
	v_cndmask_b32_e32 v102, v103, v102, vcc_lo
	s_delay_alu instid0(VALU_DEP_3) | instskip(NEXT) | instid1(VALU_DEP_2)
	v_cndmask_b32_e32 v100, v101, v100, vcc_lo
	v_lshl_add_u32 v101, v102, 23, 0x3b800000
	s_delay_alu instid0(VALU_DEP_2) | instskip(NEXT) | instid1(VALU_DEP_1)
	v_lshlrev_b32_e32 v100, 20, v100
	v_or3_b32 v101, v14, v101, v100
.LBB2_2293:                             ;   in Loop: Header=BB2_2190 Depth=2
	s_or_b32 exec_lo, exec_lo, s25
	s_mov_b32 s10, 0
	s_mov_b32 s26, exec_lo
                                        ; implicit-def: $sgpr25
	v_cmpx_lt_i16_e32 0x7f, v99
	s_xor_b32 s26, exec_lo, s26
	s_cbranch_execnz .LBB2_2712
; %bb.2294:                             ;   in Loop: Header=BB2_2190 Depth=2
	s_or_saveexec_b32 s26, s26
	v_mov_b32_e32 v14, s25
	s_xor_b32 exec_lo, exec_lo, s26
	s_cbranch_execnz .LBB2_2715
.LBB2_2295:                             ;   in Loop: Header=BB2_2190 Depth=2
	s_or_b32 exec_lo, exec_lo, s26
	s_and_saveexec_b32 s25, s10
	s_cbranch_execz .LBB2_2297
.LBB2_2296:                             ;   in Loop: Header=BB2_2190 Depth=2
	v_bfe_u32 v14, v10, 24, 3
	s_delay_alu instid0(VALU_DEP_1) | instskip(NEXT) | instid1(VALU_DEP_1)
	v_clz_i32_u32_e32 v100, v14
	v_min_u32_e32 v100, 32, v100
	s_delay_alu instid0(VALU_DEP_1) | instskip(SKIP_1) | instid1(VALU_DEP_2)
	v_subrev_nc_u32_e32 v102, 28, v100
	v_sub_nc_u32_e32 v100, 29, v100
	v_lshlrev_b32_e32 v99, v102, v99
	v_bfe_u32 v102, v10, 27, 4
	v_and_b32_e32 v10, 0x80000000, v10
	s_delay_alu instid0(VALU_DEP_2) | instskip(NEXT) | instid1(VALU_DEP_4)
	v_cmp_eq_u32_e32 vcc_lo, 0, v102
	v_dual_cndmask_b32 v100, v102, v100 :: v_dual_and_b32 v99, 7, v99
	s_delay_alu instid0(VALU_DEP_1) | instskip(NEXT) | instid1(VALU_DEP_2)
	v_cndmask_b32_e32 v14, v14, v99, vcc_lo
	v_lshl_add_u32 v99, v100, 23, 0x3b800000
	s_delay_alu instid0(VALU_DEP_2) | instskip(NEXT) | instid1(VALU_DEP_1)
	v_lshlrev_b32_e32 v14, 20, v14
	v_or3_b32 v14, v10, v99, v14
.LBB2_2297:                             ;   in Loop: Header=BB2_2190 Depth=2
	s_or_b32 exec_lo, exec_lo, s25
	s_delay_alu instid0(VALU_DEP_1) | instskip(SKIP_1) | instid1(VALU_DEP_1)
	v_max_f32_e32 v10, v14, v14
	v_max_f32_e32 v14, v101, v101
	v_min_f32_e32 v101, v14, v10
.LBB2_2298:                             ;   in Loop: Header=BB2_2190 Depth=2
	s_delay_alu instid0(VALU_DEP_1) | instskip(NEXT) | instid1(VALU_DEP_1)
	v_and_b32_e32 v10, 0x7f800000, v101
	v_cmp_ne_u32_e32 vcc_lo, 0x7f800000, v10
	v_mov_b32_e32 v10, 0x80
	s_and_saveexec_b32 s25, vcc_lo
	s_cbranch_execz .LBB2_2306
; %bb.2299:                             ;   in Loop: Header=BB2_2190 Depth=2
	v_mov_b32_e32 v10, 0
	s_mov_b32 s26, exec_lo
	v_cmpx_ne_u32_e32 0, v101
	s_cbranch_execz .LBB2_2305
; %bb.2300:                             ;   in Loop: Header=BB2_2190 Depth=2
	v_bfe_u32 v10, v101, 23, 8
	s_delay_alu instid0(VALU_DEP_1) | instskip(SKIP_1) | instid1(VALU_DEP_2)
	v_sub_nc_u32_e32 v99, 0x78, v10
	v_cmp_gt_u32_e32 vcc_lo, 0x79, v10
	v_dual_cndmask_b32 v99, 0, v99 :: v_dual_and_b32 v14, 0x7fffff, v101
	s_delay_alu instid0(VALU_DEP_1) | instskip(SKIP_2) | instid1(VALU_DEP_4)
	v_or_b32_e32 v100, 0x800000, v14
	v_cmp_eq_u32_e32 vcc_lo, 0, v10
	v_add_nc_u32_e32 v10, 0xffffff89, v10
	v_cndmask_b32_e64 v99, v99, 0x77, vcc_lo
	s_delay_alu instid0(VALU_DEP_4) | instskip(NEXT) | instid1(VALU_DEP_3)
	v_cndmask_b32_e32 v14, v100, v14, vcc_lo
	v_cndmask_b32_e64 v10, v10, 0xffffff8a, vcc_lo
	s_delay_alu instid0(VALU_DEP_3) | instskip(NEXT) | instid1(VALU_DEP_3)
	v_lshl_add_u32 v100, 0x100000, v99, -1
	v_lshrrev_b32_e32 v102, v99, v14
	v_lshlrev_b32_e64 v112, v99, 0x80000
	s_delay_alu instid0(VALU_DEP_4) | instskip(NEXT) | instid1(VALU_DEP_4)
	v_add_nc_u32_e32 v99, v99, v10
	v_and_b32_e32 v14, v100, v14
	s_delay_alu instid0(VALU_DEP_4) | instskip(NEXT) | instid1(VALU_DEP_2)
	v_bfe_u32 v103, v102, 20, 1
	v_cmp_eq_u32_e64 s10, v14, v112
	s_delay_alu instid0(VALU_DEP_2) | instskip(NEXT) | instid1(VALU_DEP_1)
	v_add_nc_u32_e32 v100, -1, v103
	v_cndmask_b32_e64 v14, 0, v100, s10
	v_lshrrev_b32_e32 v100, 23, v102
	s_mov_b32 s10, exec_lo
	s_delay_alu instid0(VALU_DEP_2) | instskip(NEXT) | instid1(VALU_DEP_2)
	v_add_nc_u32_e32 v14, v14, v102
	v_xor_b32_e32 v100, 1, v100
	s_delay_alu instid0(VALU_DEP_2) | instskip(NEXT) | instid1(VALU_DEP_1)
	v_and_b32_e32 v10, 0xfffff, v14
	v_add_nc_u32_e32 v14, v10, v102
                                        ; implicit-def: $vgpr10
	s_delay_alu instid0(VALU_DEP_3)
	v_cmpx_ne_u32_e64 v99, v100
	s_xor_b32 s10, exec_lo, s10
; %bb.2301:                             ;   in Loop: Header=BB2_2190 Depth=2
	s_delay_alu instid0(VALU_DEP_2) | instskip(SKIP_2) | instid1(VALU_DEP_2)
	v_cmp_lt_u32_e32 vcc_lo, 0xffffff, v14
	v_sub_nc_u32_e32 v10, v99, v100
	v_cndmask_b32_e64 v99, 0, 1, vcc_lo
	v_add_co_ci_u32_e32 v10, vcc_lo, 0, v10, vcc_lo
	s_delay_alu instid0(VALU_DEP_2)
	v_lshrrev_b32_e32 v14, v99, v14
; %bb.2302:                             ;   in Loop: Header=BB2_2190 Depth=2
	s_and_not1_saveexec_b32 s10, s10
; %bb.2303:                             ;   in Loop: Header=BB2_2190 Depth=2
	s_delay_alu instid0(VALU_DEP_1)
	v_bfe_u32 v10, v14, 23, 1
; %bb.2304:                             ;   in Loop: Header=BB2_2190 Depth=2
	s_or_b32 exec_lo, exec_lo, s10
	v_lshrrev_b32_e32 v14, 20, v14
	s_delay_alu instid0(VALU_DEP_2) | instskip(SKIP_2) | instid1(VALU_DEP_2)
	v_cmp_gt_i32_e32 vcc_lo, 16, v10
	v_lshrrev_b32_e32 v99, 24, v101
	v_min_i32_e32 v100, 15, v10
	v_dual_cndmask_b32 v14, 7, v14 :: v_dual_and_b32 v99, 0x80, v99
	s_delay_alu instid0(VALU_DEP_2) | instskip(NEXT) | instid1(VALU_DEP_2)
	v_lshlrev_b32_e32 v100, 3, v100
	v_and_b32_e32 v101, 7, v14
	v_or_b32_e32 v10, v10, v14
	s_delay_alu instid0(VALU_DEP_2) | instskip(NEXT) | instid1(VALU_DEP_2)
	v_or3_b32 v14, v100, v99, v101
	v_cmp_ne_u32_e32 vcc_lo, 0, v10
	s_delay_alu instid0(VALU_DEP_2)
	v_cndmask_b32_e32 v10, 0, v14, vcc_lo
.LBB2_2305:                             ;   in Loop: Header=BB2_2190 Depth=2
	s_or_b32 exec_lo, exec_lo, s26
.LBB2_2306:                             ;   in Loop: Header=BB2_2190 Depth=2
	s_delay_alu instid0(SALU_CYCLE_1) | instskip(NEXT) | instid1(SALU_CYCLE_1)
	s_or_b32 exec_lo, exec_lo, s25
	s_and_b32 vcc_lo, exec_lo, s24
	s_cbranch_vccz .LBB2_2316
; %bb.2307:                             ;   in Loop: Header=BB2_2190 Depth=2
	v_and_b32_e32 v99, 0xff, v15
	s_mov_b32 s10, 0
	s_mov_b32 s26, exec_lo
                                        ; implicit-def: $sgpr25
	s_delay_alu instid0(VALU_DEP_1)
	v_cmpx_lt_i16_e32 0x7f, v99
	s_xor_b32 s26, exec_lo, s26
	s_cbranch_execnz .LBB2_2716
; %bb.2308:                             ;   in Loop: Header=BB2_2190 Depth=2
	s_or_saveexec_b32 s26, s26
	v_mov_b32_e32 v14, s25
	s_xor_b32 exec_lo, exec_lo, s26
	s_cbranch_execnz .LBB2_2719
.LBB2_2309:                             ;   in Loop: Header=BB2_2190 Depth=2
	s_or_b32 exec_lo, exec_lo, s26
	s_and_saveexec_b32 s25, s10
	s_cbranch_execz .LBB2_2311
.LBB2_2310:                             ;   in Loop: Header=BB2_2190 Depth=2
	v_and_b32_e32 v14, 7, v15
	v_bfe_u32 v101, v15, 3, 4
	v_lshlrev_b32_e32 v102, 24, v15
	s_delay_alu instid0(VALU_DEP_3) | instskip(NEXT) | instid1(VALU_DEP_3)
	v_clz_i32_u32_e32 v99, v14
	v_cmp_eq_u32_e32 vcc_lo, 0, v101
	s_delay_alu instid0(VALU_DEP_2) | instskip(NEXT) | instid1(VALU_DEP_1)
	v_min_u32_e32 v99, 32, v99
	v_subrev_nc_u32_e32 v100, 28, v99
	v_sub_nc_u32_e32 v99, 29, v99
	s_delay_alu instid0(VALU_DEP_2) | instskip(NEXT) | instid1(VALU_DEP_1)
	v_lshlrev_b32_e32 v100, v100, v15
	v_dual_cndmask_b32 v99, v101, v99 :: v_dual_and_b32 v100, 7, v100
	s_delay_alu instid0(VALU_DEP_1) | instskip(NEXT) | instid1(VALU_DEP_2)
	v_lshl_add_u32 v99, v99, 23, 0x3b800000
	v_cndmask_b32_e32 v14, v14, v100, vcc_lo
	v_and_b32_e32 v100, 0x80000000, v102
	s_delay_alu instid0(VALU_DEP_2) | instskip(NEXT) | instid1(VALU_DEP_1)
	v_lshlrev_b32_e32 v14, 20, v14
	v_or3_b32 v14, v100, v99, v14
.LBB2_2311:                             ;   in Loop: Header=BB2_2190 Depth=2
	s_or_b32 exec_lo, exec_lo, s25
	v_and_b32_e32 v100, 0xff, v11
	s_mov_b32 s10, 0
	s_mov_b32 s26, exec_lo
                                        ; implicit-def: $sgpr25
	s_delay_alu instid0(VALU_DEP_1)
	v_cmpx_lt_i16_e32 0x7f, v100
	s_xor_b32 s26, exec_lo, s26
	s_cbranch_execnz .LBB2_2720
; %bb.2312:                             ;   in Loop: Header=BB2_2190 Depth=2
	s_or_saveexec_b32 s26, s26
	v_mov_b32_e32 v99, s25
	s_xor_b32 exec_lo, exec_lo, s26
	s_cbranch_execnz .LBB2_2723
.LBB2_2313:                             ;   in Loop: Header=BB2_2190 Depth=2
	s_or_b32 exec_lo, exec_lo, s26
	s_and_saveexec_b32 s25, s10
	s_cbranch_execz .LBB2_2315
.LBB2_2314:                             ;   in Loop: Header=BB2_2190 Depth=2
	v_bfe_u32 v102, v11, 3, 4
	v_lshlrev_b32_e32 v103, 24, v11
	s_delay_alu instid0(VALU_DEP_2) | instskip(SKIP_1) | instid1(VALU_DEP_1)
	v_cmp_eq_u32_e32 vcc_lo, 0, v102
	v_and_b32_e32 v99, 7, v11
	v_clz_i32_u32_e32 v100, v99
	s_delay_alu instid0(VALU_DEP_1) | instskip(NEXT) | instid1(VALU_DEP_1)
	v_min_u32_e32 v100, 32, v100
	v_subrev_nc_u32_e32 v101, 28, v100
	v_sub_nc_u32_e32 v100, 29, v100
	s_delay_alu instid0(VALU_DEP_1) | instskip(NEXT) | instid1(VALU_DEP_1)
	v_dual_cndmask_b32 v100, v102, v100 :: v_dual_lshlrev_b32 v101, v101, v11
	v_and_b32_e32 v101, 7, v101
	s_delay_alu instid0(VALU_DEP_2) | instskip(NEXT) | instid1(VALU_DEP_2)
	v_lshl_add_u32 v100, v100, 23, 0x3b800000
	v_cndmask_b32_e32 v99, v99, v101, vcc_lo
	v_and_b32_e32 v101, 0x80000000, v103
	s_delay_alu instid0(VALU_DEP_2) | instskip(NEXT) | instid1(VALU_DEP_1)
	v_lshlrev_b32_e32 v99, 20, v99
	v_or3_b32 v99, v101, v100, v99
.LBB2_2315:                             ;   in Loop: Header=BB2_2190 Depth=2
	s_or_b32 exec_lo, exec_lo, s25
	s_delay_alu instid0(VALU_DEP_1) | instskip(SKIP_1) | instid1(VALU_DEP_1)
	v_dual_max_f32 v99, v99, v99 :: v_dual_max_f32 v14, v14, v14
	s_mov_b32 s10, 0
	v_max_f32_e32 v99, v14, v99
	s_branch .LBB2_2317
.LBB2_2316:                             ;   in Loop: Header=BB2_2190 Depth=2
	s_mov_b32 s10, -1
                                        ; implicit-def: $vgpr99
.LBB2_2317:                             ;   in Loop: Header=BB2_2190 Depth=2
	s_delay_alu instid0(SALU_CYCLE_1)
	s_and_b32 vcc_lo, exec_lo, s10
	s_cbranch_vccz .LBB2_2327
; %bb.2318:                             ;   in Loop: Header=BB2_2190 Depth=2
	v_and_b32_e32 v99, 0xff, v15
	s_mov_b32 s10, 0
	s_mov_b32 s26, exec_lo
                                        ; implicit-def: $sgpr25
	s_delay_alu instid0(VALU_DEP_1)
	v_cmpx_lt_i16_e32 0x7f, v99
	s_xor_b32 s26, exec_lo, s26
	s_cbranch_execnz .LBB2_2724
; %bb.2319:                             ;   in Loop: Header=BB2_2190 Depth=2
	s_or_saveexec_b32 s26, s26
	v_mov_b32_e32 v14, s25
	s_xor_b32 exec_lo, exec_lo, s26
	s_cbranch_execnz .LBB2_2727
.LBB2_2320:                             ;   in Loop: Header=BB2_2190 Depth=2
	s_or_b32 exec_lo, exec_lo, s26
	s_and_saveexec_b32 s25, s10
	s_cbranch_execz .LBB2_2322
.LBB2_2321:                             ;   in Loop: Header=BB2_2190 Depth=2
	v_and_b32_e32 v14, 7, v15
	v_bfe_u32 v101, v15, 3, 4
	v_lshlrev_b32_e32 v102, 24, v15
	s_delay_alu instid0(VALU_DEP_3) | instskip(NEXT) | instid1(VALU_DEP_3)
	v_clz_i32_u32_e32 v99, v14
	v_cmp_eq_u32_e32 vcc_lo, 0, v101
	s_delay_alu instid0(VALU_DEP_2) | instskip(NEXT) | instid1(VALU_DEP_1)
	v_min_u32_e32 v99, 32, v99
	v_subrev_nc_u32_e32 v100, 28, v99
	v_sub_nc_u32_e32 v99, 29, v99
	s_delay_alu instid0(VALU_DEP_2) | instskip(NEXT) | instid1(VALU_DEP_1)
	v_lshlrev_b32_e32 v100, v100, v15
	v_dual_cndmask_b32 v99, v101, v99 :: v_dual_and_b32 v100, 7, v100
	s_delay_alu instid0(VALU_DEP_1) | instskip(NEXT) | instid1(VALU_DEP_2)
	v_lshl_add_u32 v99, v99, 23, 0x3b800000
	v_cndmask_b32_e32 v14, v14, v100, vcc_lo
	v_and_b32_e32 v100, 0x80000000, v102
	s_delay_alu instid0(VALU_DEP_2) | instskip(NEXT) | instid1(VALU_DEP_1)
	v_lshlrev_b32_e32 v14, 20, v14
	v_or3_b32 v14, v100, v99, v14
.LBB2_2322:                             ;   in Loop: Header=BB2_2190 Depth=2
	s_or_b32 exec_lo, exec_lo, s25
	v_and_b32_e32 v100, 0xff, v11
	s_mov_b32 s10, 0
	s_mov_b32 s26, exec_lo
                                        ; implicit-def: $sgpr25
	s_delay_alu instid0(VALU_DEP_1)
	v_cmpx_lt_i16_e32 0x7f, v100
	s_xor_b32 s26, exec_lo, s26
	s_cbranch_execnz .LBB2_2728
; %bb.2323:                             ;   in Loop: Header=BB2_2190 Depth=2
	s_or_saveexec_b32 s26, s26
	v_mov_b32_e32 v99, s25
	s_xor_b32 exec_lo, exec_lo, s26
	s_cbranch_execnz .LBB2_2731
.LBB2_2324:                             ;   in Loop: Header=BB2_2190 Depth=2
	s_or_b32 exec_lo, exec_lo, s26
	s_and_saveexec_b32 s25, s10
	s_cbranch_execz .LBB2_2326
.LBB2_2325:                             ;   in Loop: Header=BB2_2190 Depth=2
	v_bfe_u32 v102, v11, 3, 4
	v_lshlrev_b32_e32 v103, 24, v11
	s_delay_alu instid0(VALU_DEP_2) | instskip(SKIP_1) | instid1(VALU_DEP_1)
	v_cmp_eq_u32_e32 vcc_lo, 0, v102
	v_and_b32_e32 v99, 7, v11
	v_clz_i32_u32_e32 v100, v99
	s_delay_alu instid0(VALU_DEP_1) | instskip(NEXT) | instid1(VALU_DEP_1)
	v_min_u32_e32 v100, 32, v100
	v_subrev_nc_u32_e32 v101, 28, v100
	v_sub_nc_u32_e32 v100, 29, v100
	s_delay_alu instid0(VALU_DEP_1) | instskip(NEXT) | instid1(VALU_DEP_1)
	v_dual_cndmask_b32 v100, v102, v100 :: v_dual_lshlrev_b32 v101, v101, v11
	v_and_b32_e32 v101, 7, v101
	s_delay_alu instid0(VALU_DEP_2) | instskip(NEXT) | instid1(VALU_DEP_2)
	v_lshl_add_u32 v100, v100, 23, 0x3b800000
	v_cndmask_b32_e32 v99, v99, v101, vcc_lo
	v_and_b32_e32 v101, 0x80000000, v103
	s_delay_alu instid0(VALU_DEP_2) | instskip(NEXT) | instid1(VALU_DEP_1)
	v_lshlrev_b32_e32 v99, 20, v99
	v_or3_b32 v99, v101, v100, v99
.LBB2_2326:                             ;   in Loop: Header=BB2_2190 Depth=2
	s_or_b32 exec_lo, exec_lo, s25
	s_delay_alu instid0(VALU_DEP_1) | instskip(NEXT) | instid1(VALU_DEP_1)
	v_dual_max_f32 v99, v99, v99 :: v_dual_max_f32 v14, v14, v14
	v_min_f32_e32 v99, v14, v99
.LBB2_2327:                             ;   in Loop: Header=BB2_2190 Depth=2
	s_delay_alu instid0(VALU_DEP_1) | instskip(NEXT) | instid1(VALU_DEP_1)
	v_and_b32_e32 v14, 0x7f800000, v99
	v_cmp_ne_u32_e32 vcc_lo, 0x7f800000, v14
	v_mov_b32_e32 v14, 0x80
	s_and_saveexec_b32 s25, vcc_lo
	s_cbranch_execz .LBB2_2335
; %bb.2328:                             ;   in Loop: Header=BB2_2190 Depth=2
	v_mov_b32_e32 v14, 0
	s_mov_b32 s26, exec_lo
	v_cmpx_ne_u32_e32 0, v99
	s_cbranch_execz .LBB2_2334
; %bb.2329:                             ;   in Loop: Header=BB2_2190 Depth=2
	v_bfe_u32 v14, v99, 23, 8
	s_delay_alu instid0(VALU_DEP_1) | instskip(SKIP_1) | instid1(VALU_DEP_2)
	v_sub_nc_u32_e32 v101, 0x78, v14
	v_cmp_gt_u32_e32 vcc_lo, 0x79, v14
	v_dual_cndmask_b32 v101, 0, v101 :: v_dual_and_b32 v100, 0x7fffff, v99
	s_delay_alu instid0(VALU_DEP_1) | instskip(SKIP_2) | instid1(VALU_DEP_4)
	v_or_b32_e32 v102, 0x800000, v100
	v_cmp_eq_u32_e32 vcc_lo, 0, v14
	v_add_nc_u32_e32 v14, 0xffffff89, v14
	v_cndmask_b32_e64 v101, v101, 0x77, vcc_lo
	s_delay_alu instid0(VALU_DEP_2) | instskip(SKIP_1) | instid1(VALU_DEP_3)
	v_cndmask_b32_e64 v14, v14, 0xffffff8a, vcc_lo
	v_cndmask_b32_e32 v100, v102, v100, vcc_lo
	v_lshl_add_u32 v102, 0x100000, v101, -1
	v_lshlrev_b32_e64 v113, v101, 0x80000
	s_delay_alu instid0(VALU_DEP_3) | instskip(SKIP_1) | instid1(VALU_DEP_4)
	v_lshrrev_b32_e32 v103, v101, v100
	v_add_nc_u32_e32 v101, v101, v14
	v_and_b32_e32 v100, v102, v100
	s_delay_alu instid0(VALU_DEP_3) | instskip(NEXT) | instid1(VALU_DEP_2)
	v_bfe_u32 v112, v103, 20, 1
	v_cmp_eq_u32_e64 s10, v100, v113
	s_delay_alu instid0(VALU_DEP_2) | instskip(NEXT) | instid1(VALU_DEP_1)
	v_add_nc_u32_e32 v102, -1, v112
	v_cndmask_b32_e64 v100, 0, v102, s10
	v_lshrrev_b32_e32 v102, 23, v103
	s_mov_b32 s10, exec_lo
	s_delay_alu instid0(VALU_DEP_2) | instskip(NEXT) | instid1(VALU_DEP_2)
	v_add_nc_u32_e32 v100, v100, v103
	v_xor_b32_e32 v102, 1, v102
	s_delay_alu instid0(VALU_DEP_2) | instskip(NEXT) | instid1(VALU_DEP_1)
	v_and_b32_e32 v14, 0xfffff, v100
	v_add_nc_u32_e32 v100, v14, v103
                                        ; implicit-def: $vgpr14
	s_delay_alu instid0(VALU_DEP_3)
	v_cmpx_ne_u32_e64 v101, v102
	s_xor_b32 s10, exec_lo, s10
; %bb.2330:                             ;   in Loop: Header=BB2_2190 Depth=2
	s_delay_alu instid0(VALU_DEP_2) | instskip(SKIP_2) | instid1(VALU_DEP_2)
	v_cmp_lt_u32_e32 vcc_lo, 0xffffff, v100
	v_sub_nc_u32_e32 v14, v101, v102
	v_cndmask_b32_e64 v101, 0, 1, vcc_lo
	v_add_co_ci_u32_e32 v14, vcc_lo, 0, v14, vcc_lo
	s_delay_alu instid0(VALU_DEP_2)
	v_lshrrev_b32_e32 v100, v101, v100
; %bb.2331:                             ;   in Loop: Header=BB2_2190 Depth=2
	s_and_not1_saveexec_b32 s10, s10
; %bb.2332:                             ;   in Loop: Header=BB2_2190 Depth=2
	s_delay_alu instid0(VALU_DEP_1)
	v_bfe_u32 v14, v100, 23, 1
; %bb.2333:                             ;   in Loop: Header=BB2_2190 Depth=2
	s_or_b32 exec_lo, exec_lo, s10
	v_lshrrev_b32_e32 v100, 20, v100
	s_delay_alu instid0(VALU_DEP_2) | instskip(SKIP_2) | instid1(VALU_DEP_2)
	v_cmp_gt_i32_e32 vcc_lo, 16, v14
	v_lshrrev_b32_e32 v99, 24, v99
	v_min_i32_e32 v101, 15, v14
	v_dual_cndmask_b32 v100, 7, v100 :: v_dual_and_b32 v99, 0x80, v99
	s_delay_alu instid0(VALU_DEP_1) | instskip(SKIP_1) | instid1(VALU_DEP_2)
	v_or_b32_e32 v14, v14, v100
	v_and_b32_e32 v102, 7, v100
	v_cmp_ne_u32_e32 vcc_lo, 0, v14
	v_lshlrev_b32_e32 v101, 3, v101
	s_delay_alu instid0(VALU_DEP_1) | instskip(NEXT) | instid1(VALU_DEP_1)
	v_or3_b32 v99, v101, v99, v102
	v_cndmask_b32_e32 v14, 0, v99, vcc_lo
.LBB2_2334:                             ;   in Loop: Header=BB2_2190 Depth=2
	s_or_b32 exec_lo, exec_lo, s26
.LBB2_2335:                             ;   in Loop: Header=BB2_2190 Depth=2
	s_delay_alu instid0(SALU_CYCLE_1)
	s_or_b32 exec_lo, exec_lo, s25
	v_lshrrev_b16 v100, 8, v15
	v_lshrrev_b16 v99, 8, v11
	s_and_b32 vcc_lo, exec_lo, s24
	s_cbranch_vccz .LBB2_2345
; %bb.2336:                             ;   in Loop: Header=BB2_2190 Depth=2
	s_mov_b32 s10, 0
	s_mov_b32 s26, exec_lo
                                        ; implicit-def: $sgpr25
	v_cmpx_lt_i16_e32 0x7f, v100
	s_xor_b32 s26, exec_lo, s26
	s_cbranch_execnz .LBB2_2732
; %bb.2337:                             ;   in Loop: Header=BB2_2190 Depth=2
	s_or_saveexec_b32 s26, s26
	v_mov_b32_e32 v101, s25
	s_xor_b32 exec_lo, exec_lo, s26
	s_cbranch_execnz .LBB2_2735
.LBB2_2338:                             ;   in Loop: Header=BB2_2190 Depth=2
	s_or_b32 exec_lo, exec_lo, s26
	s_and_saveexec_b32 s25, s10
	s_cbranch_execz .LBB2_2340
.LBB2_2339:                             ;   in Loop: Header=BB2_2190 Depth=2
	v_and_b32_e32 v101, 0xffff, v100
	s_delay_alu instid0(VALU_DEP_1) | instskip(NEXT) | instid1(VALU_DEP_1)
	v_and_b32_e32 v102, 7, v101
	v_clz_i32_u32_e32 v103, v102
	s_delay_alu instid0(VALU_DEP_1) | instskip(NEXT) | instid1(VALU_DEP_1)
	v_min_u32_e32 v103, 32, v103
	v_subrev_nc_u32_e32 v112, 28, v103
	v_sub_nc_u32_e32 v103, 29, v103
	s_delay_alu instid0(VALU_DEP_2) | instskip(SKIP_1) | instid1(VALU_DEP_2)
	v_lshlrev_b32_e32 v112, v112, v101
	v_bfe_u32 v101, v101, 3, 4
	v_and_b32_e32 v112, 7, v112
	s_delay_alu instid0(VALU_DEP_2) | instskip(SKIP_1) | instid1(VALU_DEP_3)
	v_cmp_eq_u32_e32 vcc_lo, 0, v101
	v_cndmask_b32_e32 v101, v101, v103, vcc_lo
	v_dual_cndmask_b32 v102, v102, v112 :: v_dual_lshlrev_b32 v113, 16, v15
	s_delay_alu instid0(VALU_DEP_2) | instskip(NEXT) | instid1(VALU_DEP_2)
	v_lshl_add_u32 v101, v101, 23, 0x3b800000
	v_and_b32_e32 v103, 0x80000000, v113
	s_delay_alu instid0(VALU_DEP_3) | instskip(NEXT) | instid1(VALU_DEP_1)
	v_lshlrev_b32_e32 v102, 20, v102
	v_or3_b32 v101, v103, v101, v102
.LBB2_2340:                             ;   in Loop: Header=BB2_2190 Depth=2
	s_or_b32 exec_lo, exec_lo, s25
	s_mov_b32 s10, 0
	s_mov_b32 s26, exec_lo
                                        ; implicit-def: $sgpr25
	v_cmpx_lt_i16_e32 0x7f, v99
	s_xor_b32 s26, exec_lo, s26
	s_cbranch_execnz .LBB2_2736
; %bb.2341:                             ;   in Loop: Header=BB2_2190 Depth=2
	s_or_saveexec_b32 s26, s26
	v_mov_b32_e32 v102, s25
	s_xor_b32 exec_lo, exec_lo, s26
	s_cbranch_execnz .LBB2_2739
.LBB2_2342:                             ;   in Loop: Header=BB2_2190 Depth=2
	s_or_b32 exec_lo, exec_lo, s26
	s_and_saveexec_b32 s25, s10
	s_cbranch_execz .LBB2_2344
.LBB2_2343:                             ;   in Loop: Header=BB2_2190 Depth=2
	v_and_b32_e32 v102, 0xffff, v99
	v_lshlrev_b32_e32 v114, 16, v11
	s_delay_alu instid0(VALU_DEP_2) | instskip(NEXT) | instid1(VALU_DEP_1)
	v_and_b32_e32 v103, 7, v102
	v_clz_i32_u32_e32 v112, v103
	s_delay_alu instid0(VALU_DEP_1) | instskip(NEXT) | instid1(VALU_DEP_1)
	v_min_u32_e32 v112, 32, v112
	v_subrev_nc_u32_e32 v113, 28, v112
	v_sub_nc_u32_e32 v112, 29, v112
	s_delay_alu instid0(VALU_DEP_2) | instskip(SKIP_1) | instid1(VALU_DEP_2)
	v_lshlrev_b32_e32 v113, v113, v102
	v_bfe_u32 v102, v102, 3, 4
	v_and_b32_e32 v113, 7, v113
	s_delay_alu instid0(VALU_DEP_2) | instskip(NEXT) | instid1(VALU_DEP_2)
	v_cmp_eq_u32_e32 vcc_lo, 0, v102
	v_dual_cndmask_b32 v102, v102, v112 :: v_dual_cndmask_b32 v103, v103, v113
	v_and_b32_e32 v112, 0x80000000, v114
	s_delay_alu instid0(VALU_DEP_2) | instskip(NEXT) | instid1(VALU_DEP_3)
	v_lshl_add_u32 v102, v102, 23, 0x3b800000
	v_lshlrev_b32_e32 v103, 20, v103
	s_delay_alu instid0(VALU_DEP_1)
	v_or3_b32 v102, v112, v102, v103
.LBB2_2344:                             ;   in Loop: Header=BB2_2190 Depth=2
	s_or_b32 exec_lo, exec_lo, s25
	s_delay_alu instid0(VALU_DEP_1) | instskip(SKIP_1) | instid1(VALU_DEP_1)
	v_dual_max_f32 v102, v102, v102 :: v_dual_max_f32 v101, v101, v101
	s_mov_b32 s10, 0
	v_max_f32_e32 v101, v101, v102
	s_branch .LBB2_2346
.LBB2_2345:                             ;   in Loop: Header=BB2_2190 Depth=2
	s_mov_b32 s10, -1
                                        ; implicit-def: $vgpr101
.LBB2_2346:                             ;   in Loop: Header=BB2_2190 Depth=2
	s_delay_alu instid0(SALU_CYCLE_1)
	s_and_b32 vcc_lo, exec_lo, s10
	s_cbranch_vccz .LBB2_2356
; %bb.2347:                             ;   in Loop: Header=BB2_2190 Depth=2
	s_mov_b32 s10, 0
	s_mov_b32 s26, exec_lo
                                        ; implicit-def: $sgpr25
	v_cmpx_lt_i16_e32 0x7f, v100
	s_xor_b32 s26, exec_lo, s26
	s_cbranch_execnz .LBB2_2740
; %bb.2348:                             ;   in Loop: Header=BB2_2190 Depth=2
	s_or_saveexec_b32 s26, s26
	v_mov_b32_e32 v101, s25
	s_xor_b32 exec_lo, exec_lo, s26
	s_cbranch_execnz .LBB2_2743
.LBB2_2349:                             ;   in Loop: Header=BB2_2190 Depth=2
	s_or_b32 exec_lo, exec_lo, s26
	s_and_saveexec_b32 s25, s10
	s_cbranch_execz .LBB2_2351
.LBB2_2350:                             ;   in Loop: Header=BB2_2190 Depth=2
	v_and_b32_e32 v100, 0xffff, v100
	v_lshlrev_b32_e32 v112, 16, v15
	s_delay_alu instid0(VALU_DEP_2) | instskip(NEXT) | instid1(VALU_DEP_1)
	v_and_b32_e32 v101, 7, v100
	v_clz_i32_u32_e32 v102, v101
	s_delay_alu instid0(VALU_DEP_1) | instskip(NEXT) | instid1(VALU_DEP_1)
	v_min_u32_e32 v102, 32, v102
	v_subrev_nc_u32_e32 v103, 28, v102
	v_sub_nc_u32_e32 v102, 29, v102
	s_delay_alu instid0(VALU_DEP_2) | instskip(SKIP_1) | instid1(VALU_DEP_2)
	v_lshlrev_b32_e32 v103, v103, v100
	v_bfe_u32 v100, v100, 3, 4
	v_and_b32_e32 v103, 7, v103
	s_delay_alu instid0(VALU_DEP_2) | instskip(NEXT) | instid1(VALU_DEP_2)
	v_cmp_eq_u32_e32 vcc_lo, 0, v100
	v_dual_cndmask_b32 v100, v100, v102 :: v_dual_cndmask_b32 v101, v101, v103
	v_and_b32_e32 v102, 0x80000000, v112
	s_delay_alu instid0(VALU_DEP_2) | instskip(NEXT) | instid1(VALU_DEP_3)
	v_lshl_add_u32 v100, v100, 23, 0x3b800000
	v_lshlrev_b32_e32 v101, 20, v101
	s_delay_alu instid0(VALU_DEP_1)
	v_or3_b32 v101, v102, v100, v101
.LBB2_2351:                             ;   in Loop: Header=BB2_2190 Depth=2
	s_or_b32 exec_lo, exec_lo, s25
	s_mov_b32 s10, 0
	s_mov_b32 s26, exec_lo
                                        ; implicit-def: $sgpr25
	v_cmpx_lt_i16_e32 0x7f, v99
	s_xor_b32 s26, exec_lo, s26
	s_cbranch_execnz .LBB2_2744
; %bb.2352:                             ;   in Loop: Header=BB2_2190 Depth=2
	s_or_saveexec_b32 s26, s26
	v_mov_b32_e32 v100, s25
	s_xor_b32 exec_lo, exec_lo, s26
	s_cbranch_execnz .LBB2_2747
.LBB2_2353:                             ;   in Loop: Header=BB2_2190 Depth=2
	s_or_b32 exec_lo, exec_lo, s26
	s_and_saveexec_b32 s25, s10
	s_cbranch_execz .LBB2_2355
.LBB2_2354:                             ;   in Loop: Header=BB2_2190 Depth=2
	v_and_b32_e32 v99, 0xffff, v99
	v_lshlrev_b32_e32 v112, 16, v11
	s_delay_alu instid0(VALU_DEP_2) | instskip(NEXT) | instid1(VALU_DEP_1)
	v_and_b32_e32 v100, 7, v99
	v_clz_i32_u32_e32 v102, v100
	s_delay_alu instid0(VALU_DEP_1) | instskip(NEXT) | instid1(VALU_DEP_1)
	v_min_u32_e32 v102, 32, v102
	v_subrev_nc_u32_e32 v103, 28, v102
	v_sub_nc_u32_e32 v102, 29, v102
	s_delay_alu instid0(VALU_DEP_2) | instskip(SKIP_1) | instid1(VALU_DEP_2)
	v_lshlrev_b32_e32 v103, v103, v99
	v_bfe_u32 v99, v99, 3, 4
	v_and_b32_e32 v103, 7, v103
	s_delay_alu instid0(VALU_DEP_2) | instskip(NEXT) | instid1(VALU_DEP_2)
	v_cmp_eq_u32_e32 vcc_lo, 0, v99
	v_dual_cndmask_b32 v99, v99, v102 :: v_dual_cndmask_b32 v100, v100, v103
	v_and_b32_e32 v102, 0x80000000, v112
	s_delay_alu instid0(VALU_DEP_2) | instskip(NEXT) | instid1(VALU_DEP_3)
	v_lshl_add_u32 v99, v99, 23, 0x3b800000
	v_lshlrev_b32_e32 v100, 20, v100
	s_delay_alu instid0(VALU_DEP_1)
	v_or3_b32 v100, v102, v99, v100
.LBB2_2355:                             ;   in Loop: Header=BB2_2190 Depth=2
	s_or_b32 exec_lo, exec_lo, s25
	s_delay_alu instid0(VALU_DEP_1) | instskip(NEXT) | instid1(VALU_DEP_1)
	v_dual_max_f32 v99, v100, v100 :: v_dual_max_f32 v100, v101, v101
	v_min_f32_e32 v101, v100, v99
.LBB2_2356:                             ;   in Loop: Header=BB2_2190 Depth=2
	s_delay_alu instid0(VALU_DEP_1) | instskip(NEXT) | instid1(VALU_DEP_1)
	v_and_b32_e32 v99, 0x7f800000, v101
	v_cmp_ne_u32_e32 vcc_lo, 0x7f800000, v99
	v_mov_b32_e32 v99, 0x80
	s_and_saveexec_b32 s25, vcc_lo
	s_cbranch_execz .LBB2_2364
; %bb.2357:                             ;   in Loop: Header=BB2_2190 Depth=2
	v_mov_b32_e32 v99, 0
	s_mov_b32 s26, exec_lo
	v_cmpx_ne_u32_e32 0, v101
	s_cbranch_execz .LBB2_2363
; %bb.2358:                             ;   in Loop: Header=BB2_2190 Depth=2
	v_bfe_u32 v99, v101, 23, 8
	v_and_b32_e32 v100, 0x7fffff, v101
	s_delay_alu instid0(VALU_DEP_2) | instskip(SKIP_1) | instid1(VALU_DEP_3)
	v_sub_nc_u32_e32 v102, 0x78, v99
	v_cmp_gt_u32_e32 vcc_lo, 0x79, v99
	v_or_b32_e32 v103, 0x800000, v100
	s_delay_alu instid0(VALU_DEP_3) | instskip(SKIP_2) | instid1(VALU_DEP_3)
	v_cndmask_b32_e32 v102, 0, v102, vcc_lo
	v_cmp_eq_u32_e32 vcc_lo, 0, v99
	v_add_nc_u32_e32 v99, 0xffffff89, v99
	v_cndmask_b32_e64 v102, v102, 0x77, vcc_lo
	v_cndmask_b32_e32 v100, v103, v100, vcc_lo
	s_delay_alu instid0(VALU_DEP_3) | instskip(NEXT) | instid1(VALU_DEP_3)
	v_cndmask_b32_e64 v99, v99, 0xffffff8a, vcc_lo
	v_lshl_add_u32 v103, 0x100000, v102, -1
	s_delay_alu instid0(VALU_DEP_3) | instskip(SKIP_1) | instid1(VALU_DEP_4)
	v_lshrrev_b32_e32 v112, v102, v100
	v_lshlrev_b32_e64 v114, v102, 0x80000
	v_add_nc_u32_e32 v102, v102, v99
	s_delay_alu instid0(VALU_DEP_4) | instskip(NEXT) | instid1(VALU_DEP_4)
	v_and_b32_e32 v100, v103, v100
	v_bfe_u32 v113, v112, 20, 1
	s_delay_alu instid0(VALU_DEP_2) | instskip(NEXT) | instid1(VALU_DEP_2)
	v_cmp_eq_u32_e64 s10, v100, v114
	v_add_nc_u32_e32 v103, -1, v113
	s_delay_alu instid0(VALU_DEP_1) | instskip(SKIP_2) | instid1(VALU_DEP_2)
	v_cndmask_b32_e64 v100, 0, v103, s10
	v_lshrrev_b32_e32 v103, 23, v112
	s_mov_b32 s10, exec_lo
	v_add_nc_u32_e32 v100, v100, v112
	s_delay_alu instid0(VALU_DEP_2) | instskip(NEXT) | instid1(VALU_DEP_2)
	v_xor_b32_e32 v103, 1, v103
	v_and_b32_e32 v99, 0xfffff, v100
	s_delay_alu instid0(VALU_DEP_1) | instskip(NEXT) | instid1(VALU_DEP_3)
	v_add_nc_u32_e32 v100, v99, v112
                                        ; implicit-def: $vgpr99
	v_cmpx_ne_u32_e64 v102, v103
	s_xor_b32 s10, exec_lo, s10
; %bb.2359:                             ;   in Loop: Header=BB2_2190 Depth=2
	s_delay_alu instid0(VALU_DEP_2) | instskip(SKIP_2) | instid1(VALU_DEP_2)
	v_cmp_lt_u32_e32 vcc_lo, 0xffffff, v100
	v_sub_nc_u32_e32 v99, v102, v103
	v_cndmask_b32_e64 v102, 0, 1, vcc_lo
	v_add_co_ci_u32_e32 v99, vcc_lo, 0, v99, vcc_lo
	s_delay_alu instid0(VALU_DEP_2)
	v_lshrrev_b32_e32 v100, v102, v100
; %bb.2360:                             ;   in Loop: Header=BB2_2190 Depth=2
	s_and_not1_saveexec_b32 s10, s10
; %bb.2361:                             ;   in Loop: Header=BB2_2190 Depth=2
	s_delay_alu instid0(VALU_DEP_1)
	v_bfe_u32 v99, v100, 23, 1
; %bb.2362:                             ;   in Loop: Header=BB2_2190 Depth=2
	s_or_b32 exec_lo, exec_lo, s10
	v_lshrrev_b32_e32 v100, 20, v100
	s_delay_alu instid0(VALU_DEP_2) | instskip(SKIP_2) | instid1(VALU_DEP_2)
	v_cmp_gt_i32_e32 vcc_lo, 16, v99
	v_lshrrev_b32_e32 v101, 24, v101
	v_min_i32_e32 v102, 15, v99
	v_dual_cndmask_b32 v100, 7, v100 :: v_dual_and_b32 v101, 0x80, v101
	s_delay_alu instid0(VALU_DEP_1) | instskip(SKIP_1) | instid1(VALU_DEP_2)
	v_or_b32_e32 v99, v99, v100
	v_and_b32_e32 v103, 7, v100
	v_cmp_ne_u32_e32 vcc_lo, 0, v99
	v_lshlrev_b32_e32 v102, 3, v102
	s_delay_alu instid0(VALU_DEP_1) | instskip(NEXT) | instid1(VALU_DEP_1)
	v_or3_b32 v100, v102, v101, v103
	v_cndmask_b32_e32 v99, 0, v100, vcc_lo
.LBB2_2363:                             ;   in Loop: Header=BB2_2190 Depth=2
	s_or_b32 exec_lo, exec_lo, s26
.LBB2_2364:                             ;   in Loop: Header=BB2_2190 Depth=2
	s_delay_alu instid0(SALU_CYCLE_1)
	s_or_b32 exec_lo, exec_lo, s25
	v_lshrrev_b32_e32 v101, 16, v15
	v_lshrrev_b32_e32 v100, 16, v11
	s_and_b32 vcc_lo, exec_lo, s24
	s_cbranch_vccz .LBB2_2374
; %bb.2365:                             ;   in Loop: Header=BB2_2190 Depth=2
	s_delay_alu instid0(VALU_DEP_2) | instskip(SKIP_2) | instid1(VALU_DEP_1)
	v_and_b32_e32 v103, 0xff, v101
	s_mov_b32 s10, 0
	s_mov_b32 s26, exec_lo
                                        ; implicit-def: $sgpr25
	v_cmpx_lt_i16_e32 0x7f, v103
	s_xor_b32 s26, exec_lo, s26
	s_cbranch_execnz .LBB2_2748
; %bb.2366:                             ;   in Loop: Header=BB2_2190 Depth=2
	s_or_saveexec_b32 s26, s26
	v_mov_b32_e32 v102, s25
	s_xor_b32 exec_lo, exec_lo, s26
	s_cbranch_execnz .LBB2_2751
.LBB2_2367:                             ;   in Loop: Header=BB2_2190 Depth=2
	s_or_b32 exec_lo, exec_lo, s26
	s_and_saveexec_b32 s25, s10
	s_cbranch_execz .LBB2_2369
.LBB2_2368:                             ;   in Loop: Header=BB2_2190 Depth=2
	v_bfe_u32 v102, v15, 16, 3
	v_bfe_u32 v113, v15, 19, 4
	v_lshlrev_b32_e32 v114, 24, v101
	s_delay_alu instid0(VALU_DEP_3) | instskip(NEXT) | instid1(VALU_DEP_3)
	v_clz_i32_u32_e32 v103, v102
	v_cmp_eq_u32_e32 vcc_lo, 0, v113
	s_delay_alu instid0(VALU_DEP_2) | instskip(NEXT) | instid1(VALU_DEP_1)
	v_min_u32_e32 v103, 32, v103
	v_subrev_nc_u32_e32 v112, 28, v103
	v_sub_nc_u32_e32 v103, 29, v103
	s_delay_alu instid0(VALU_DEP_1) | instskip(NEXT) | instid1(VALU_DEP_1)
	v_dual_cndmask_b32 v103, v113, v103 :: v_dual_lshlrev_b32 v112, v112, v101
	v_and_b32_e32 v112, 7, v112
	s_delay_alu instid0(VALU_DEP_2) | instskip(NEXT) | instid1(VALU_DEP_2)
	v_lshl_add_u32 v103, v103, 23, 0x3b800000
	v_cndmask_b32_e32 v102, v102, v112, vcc_lo
	v_and_b32_e32 v112, 0x80000000, v114
	s_delay_alu instid0(VALU_DEP_2) | instskip(NEXT) | instid1(VALU_DEP_1)
	v_lshlrev_b32_e32 v102, 20, v102
	v_or3_b32 v102, v112, v103, v102
.LBB2_2369:                             ;   in Loop: Header=BB2_2190 Depth=2
	s_or_b32 exec_lo, exec_lo, s25
	v_and_b32_e32 v112, 0xff, v100
	s_mov_b32 s10, 0
	s_mov_b32 s26, exec_lo
                                        ; implicit-def: $sgpr25
	s_delay_alu instid0(VALU_DEP_1)
	v_cmpx_lt_i16_e32 0x7f, v112
	s_xor_b32 s26, exec_lo, s26
	s_cbranch_execnz .LBB2_2752
; %bb.2370:                             ;   in Loop: Header=BB2_2190 Depth=2
	s_or_saveexec_b32 s26, s26
	v_mov_b32_e32 v103, s25
	s_xor_b32 exec_lo, exec_lo, s26
	s_cbranch_execnz .LBB2_2755
.LBB2_2371:                             ;   in Loop: Header=BB2_2190 Depth=2
	s_or_b32 exec_lo, exec_lo, s26
	s_and_saveexec_b32 s25, s10
	s_cbranch_execz .LBB2_2373
.LBB2_2372:                             ;   in Loop: Header=BB2_2190 Depth=2
	v_bfe_u32 v103, v11, 16, 3
	v_bfe_u32 v114, v11, 19, 4
	v_lshlrev_b32_e32 v115, 24, v100
	s_delay_alu instid0(VALU_DEP_3) | instskip(NEXT) | instid1(VALU_DEP_3)
	v_clz_i32_u32_e32 v112, v103
	v_cmp_eq_u32_e32 vcc_lo, 0, v114
	s_delay_alu instid0(VALU_DEP_2) | instskip(NEXT) | instid1(VALU_DEP_1)
	v_min_u32_e32 v112, 32, v112
	v_subrev_nc_u32_e32 v113, 28, v112
	v_sub_nc_u32_e32 v112, 29, v112
	s_delay_alu instid0(VALU_DEP_2) | instskip(NEXT) | instid1(VALU_DEP_1)
	v_lshlrev_b32_e32 v113, v113, v100
	v_dual_cndmask_b32 v112, v114, v112 :: v_dual_and_b32 v113, 7, v113
	s_delay_alu instid0(VALU_DEP_1) | instskip(NEXT) | instid1(VALU_DEP_2)
	v_lshl_add_u32 v112, v112, 23, 0x3b800000
	v_cndmask_b32_e32 v103, v103, v113, vcc_lo
	v_and_b32_e32 v113, 0x80000000, v115
	s_delay_alu instid0(VALU_DEP_2) | instskip(NEXT) | instid1(VALU_DEP_1)
	v_lshlrev_b32_e32 v103, 20, v103
	v_or3_b32 v103, v113, v112, v103
.LBB2_2373:                             ;   in Loop: Header=BB2_2190 Depth=2
	s_or_b32 exec_lo, exec_lo, s25
	s_delay_alu instid0(VALU_DEP_1) | instskip(SKIP_1) | instid1(VALU_DEP_1)
	v_dual_max_f32 v103, v103, v103 :: v_dual_max_f32 v102, v102, v102
	s_mov_b32 s10, 0
	v_max_f32_e32 v102, v102, v103
	s_branch .LBB2_2375
.LBB2_2374:                             ;   in Loop: Header=BB2_2190 Depth=2
	s_mov_b32 s10, -1
                                        ; implicit-def: $vgpr102
.LBB2_2375:                             ;   in Loop: Header=BB2_2190 Depth=2
	s_delay_alu instid0(SALU_CYCLE_1)
	s_and_b32 vcc_lo, exec_lo, s10
	s_cbranch_vccz .LBB2_2385
; %bb.2376:                             ;   in Loop: Header=BB2_2190 Depth=2
	v_and_b32_e32 v103, 0xff, v101
	s_mov_b32 s10, 0
	s_mov_b32 s26, exec_lo
                                        ; implicit-def: $sgpr25
	s_delay_alu instid0(VALU_DEP_1)
	v_cmpx_lt_i16_e32 0x7f, v103
	s_xor_b32 s26, exec_lo, s26
	s_cbranch_execnz .LBB2_2756
; %bb.2377:                             ;   in Loop: Header=BB2_2190 Depth=2
	s_or_saveexec_b32 s26, s26
	v_mov_b32_e32 v102, s25
	s_xor_b32 exec_lo, exec_lo, s26
	s_cbranch_execnz .LBB2_2759
.LBB2_2378:                             ;   in Loop: Header=BB2_2190 Depth=2
	s_or_b32 exec_lo, exec_lo, s26
	s_and_saveexec_b32 s25, s10
	s_cbranch_execz .LBB2_2380
.LBB2_2379:                             ;   in Loop: Header=BB2_2190 Depth=2
	v_bfe_u32 v102, v15, 16, 3
	v_bfe_u32 v113, v15, 19, 4
	s_delay_alu instid0(VALU_DEP_2) | instskip(NEXT) | instid1(VALU_DEP_2)
	v_clz_i32_u32_e32 v103, v102
	v_cmp_eq_u32_e32 vcc_lo, 0, v113
	s_delay_alu instid0(VALU_DEP_2) | instskip(NEXT) | instid1(VALU_DEP_1)
	v_min_u32_e32 v103, 32, v103
	v_subrev_nc_u32_e32 v112, 28, v103
	v_sub_nc_u32_e32 v103, 29, v103
	s_delay_alu instid0(VALU_DEP_1) | instskip(NEXT) | instid1(VALU_DEP_1)
	v_dual_cndmask_b32 v103, v113, v103 :: v_dual_lshlrev_b32 v112, v112, v101
	v_and_b32_e32 v112, 7, v112
	v_lshlrev_b32_e32 v101, 24, v101
	s_delay_alu instid0(VALU_DEP_3) | instskip(NEXT) | instid1(VALU_DEP_2)
	v_lshl_add_u32 v103, v103, 23, 0x3b800000
	v_dual_cndmask_b32 v102, v102, v112 :: v_dual_and_b32 v101, 0x80000000, v101
	s_delay_alu instid0(VALU_DEP_1) | instskip(NEXT) | instid1(VALU_DEP_1)
	v_lshlrev_b32_e32 v102, 20, v102
	v_or3_b32 v102, v101, v103, v102
.LBB2_2380:                             ;   in Loop: Header=BB2_2190 Depth=2
	s_or_b32 exec_lo, exec_lo, s25
	v_and_b32_e32 v103, 0xff, v100
	s_mov_b32 s10, 0
	s_mov_b32 s26, exec_lo
                                        ; implicit-def: $sgpr25
	s_delay_alu instid0(VALU_DEP_1)
	v_cmpx_lt_i16_e32 0x7f, v103
	s_xor_b32 s26, exec_lo, s26
	s_cbranch_execnz .LBB2_2760
; %bb.2381:                             ;   in Loop: Header=BB2_2190 Depth=2
	s_or_saveexec_b32 s26, s26
	v_mov_b32_e32 v101, s25
	s_xor_b32 exec_lo, exec_lo, s26
	s_cbranch_execnz .LBB2_2763
.LBB2_2382:                             ;   in Loop: Header=BB2_2190 Depth=2
	s_or_b32 exec_lo, exec_lo, s26
	s_and_saveexec_b32 s25, s10
	s_cbranch_execz .LBB2_2384
.LBB2_2383:                             ;   in Loop: Header=BB2_2190 Depth=2
	v_bfe_u32 v101, v11, 16, 3
	v_bfe_u32 v113, v11, 19, 4
	s_delay_alu instid0(VALU_DEP_2) | instskip(NEXT) | instid1(VALU_DEP_2)
	v_clz_i32_u32_e32 v103, v101
	v_cmp_eq_u32_e32 vcc_lo, 0, v113
	s_delay_alu instid0(VALU_DEP_2) | instskip(NEXT) | instid1(VALU_DEP_1)
	v_min_u32_e32 v103, 32, v103
	v_subrev_nc_u32_e32 v112, 28, v103
	v_sub_nc_u32_e32 v103, 29, v103
	s_delay_alu instid0(VALU_DEP_1) | instskip(SKIP_1) | instid1(VALU_DEP_2)
	v_dual_cndmask_b32 v103, v113, v103 :: v_dual_lshlrev_b32 v112, v112, v100
	v_lshlrev_b32_e32 v100, 24, v100
	v_and_b32_e32 v112, 7, v112
	s_delay_alu instid0(VALU_DEP_3) | instskip(NEXT) | instid1(VALU_DEP_3)
	v_lshl_add_u32 v103, v103, 23, 0x3b800000
	v_and_b32_e32 v100, 0x80000000, v100
	s_delay_alu instid0(VALU_DEP_3) | instskip(NEXT) | instid1(VALU_DEP_1)
	v_cndmask_b32_e32 v101, v101, v112, vcc_lo
	v_lshlrev_b32_e32 v101, 20, v101
	s_delay_alu instid0(VALU_DEP_1)
	v_or3_b32 v101, v100, v103, v101
.LBB2_2384:                             ;   in Loop: Header=BB2_2190 Depth=2
	s_or_b32 exec_lo, exec_lo, s25
	s_delay_alu instid0(VALU_DEP_1) | instskip(NEXT) | instid1(VALU_DEP_1)
	v_dual_max_f32 v100, v101, v101 :: v_dual_max_f32 v101, v102, v102
	v_min_f32_e32 v102, v101, v100
.LBB2_2385:                             ;   in Loop: Header=BB2_2190 Depth=2
	s_delay_alu instid0(VALU_DEP_1) | instskip(NEXT) | instid1(VALU_DEP_1)
	v_and_b32_e32 v100, 0x7f800000, v102
	v_cmp_ne_u32_e32 vcc_lo, 0x7f800000, v100
	v_mov_b32_e32 v100, 0x80
	s_and_saveexec_b32 s25, vcc_lo
	s_cbranch_execz .LBB2_2393
; %bb.2386:                             ;   in Loop: Header=BB2_2190 Depth=2
	v_mov_b32_e32 v100, 0
	s_mov_b32 s26, exec_lo
	v_cmpx_ne_u32_e32 0, v102
	s_cbranch_execz .LBB2_2392
; %bb.2387:                             ;   in Loop: Header=BB2_2190 Depth=2
	v_bfe_u32 v100, v102, 23, 8
	v_and_b32_e32 v101, 0x7fffff, v102
	s_delay_alu instid0(VALU_DEP_2) | instskip(SKIP_1) | instid1(VALU_DEP_3)
	v_sub_nc_u32_e32 v103, 0x78, v100
	v_cmp_gt_u32_e32 vcc_lo, 0x79, v100
	v_or_b32_e32 v112, 0x800000, v101
	s_delay_alu instid0(VALU_DEP_3) | instskip(SKIP_2) | instid1(VALU_DEP_3)
	v_cndmask_b32_e32 v103, 0, v103, vcc_lo
	v_cmp_eq_u32_e32 vcc_lo, 0, v100
	v_add_nc_u32_e32 v100, 0xffffff89, v100
	v_cndmask_b32_e64 v103, v103, 0x77, vcc_lo
	v_cndmask_b32_e32 v101, v112, v101, vcc_lo
	s_delay_alu instid0(VALU_DEP_3) | instskip(NEXT) | instid1(VALU_DEP_3)
	v_cndmask_b32_e64 v100, v100, 0xffffff8a, vcc_lo
	v_lshl_add_u32 v112, 0x100000, v103, -1
	s_delay_alu instid0(VALU_DEP_3) | instskip(SKIP_1) | instid1(VALU_DEP_4)
	v_lshrrev_b32_e32 v113, v103, v101
	v_lshlrev_b32_e64 v115, v103, 0x80000
	v_add_nc_u32_e32 v103, v103, v100
	s_delay_alu instid0(VALU_DEP_4) | instskip(NEXT) | instid1(VALU_DEP_4)
	v_and_b32_e32 v101, v112, v101
	v_bfe_u32 v114, v113, 20, 1
	s_delay_alu instid0(VALU_DEP_2) | instskip(NEXT) | instid1(VALU_DEP_2)
	v_cmp_eq_u32_e64 s10, v101, v115
	v_add_nc_u32_e32 v112, -1, v114
	s_delay_alu instid0(VALU_DEP_1) | instskip(SKIP_2) | instid1(VALU_DEP_2)
	v_cndmask_b32_e64 v101, 0, v112, s10
	v_lshrrev_b32_e32 v112, 23, v113
	s_mov_b32 s10, exec_lo
	v_add_nc_u32_e32 v101, v101, v113
	s_delay_alu instid0(VALU_DEP_2) | instskip(NEXT) | instid1(VALU_DEP_2)
	v_xor_b32_e32 v112, 1, v112
	v_and_b32_e32 v100, 0xfffff, v101
	s_delay_alu instid0(VALU_DEP_1) | instskip(NEXT) | instid1(VALU_DEP_3)
	v_add_nc_u32_e32 v101, v100, v113
                                        ; implicit-def: $vgpr100
	v_cmpx_ne_u32_e64 v103, v112
	s_xor_b32 s10, exec_lo, s10
; %bb.2388:                             ;   in Loop: Header=BB2_2190 Depth=2
	s_delay_alu instid0(VALU_DEP_2) | instskip(SKIP_2) | instid1(VALU_DEP_2)
	v_cmp_lt_u32_e32 vcc_lo, 0xffffff, v101
	v_sub_nc_u32_e32 v100, v103, v112
	v_cndmask_b32_e64 v103, 0, 1, vcc_lo
	v_add_co_ci_u32_e32 v100, vcc_lo, 0, v100, vcc_lo
	s_delay_alu instid0(VALU_DEP_2)
	v_lshrrev_b32_e32 v101, v103, v101
; %bb.2389:                             ;   in Loop: Header=BB2_2190 Depth=2
	s_and_not1_saveexec_b32 s10, s10
; %bb.2390:                             ;   in Loop: Header=BB2_2190 Depth=2
	s_delay_alu instid0(VALU_DEP_1)
	v_bfe_u32 v100, v101, 23, 1
; %bb.2391:                             ;   in Loop: Header=BB2_2190 Depth=2
	s_or_b32 exec_lo, exec_lo, s10
	v_lshrrev_b32_e32 v101, 20, v101
	s_delay_alu instid0(VALU_DEP_2) | instskip(SKIP_2) | instid1(VALU_DEP_2)
	v_cmp_gt_i32_e32 vcc_lo, 16, v100
	v_lshrrev_b32_e32 v102, 24, v102
	v_min_i32_e32 v103, 15, v100
	v_dual_cndmask_b32 v101, 7, v101 :: v_dual_and_b32 v102, 0x80, v102
	s_delay_alu instid0(VALU_DEP_1) | instskip(SKIP_1) | instid1(VALU_DEP_2)
	v_or_b32_e32 v100, v100, v101
	v_and_b32_e32 v112, 7, v101
	v_cmp_ne_u32_e32 vcc_lo, 0, v100
	v_lshlrev_b32_e32 v103, 3, v103
	s_delay_alu instid0(VALU_DEP_1) | instskip(NEXT) | instid1(VALU_DEP_1)
	v_and_b32_e32 v103, 0xf8, v103
	v_or3_b32 v101, v103, v102, v112
	s_delay_alu instid0(VALU_DEP_1)
	v_cndmask_b32_e32 v100, 0, v101, vcc_lo
.LBB2_2392:                             ;   in Loop: Header=BB2_2190 Depth=2
	s_or_b32 exec_lo, exec_lo, s26
.LBB2_2393:                             ;   in Loop: Header=BB2_2190 Depth=2
	s_delay_alu instid0(SALU_CYCLE_1)
	s_or_b32 exec_lo, exec_lo, s25
	v_lshrrev_b32_e32 v102, 24, v15
	v_lshrrev_b32_e32 v101, 24, v11
	s_and_b32 vcc_lo, exec_lo, s24
	s_cbranch_vccz .LBB2_2403
; %bb.2394:                             ;   in Loop: Header=BB2_2190 Depth=2
	s_mov_b32 s10, 0
	s_mov_b32 s26, exec_lo
                                        ; implicit-def: $sgpr25
	v_cmpx_lt_i16_e32 0x7f, v102
	s_xor_b32 s26, exec_lo, s26
	s_cbranch_execnz .LBB2_2764
; %bb.2395:                             ;   in Loop: Header=BB2_2190 Depth=2
	s_or_saveexec_b32 s26, s26
	v_mov_b32_e32 v103, s25
	s_xor_b32 exec_lo, exec_lo, s26
	s_cbranch_execnz .LBB2_2767
.LBB2_2396:                             ;   in Loop: Header=BB2_2190 Depth=2
	s_or_b32 exec_lo, exec_lo, s26
	s_and_saveexec_b32 s25, s10
	s_cbranch_execz .LBB2_2398
.LBB2_2397:                             ;   in Loop: Header=BB2_2190 Depth=2
	v_bfe_u32 v103, v15, 24, 3
	v_bfe_u32 v114, v15, 27, 4
	s_delay_alu instid0(VALU_DEP_2) | instskip(NEXT) | instid1(VALU_DEP_2)
	v_clz_i32_u32_e32 v112, v103
	v_cmp_eq_u32_e32 vcc_lo, 0, v114
	s_delay_alu instid0(VALU_DEP_2) | instskip(NEXT) | instid1(VALU_DEP_1)
	v_min_u32_e32 v112, 32, v112
	v_subrev_nc_u32_e32 v113, 28, v112
	v_sub_nc_u32_e32 v112, 29, v112
	s_delay_alu instid0(VALU_DEP_1) | instskip(NEXT) | instid1(VALU_DEP_1)
	v_dual_cndmask_b32 v112, v114, v112 :: v_dual_lshlrev_b32 v113, v113, v102
	v_and_b32_e32 v113, 7, v113
	s_delay_alu instid0(VALU_DEP_2) | instskip(NEXT) | instid1(VALU_DEP_2)
	v_lshl_add_u32 v112, v112, 23, 0x3b800000
	v_cndmask_b32_e32 v103, v103, v113, vcc_lo
	v_and_b32_e32 v113, 0x80000000, v15
	s_delay_alu instid0(VALU_DEP_2) | instskip(NEXT) | instid1(VALU_DEP_1)
	v_lshlrev_b32_e32 v103, 20, v103
	v_or3_b32 v103, v113, v112, v103
.LBB2_2398:                             ;   in Loop: Header=BB2_2190 Depth=2
	s_or_b32 exec_lo, exec_lo, s25
	s_mov_b32 s10, 0
	s_mov_b32 s26, exec_lo
                                        ; implicit-def: $sgpr25
	v_cmpx_lt_i16_e32 0x7f, v101
	s_xor_b32 s26, exec_lo, s26
	s_cbranch_execnz .LBB2_2768
; %bb.2399:                             ;   in Loop: Header=BB2_2190 Depth=2
	s_or_saveexec_b32 s26, s26
	v_mov_b32_e32 v112, s25
	s_xor_b32 exec_lo, exec_lo, s26
	s_cbranch_execnz .LBB2_2771
.LBB2_2400:                             ;   in Loop: Header=BB2_2190 Depth=2
	s_or_b32 exec_lo, exec_lo, s26
	s_and_saveexec_b32 s25, s10
	s_cbranch_execz .LBB2_2402
.LBB2_2401:                             ;   in Loop: Header=BB2_2190 Depth=2
	v_bfe_u32 v112, v11, 24, 3
	v_bfe_u32 v115, v11, 27, 4
	s_delay_alu instid0(VALU_DEP_2) | instskip(NEXT) | instid1(VALU_DEP_2)
	v_clz_i32_u32_e32 v113, v112
	v_cmp_eq_u32_e32 vcc_lo, 0, v115
	s_delay_alu instid0(VALU_DEP_2) | instskip(NEXT) | instid1(VALU_DEP_1)
	v_min_u32_e32 v113, 32, v113
	v_subrev_nc_u32_e32 v114, 28, v113
	v_sub_nc_u32_e32 v113, 29, v113
	s_delay_alu instid0(VALU_DEP_2) | instskip(NEXT) | instid1(VALU_DEP_1)
	v_lshlrev_b32_e32 v114, v114, v101
	v_dual_cndmask_b32 v113, v115, v113 :: v_dual_and_b32 v114, 7, v114
	s_delay_alu instid0(VALU_DEP_1) | instskip(NEXT) | instid1(VALU_DEP_2)
	v_lshl_add_u32 v113, v113, 23, 0x3b800000
	v_cndmask_b32_e32 v112, v112, v114, vcc_lo
	v_and_b32_e32 v114, 0x80000000, v11
	s_delay_alu instid0(VALU_DEP_2) | instskip(NEXT) | instid1(VALU_DEP_1)
	v_lshlrev_b32_e32 v112, 20, v112
	v_or3_b32 v112, v114, v113, v112
.LBB2_2402:                             ;   in Loop: Header=BB2_2190 Depth=2
	s_or_b32 exec_lo, exec_lo, s25
	s_delay_alu instid0(VALU_DEP_1) | instskip(SKIP_1) | instid1(VALU_DEP_1)
	v_dual_max_f32 v112, v112, v112 :: v_dual_max_f32 v103, v103, v103
	s_mov_b32 s10, 0
	v_max_f32_e32 v103, v103, v112
	s_branch .LBB2_2404
.LBB2_2403:                             ;   in Loop: Header=BB2_2190 Depth=2
	s_mov_b32 s10, -1
                                        ; implicit-def: $vgpr103
.LBB2_2404:                             ;   in Loop: Header=BB2_2190 Depth=2
	s_delay_alu instid0(SALU_CYCLE_1)
	s_and_b32 vcc_lo, exec_lo, s10
	s_cbranch_vccz .LBB2_2414
; %bb.2405:                             ;   in Loop: Header=BB2_2190 Depth=2
	s_mov_b32 s10, 0
	s_mov_b32 s26, exec_lo
                                        ; implicit-def: $sgpr25
	v_cmpx_lt_i16_e32 0x7f, v102
	s_xor_b32 s26, exec_lo, s26
	s_cbranch_execnz .LBB2_2772
; %bb.2406:                             ;   in Loop: Header=BB2_2190 Depth=2
	s_or_saveexec_b32 s26, s26
	v_mov_b32_e32 v103, s25
	s_xor_b32 exec_lo, exec_lo, s26
	s_cbranch_execnz .LBB2_2775
.LBB2_2407:                             ;   in Loop: Header=BB2_2190 Depth=2
	s_or_b32 exec_lo, exec_lo, s26
	s_and_saveexec_b32 s25, s10
	s_cbranch_execz .LBB2_2409
.LBB2_2408:                             ;   in Loop: Header=BB2_2190 Depth=2
	v_bfe_u32 v103, v15, 24, 3
	s_delay_alu instid0(VALU_DEP_1) | instskip(NEXT) | instid1(VALU_DEP_1)
	v_clz_i32_u32_e32 v112, v103
	v_min_u32_e32 v112, 32, v112
	s_delay_alu instid0(VALU_DEP_1) | instskip(SKIP_1) | instid1(VALU_DEP_2)
	v_subrev_nc_u32_e32 v113, 28, v112
	v_sub_nc_u32_e32 v112, 29, v112
	v_lshlrev_b32_e32 v102, v113, v102
	v_bfe_u32 v113, v15, 27, 4
	v_and_b32_e32 v15, 0x80000000, v15
	s_delay_alu instid0(VALU_DEP_3) | instskip(NEXT) | instid1(VALU_DEP_3)
	v_and_b32_e32 v102, 7, v102
	v_cmp_eq_u32_e32 vcc_lo, 0, v113
	v_cndmask_b32_e32 v112, v113, v112, vcc_lo
	s_delay_alu instid0(VALU_DEP_3) | instskip(NEXT) | instid1(VALU_DEP_2)
	v_cndmask_b32_e32 v102, v103, v102, vcc_lo
	v_lshl_add_u32 v103, v112, 23, 0x3b800000
	s_delay_alu instid0(VALU_DEP_2) | instskip(NEXT) | instid1(VALU_DEP_1)
	v_lshlrev_b32_e32 v102, 20, v102
	v_or3_b32 v103, v15, v103, v102
.LBB2_2409:                             ;   in Loop: Header=BB2_2190 Depth=2
	s_or_b32 exec_lo, exec_lo, s25
	s_mov_b32 s10, 0
	s_mov_b32 s26, exec_lo
                                        ; implicit-def: $sgpr25
	v_cmpx_lt_i16_e32 0x7f, v101
	s_xor_b32 s26, exec_lo, s26
	s_cbranch_execnz .LBB2_2776
; %bb.2410:                             ;   in Loop: Header=BB2_2190 Depth=2
	s_or_saveexec_b32 s26, s26
	v_mov_b32_e32 v15, s25
	s_xor_b32 exec_lo, exec_lo, s26
	s_cbranch_execnz .LBB2_2779
.LBB2_2411:                             ;   in Loop: Header=BB2_2190 Depth=2
	s_or_b32 exec_lo, exec_lo, s26
	s_and_saveexec_b32 s25, s10
	s_cbranch_execz .LBB2_2413
.LBB2_2412:                             ;   in Loop: Header=BB2_2190 Depth=2
	v_bfe_u32 v15, v11, 24, 3
	s_delay_alu instid0(VALU_DEP_1) | instskip(NEXT) | instid1(VALU_DEP_1)
	v_clz_i32_u32_e32 v102, v15
	v_min_u32_e32 v102, 32, v102
	s_delay_alu instid0(VALU_DEP_1) | instskip(SKIP_1) | instid1(VALU_DEP_2)
	v_subrev_nc_u32_e32 v112, 28, v102
	v_sub_nc_u32_e32 v102, 29, v102
	v_lshlrev_b32_e32 v101, v112, v101
	v_bfe_u32 v112, v11, 27, 4
	v_and_b32_e32 v11, 0x80000000, v11
	s_delay_alu instid0(VALU_DEP_2) | instskip(NEXT) | instid1(VALU_DEP_4)
	v_cmp_eq_u32_e32 vcc_lo, 0, v112
	v_dual_cndmask_b32 v102, v112, v102 :: v_dual_and_b32 v101, 7, v101
	s_delay_alu instid0(VALU_DEP_1) | instskip(NEXT) | instid1(VALU_DEP_2)
	v_cndmask_b32_e32 v15, v15, v101, vcc_lo
	v_lshl_add_u32 v101, v102, 23, 0x3b800000
	s_delay_alu instid0(VALU_DEP_2) | instskip(NEXT) | instid1(VALU_DEP_1)
	v_lshlrev_b32_e32 v15, 20, v15
	v_or3_b32 v15, v11, v101, v15
.LBB2_2413:                             ;   in Loop: Header=BB2_2190 Depth=2
	s_or_b32 exec_lo, exec_lo, s25
	s_delay_alu instid0(VALU_DEP_1) | instskip(SKIP_1) | instid1(VALU_DEP_1)
	v_max_f32_e32 v11, v15, v15
	v_max_f32_e32 v15, v103, v103
	v_min_f32_e32 v103, v15, v11
.LBB2_2414:                             ;   in Loop: Header=BB2_2190 Depth=2
	s_delay_alu instid0(VALU_DEP_1) | instskip(NEXT) | instid1(VALU_DEP_1)
	v_and_b32_e32 v11, 0x7f800000, v103
	v_cmp_ne_u32_e32 vcc_lo, 0x7f800000, v11
	v_mov_b32_e32 v11, 0x8000
	s_and_saveexec_b32 s25, vcc_lo
	s_cbranch_execz .LBB2_2422
; %bb.2415:                             ;   in Loop: Header=BB2_2190 Depth=2
	v_mov_b32_e32 v11, 0
	s_mov_b32 s26, exec_lo
	v_cmpx_ne_u32_e32 0, v103
	s_cbranch_execz .LBB2_2421
; %bb.2416:                             ;   in Loop: Header=BB2_2190 Depth=2
	v_bfe_u32 v11, v103, 23, 8
	v_and_b32_e32 v15, 0x7fffff, v103
	s_delay_alu instid0(VALU_DEP_2) | instskip(SKIP_1) | instid1(VALU_DEP_3)
	v_sub_nc_u32_e32 v101, 0x78, v11
	v_cmp_gt_u32_e32 vcc_lo, 0x79, v11
	v_or_b32_e32 v102, 0x800000, v15
	s_delay_alu instid0(VALU_DEP_3) | instskip(SKIP_2) | instid1(VALU_DEP_3)
	v_cndmask_b32_e32 v101, 0, v101, vcc_lo
	v_cmp_eq_u32_e32 vcc_lo, 0, v11
	v_add_nc_u32_e32 v11, 0xffffff89, v11
	v_cndmask_b32_e64 v101, v101, 0x77, vcc_lo
	v_cndmask_b32_e32 v15, v102, v15, vcc_lo
	s_delay_alu instid0(VALU_DEP_3) | instskip(NEXT) | instid1(VALU_DEP_3)
	v_cndmask_b32_e64 v11, v11, 0xffffff8a, vcc_lo
	v_lshl_add_u32 v102, 0x100000, v101, -1
	s_delay_alu instid0(VALU_DEP_3) | instskip(SKIP_1) | instid1(VALU_DEP_4)
	v_lshrrev_b32_e32 v112, v101, v15
	v_lshlrev_b32_e64 v114, v101, 0x80000
	v_add_nc_u32_e32 v101, v101, v11
	s_delay_alu instid0(VALU_DEP_4) | instskip(NEXT) | instid1(VALU_DEP_4)
	v_and_b32_e32 v15, v102, v15
	v_bfe_u32 v113, v112, 20, 1
	s_delay_alu instid0(VALU_DEP_2) | instskip(NEXT) | instid1(VALU_DEP_2)
	v_cmp_eq_u32_e64 s10, v15, v114
	v_add_nc_u32_e32 v102, -1, v113
	s_delay_alu instid0(VALU_DEP_1) | instskip(SKIP_2) | instid1(VALU_DEP_2)
	v_cndmask_b32_e64 v15, 0, v102, s10
	v_lshrrev_b32_e32 v102, 23, v112
	s_mov_b32 s10, exec_lo
	v_add_nc_u32_e32 v15, v15, v112
	s_delay_alu instid0(VALU_DEP_2) | instskip(NEXT) | instid1(VALU_DEP_2)
	v_xor_b32_e32 v102, 1, v102
	v_and_b32_e32 v11, 0xfffff, v15
	s_delay_alu instid0(VALU_DEP_1) | instskip(NEXT) | instid1(VALU_DEP_3)
	v_add_nc_u32_e32 v15, v11, v112
                                        ; implicit-def: $vgpr11
	v_cmpx_ne_u32_e64 v101, v102
	s_xor_b32 s10, exec_lo, s10
; %bb.2417:                             ;   in Loop: Header=BB2_2190 Depth=2
	s_delay_alu instid0(VALU_DEP_2) | instskip(SKIP_2) | instid1(VALU_DEP_2)
	v_cmp_lt_u32_e32 vcc_lo, 0xffffff, v15
	v_sub_nc_u32_e32 v11, v101, v102
	v_cndmask_b32_e64 v101, 0, 1, vcc_lo
	v_add_co_ci_u32_e32 v11, vcc_lo, 0, v11, vcc_lo
	s_delay_alu instid0(VALU_DEP_2)
	v_lshrrev_b32_e32 v15, v101, v15
; %bb.2418:                             ;   in Loop: Header=BB2_2190 Depth=2
	s_and_not1_saveexec_b32 s10, s10
; %bb.2419:                             ;   in Loop: Header=BB2_2190 Depth=2
	s_delay_alu instid0(VALU_DEP_1)
	v_bfe_u32 v11, v15, 23, 1
; %bb.2420:                             ;   in Loop: Header=BB2_2190 Depth=2
	s_or_b32 exec_lo, exec_lo, s10
	v_lshrrev_b32_e32 v15, 20, v15
	s_delay_alu instid0(VALU_DEP_2) | instskip(SKIP_2) | instid1(VALU_DEP_3)
	v_min_i32_e32 v101, 15, v11
	v_cmp_gt_i32_e32 vcc_lo, 16, v11
	v_lshrrev_b32_e32 v102, 24, v103
	v_lshlrev_b32_e32 v101, 3, v101
	s_delay_alu instid0(VALU_DEP_2) | instskip(NEXT) | instid1(VALU_DEP_2)
	v_dual_cndmask_b32 v15, 7, v15 :: v_dual_and_b32 v102, 0x80, v102
	v_and_b32_e32 v101, 0xf8, v101
	s_delay_alu instid0(VALU_DEP_2) | instskip(SKIP_1) | instid1(VALU_DEP_2)
	v_and_b32_e32 v103, 7, v15
	v_or_b32_e32 v11, v11, v15
	v_or3_b32 v101, v102, v101, v103
	s_delay_alu instid0(VALU_DEP_2) | instskip(NEXT) | instid1(VALU_DEP_2)
	v_cmp_ne_u32_e32 vcc_lo, 0, v11
	v_lshlrev_b32_e32 v15, 8, v101
	s_delay_alu instid0(VALU_DEP_1)
	v_cndmask_b32_e32 v11, 0, v15, vcc_lo
.LBB2_2421:                             ;   in Loop: Header=BB2_2190 Depth=2
	s_or_b32 exec_lo, exec_lo, s26
.LBB2_2422:                             ;   in Loop: Header=BB2_2190 Depth=2
	s_delay_alu instid0(SALU_CYCLE_1) | instskip(NEXT) | instid1(SALU_CYCLE_1)
	s_or_b32 exec_lo, exec_lo, s25
	s_and_b32 vcc_lo, exec_lo, s24
	s_cbranch_vccz .LBB2_2432
; %bb.2423:                             ;   in Loop: Header=BB2_2190 Depth=2
	v_and_b32_e32 v101, 0xff, v16
	s_mov_b32 s10, 0
	s_mov_b32 s26, exec_lo
                                        ; implicit-def: $sgpr25
	s_delay_alu instid0(VALU_DEP_1)
	v_cmpx_lt_i16_e32 0x7f, v101
	s_xor_b32 s26, exec_lo, s26
	s_cbranch_execnz .LBB2_2780
; %bb.2424:                             ;   in Loop: Header=BB2_2190 Depth=2
	s_or_saveexec_b32 s26, s26
	v_mov_b32_e32 v15, s25
	s_xor_b32 exec_lo, exec_lo, s26
	s_cbranch_execnz .LBB2_2783
.LBB2_2425:                             ;   in Loop: Header=BB2_2190 Depth=2
	s_or_b32 exec_lo, exec_lo, s26
	s_and_saveexec_b32 s25, s10
	s_cbranch_execz .LBB2_2427
.LBB2_2426:                             ;   in Loop: Header=BB2_2190 Depth=2
	v_and_b32_e32 v15, 7, v16
	v_bfe_u32 v103, v16, 3, 4
	s_delay_alu instid0(VALU_DEP_2) | instskip(NEXT) | instid1(VALU_DEP_2)
	v_clz_i32_u32_e32 v101, v15
	v_cmp_eq_u32_e32 vcc_lo, 0, v103
	s_delay_alu instid0(VALU_DEP_2) | instskip(NEXT) | instid1(VALU_DEP_1)
	v_min_u32_e32 v101, 32, v101
	v_subrev_nc_u32_e32 v102, 28, v101
	v_sub_nc_u32_e32 v101, 29, v101
	s_delay_alu instid0(VALU_DEP_1) | instskip(NEXT) | instid1(VALU_DEP_1)
	v_dual_cndmask_b32 v101, v103, v101 :: v_dual_lshlrev_b32 v102, v102, v16
	v_and_b32_e32 v102, 7, v102
	v_lshlrev_b32_e32 v112, 24, v16
	s_delay_alu instid0(VALU_DEP_3) | instskip(NEXT) | instid1(VALU_DEP_2)
	v_lshl_add_u32 v101, v101, 23, 0x3b800000
	v_dual_cndmask_b32 v15, v15, v102 :: v_dual_and_b32 v102, 0x80000000, v112
	s_delay_alu instid0(VALU_DEP_1) | instskip(NEXT) | instid1(VALU_DEP_1)
	v_lshlrev_b32_e32 v15, 20, v15
	v_or3_b32 v15, v102, v101, v15
.LBB2_2427:                             ;   in Loop: Header=BB2_2190 Depth=2
	s_or_b32 exec_lo, exec_lo, s25
	v_and_b32_e32 v102, 0xff, v12
	s_mov_b32 s10, 0
	s_mov_b32 s26, exec_lo
                                        ; implicit-def: $sgpr25
	s_delay_alu instid0(VALU_DEP_1)
	v_cmpx_lt_i16_e32 0x7f, v102
	s_xor_b32 s26, exec_lo, s26
	s_cbranch_execnz .LBB2_2784
; %bb.2428:                             ;   in Loop: Header=BB2_2190 Depth=2
	s_or_saveexec_b32 s26, s26
	v_mov_b32_e32 v101, s25
	s_xor_b32 exec_lo, exec_lo, s26
	s_cbranch_execnz .LBB2_2787
.LBB2_2429:                             ;   in Loop: Header=BB2_2190 Depth=2
	s_or_b32 exec_lo, exec_lo, s26
	s_and_saveexec_b32 s25, s10
	s_cbranch_execz .LBB2_2431
.LBB2_2430:                             ;   in Loop: Header=BB2_2190 Depth=2
	v_bfe_u32 v112, v12, 3, 4
	v_lshlrev_b32_e32 v113, 24, v12
	s_delay_alu instid0(VALU_DEP_2) | instskip(SKIP_1) | instid1(VALU_DEP_1)
	v_cmp_eq_u32_e32 vcc_lo, 0, v112
	v_and_b32_e32 v101, 7, v12
	v_clz_i32_u32_e32 v102, v101
	s_delay_alu instid0(VALU_DEP_1) | instskip(NEXT) | instid1(VALU_DEP_1)
	v_min_u32_e32 v102, 32, v102
	v_subrev_nc_u32_e32 v103, 28, v102
	v_sub_nc_u32_e32 v102, 29, v102
	s_delay_alu instid0(VALU_DEP_1) | instskip(NEXT) | instid1(VALU_DEP_1)
	v_dual_cndmask_b32 v102, v112, v102 :: v_dual_lshlrev_b32 v103, v103, v12
	v_and_b32_e32 v103, 7, v103
	s_delay_alu instid0(VALU_DEP_2) | instskip(NEXT) | instid1(VALU_DEP_2)
	v_lshl_add_u32 v102, v102, 23, 0x3b800000
	v_cndmask_b32_e32 v101, v101, v103, vcc_lo
	v_and_b32_e32 v103, 0x80000000, v113
	s_delay_alu instid0(VALU_DEP_2) | instskip(NEXT) | instid1(VALU_DEP_1)
	v_lshlrev_b32_e32 v101, 20, v101
	v_or3_b32 v101, v103, v102, v101
.LBB2_2431:                             ;   in Loop: Header=BB2_2190 Depth=2
	s_or_b32 exec_lo, exec_lo, s25
	s_delay_alu instid0(VALU_DEP_1) | instskip(SKIP_2) | instid1(VALU_DEP_1)
	v_max_f32_e32 v101, v101, v101
	v_max_f32_e32 v15, v15, v15
	s_mov_b32 s10, 0
	v_max_f32_e32 v101, v15, v101
	s_branch .LBB2_2433
.LBB2_2432:                             ;   in Loop: Header=BB2_2190 Depth=2
	s_mov_b32 s10, -1
                                        ; implicit-def: $vgpr101
.LBB2_2433:                             ;   in Loop: Header=BB2_2190 Depth=2
	s_delay_alu instid0(SALU_CYCLE_1)
	s_and_b32 vcc_lo, exec_lo, s10
	s_cbranch_vccz .LBB2_2443
; %bb.2434:                             ;   in Loop: Header=BB2_2190 Depth=2
	v_and_b32_e32 v101, 0xff, v16
	s_mov_b32 s10, 0
	s_mov_b32 s26, exec_lo
                                        ; implicit-def: $sgpr25
	s_delay_alu instid0(VALU_DEP_1)
	v_cmpx_lt_i16_e32 0x7f, v101
	s_xor_b32 s26, exec_lo, s26
	s_cbranch_execnz .LBB2_2788
; %bb.2435:                             ;   in Loop: Header=BB2_2190 Depth=2
	s_or_saveexec_b32 s26, s26
	v_mov_b32_e32 v15, s25
	s_xor_b32 exec_lo, exec_lo, s26
	s_cbranch_execnz .LBB2_2791
.LBB2_2436:                             ;   in Loop: Header=BB2_2190 Depth=2
	s_or_b32 exec_lo, exec_lo, s26
	s_and_saveexec_b32 s25, s10
	s_cbranch_execz .LBB2_2438
.LBB2_2437:                             ;   in Loop: Header=BB2_2190 Depth=2
	v_and_b32_e32 v15, 7, v16
	v_bfe_u32 v103, v16, 3, 4
	s_delay_alu instid0(VALU_DEP_2) | instskip(NEXT) | instid1(VALU_DEP_2)
	v_clz_i32_u32_e32 v101, v15
	v_cmp_eq_u32_e32 vcc_lo, 0, v103
	s_delay_alu instid0(VALU_DEP_2) | instskip(NEXT) | instid1(VALU_DEP_1)
	v_min_u32_e32 v101, 32, v101
	v_subrev_nc_u32_e32 v102, 28, v101
	v_sub_nc_u32_e32 v101, 29, v101
	s_delay_alu instid0(VALU_DEP_1) | instskip(NEXT) | instid1(VALU_DEP_1)
	v_dual_cndmask_b32 v101, v103, v101 :: v_dual_lshlrev_b32 v102, v102, v16
	v_and_b32_e32 v102, 7, v102
	v_lshlrev_b32_e32 v112, 24, v16
	s_delay_alu instid0(VALU_DEP_3) | instskip(NEXT) | instid1(VALU_DEP_2)
	v_lshl_add_u32 v101, v101, 23, 0x3b800000
	v_dual_cndmask_b32 v15, v15, v102 :: v_dual_and_b32 v102, 0x80000000, v112
	s_delay_alu instid0(VALU_DEP_1) | instskip(NEXT) | instid1(VALU_DEP_1)
	v_lshlrev_b32_e32 v15, 20, v15
	v_or3_b32 v15, v102, v101, v15
.LBB2_2438:                             ;   in Loop: Header=BB2_2190 Depth=2
	s_or_b32 exec_lo, exec_lo, s25
	v_and_b32_e32 v102, 0xff, v12
	s_mov_b32 s10, 0
	s_mov_b32 s26, exec_lo
                                        ; implicit-def: $sgpr25
	s_delay_alu instid0(VALU_DEP_1)
	v_cmpx_lt_i16_e32 0x7f, v102
	s_xor_b32 s26, exec_lo, s26
	s_cbranch_execnz .LBB2_2792
; %bb.2439:                             ;   in Loop: Header=BB2_2190 Depth=2
	s_or_saveexec_b32 s26, s26
	v_mov_b32_e32 v101, s25
	s_xor_b32 exec_lo, exec_lo, s26
	s_cbranch_execnz .LBB2_2795
.LBB2_2440:                             ;   in Loop: Header=BB2_2190 Depth=2
	s_or_b32 exec_lo, exec_lo, s26
	s_and_saveexec_b32 s25, s10
	s_cbranch_execz .LBB2_2442
.LBB2_2441:                             ;   in Loop: Header=BB2_2190 Depth=2
	v_bfe_u32 v112, v12, 3, 4
	v_lshlrev_b32_e32 v113, 24, v12
	s_delay_alu instid0(VALU_DEP_2) | instskip(SKIP_1) | instid1(VALU_DEP_1)
	v_cmp_eq_u32_e32 vcc_lo, 0, v112
	v_and_b32_e32 v101, 7, v12
	v_clz_i32_u32_e32 v102, v101
	s_delay_alu instid0(VALU_DEP_1) | instskip(NEXT) | instid1(VALU_DEP_1)
	v_min_u32_e32 v102, 32, v102
	v_subrev_nc_u32_e32 v103, 28, v102
	v_sub_nc_u32_e32 v102, 29, v102
	s_delay_alu instid0(VALU_DEP_1) | instskip(NEXT) | instid1(VALU_DEP_1)
	v_dual_cndmask_b32 v102, v112, v102 :: v_dual_lshlrev_b32 v103, v103, v12
	v_and_b32_e32 v103, 7, v103
	s_delay_alu instid0(VALU_DEP_2) | instskip(NEXT) | instid1(VALU_DEP_2)
	v_lshl_add_u32 v102, v102, 23, 0x3b800000
	v_cndmask_b32_e32 v101, v101, v103, vcc_lo
	v_and_b32_e32 v103, 0x80000000, v113
	s_delay_alu instid0(VALU_DEP_2) | instskip(NEXT) | instid1(VALU_DEP_1)
	v_lshlrev_b32_e32 v101, 20, v101
	v_or3_b32 v101, v103, v102, v101
.LBB2_2442:                             ;   in Loop: Header=BB2_2190 Depth=2
	s_or_b32 exec_lo, exec_lo, s25
	s_delay_alu instid0(VALU_DEP_1) | instskip(SKIP_1) | instid1(VALU_DEP_1)
	v_max_f32_e32 v101, v101, v101
	v_max_f32_e32 v15, v15, v15
	v_min_f32_e32 v101, v15, v101
.LBB2_2443:                             ;   in Loop: Header=BB2_2190 Depth=2
	s_delay_alu instid0(VALU_DEP_1) | instskip(NEXT) | instid1(VALU_DEP_1)
	v_and_b32_e32 v15, 0x7f800000, v101
	v_cmp_ne_u32_e32 vcc_lo, 0x7f800000, v15
	v_mov_b32_e32 v15, 0x80
	s_and_saveexec_b32 s25, vcc_lo
	s_cbranch_execz .LBB2_2451
; %bb.2444:                             ;   in Loop: Header=BB2_2190 Depth=2
	v_mov_b32_e32 v15, 0
	s_mov_b32 s26, exec_lo
	v_cmpx_ne_u32_e32 0, v101
	s_cbranch_execz .LBB2_2450
; %bb.2445:                             ;   in Loop: Header=BB2_2190 Depth=2
	v_bfe_u32 v15, v101, 23, 8
	s_delay_alu instid0(VALU_DEP_1) | instskip(SKIP_1) | instid1(VALU_DEP_2)
	v_sub_nc_u32_e32 v103, 0x78, v15
	v_cmp_gt_u32_e32 vcc_lo, 0x79, v15
	v_dual_cndmask_b32 v103, 0, v103 :: v_dual_and_b32 v102, 0x7fffff, v101
	s_delay_alu instid0(VALU_DEP_1) | instskip(SKIP_2) | instid1(VALU_DEP_4)
	v_or_b32_e32 v112, 0x800000, v102
	v_cmp_eq_u32_e32 vcc_lo, 0, v15
	v_add_nc_u32_e32 v15, 0xffffff89, v15
	v_cndmask_b32_e64 v103, v103, 0x77, vcc_lo
	s_delay_alu instid0(VALU_DEP_4) | instskip(NEXT) | instid1(VALU_DEP_3)
	v_cndmask_b32_e32 v102, v112, v102, vcc_lo
	v_cndmask_b32_e64 v15, v15, 0xffffff8a, vcc_lo
	s_delay_alu instid0(VALU_DEP_3) | instskip(NEXT) | instid1(VALU_DEP_3)
	v_lshl_add_u32 v112, 0x100000, v103, -1
	v_lshrrev_b32_e32 v113, v103, v102
	v_lshlrev_b32_e64 v115, v103, 0x80000
	s_delay_alu instid0(VALU_DEP_4) | instskip(NEXT) | instid1(VALU_DEP_4)
	v_add_nc_u32_e32 v103, v103, v15
	v_and_b32_e32 v102, v112, v102
	s_delay_alu instid0(VALU_DEP_4) | instskip(NEXT) | instid1(VALU_DEP_2)
	v_bfe_u32 v114, v113, 20, 1
	v_cmp_eq_u32_e64 s10, v102, v115
	s_delay_alu instid0(VALU_DEP_2) | instskip(NEXT) | instid1(VALU_DEP_1)
	v_add_nc_u32_e32 v112, -1, v114
	v_cndmask_b32_e64 v102, 0, v112, s10
	v_lshrrev_b32_e32 v112, 23, v113
	s_mov_b32 s10, exec_lo
	s_delay_alu instid0(VALU_DEP_2) | instskip(NEXT) | instid1(VALU_DEP_2)
	v_add_nc_u32_e32 v102, v102, v113
	v_xor_b32_e32 v112, 1, v112
	s_delay_alu instid0(VALU_DEP_2) | instskip(NEXT) | instid1(VALU_DEP_1)
	v_and_b32_e32 v15, 0xfffff, v102
	v_add_nc_u32_e32 v102, v15, v113
                                        ; implicit-def: $vgpr15
	s_delay_alu instid0(VALU_DEP_3)
	v_cmpx_ne_u32_e64 v103, v112
	s_xor_b32 s10, exec_lo, s10
; %bb.2446:                             ;   in Loop: Header=BB2_2190 Depth=2
	s_delay_alu instid0(VALU_DEP_2) | instskip(SKIP_2) | instid1(VALU_DEP_2)
	v_cmp_lt_u32_e32 vcc_lo, 0xffffff, v102
	v_sub_nc_u32_e32 v15, v103, v112
	v_cndmask_b32_e64 v103, 0, 1, vcc_lo
	v_add_co_ci_u32_e32 v15, vcc_lo, 0, v15, vcc_lo
	s_delay_alu instid0(VALU_DEP_2)
	v_lshrrev_b32_e32 v102, v103, v102
; %bb.2447:                             ;   in Loop: Header=BB2_2190 Depth=2
	s_and_not1_saveexec_b32 s10, s10
; %bb.2448:                             ;   in Loop: Header=BB2_2190 Depth=2
	s_delay_alu instid0(VALU_DEP_1)
	v_bfe_u32 v15, v102, 23, 1
; %bb.2449:                             ;   in Loop: Header=BB2_2190 Depth=2
	s_or_b32 exec_lo, exec_lo, s10
	v_lshrrev_b32_e32 v102, 20, v102
	s_delay_alu instid0(VALU_DEP_2) | instskip(SKIP_2) | instid1(VALU_DEP_2)
	v_cmp_gt_i32_e32 vcc_lo, 16, v15
	v_lshrrev_b32_e32 v101, 24, v101
	v_min_i32_e32 v103, 15, v15
	v_dual_cndmask_b32 v102, 7, v102 :: v_dual_and_b32 v101, 0x80, v101
	s_delay_alu instid0(VALU_DEP_2) | instskip(NEXT) | instid1(VALU_DEP_2)
	v_lshlrev_b32_e32 v103, 3, v103
	v_or_b32_e32 v15, v15, v102
	s_delay_alu instid0(VALU_DEP_1) | instskip(SKIP_1) | instid1(VALU_DEP_1)
	v_cmp_ne_u32_e32 vcc_lo, 0, v15
	v_and_b32_e32 v112, 7, v102
	v_or3_b32 v101, v103, v101, v112
	s_delay_alu instid0(VALU_DEP_1)
	v_cndmask_b32_e32 v15, 0, v101, vcc_lo
.LBB2_2450:                             ;   in Loop: Header=BB2_2190 Depth=2
	s_or_b32 exec_lo, exec_lo, s26
.LBB2_2451:                             ;   in Loop: Header=BB2_2190 Depth=2
	s_delay_alu instid0(SALU_CYCLE_1)
	s_or_b32 exec_lo, exec_lo, s25
	v_lshrrev_b16 v102, 8, v16
	v_lshrrev_b16 v101, 8, v12
	s_and_b32 vcc_lo, exec_lo, s24
	s_cbranch_vccz .LBB2_2461
; %bb.2452:                             ;   in Loop: Header=BB2_2190 Depth=2
	s_mov_b32 s10, 0
	s_mov_b32 s26, exec_lo
                                        ; implicit-def: $sgpr25
	v_cmpx_lt_i16_e32 0x7f, v102
	s_xor_b32 s26, exec_lo, s26
	s_cbranch_execnz .LBB2_2796
; %bb.2453:                             ;   in Loop: Header=BB2_2190 Depth=2
	s_or_saveexec_b32 s26, s26
	v_mov_b32_e32 v103, s25
	s_xor_b32 exec_lo, exec_lo, s26
	s_cbranch_execnz .LBB2_2799
.LBB2_2454:                             ;   in Loop: Header=BB2_2190 Depth=2
	s_or_b32 exec_lo, exec_lo, s26
	s_and_saveexec_b32 s25, s10
	s_cbranch_execz .LBB2_2456
.LBB2_2455:                             ;   in Loop: Header=BB2_2190 Depth=2
	v_and_b32_e32 v103, 0xffff, v102
	s_delay_alu instid0(VALU_DEP_1) | instskip(NEXT) | instid1(VALU_DEP_1)
	v_and_b32_e32 v112, 7, v103
	v_clz_i32_u32_e32 v113, v112
	s_delay_alu instid0(VALU_DEP_1) | instskip(NEXT) | instid1(VALU_DEP_1)
	v_min_u32_e32 v113, 32, v113
	v_subrev_nc_u32_e32 v114, 28, v113
	v_sub_nc_u32_e32 v113, 29, v113
	s_delay_alu instid0(VALU_DEP_2) | instskip(SKIP_1) | instid1(VALU_DEP_2)
	v_lshlrev_b32_e32 v114, v114, v103
	v_bfe_u32 v103, v103, 3, 4
	v_and_b32_e32 v114, 7, v114
	s_delay_alu instid0(VALU_DEP_2) | instskip(SKIP_1) | instid1(VALU_DEP_3)
	v_cmp_eq_u32_e32 vcc_lo, 0, v103
	v_cndmask_b32_e32 v103, v103, v113, vcc_lo
	v_dual_cndmask_b32 v112, v112, v114 :: v_dual_lshlrev_b32 v115, 16, v16
	s_delay_alu instid0(VALU_DEP_2) | instskip(NEXT) | instid1(VALU_DEP_2)
	v_lshl_add_u32 v103, v103, 23, 0x3b800000
	v_and_b32_e32 v113, 0x80000000, v115
	s_delay_alu instid0(VALU_DEP_3) | instskip(NEXT) | instid1(VALU_DEP_1)
	v_lshlrev_b32_e32 v112, 20, v112
	v_or3_b32 v103, v113, v103, v112
.LBB2_2456:                             ;   in Loop: Header=BB2_2190 Depth=2
	s_or_b32 exec_lo, exec_lo, s25
	s_mov_b32 s10, 0
	s_mov_b32 s26, exec_lo
                                        ; implicit-def: $sgpr25
	v_cmpx_lt_i16_e32 0x7f, v101
	s_xor_b32 s26, exec_lo, s26
	s_cbranch_execnz .LBB2_2800
; %bb.2457:                             ;   in Loop: Header=BB2_2190 Depth=2
	s_or_saveexec_b32 s26, s26
	v_mov_b32_e32 v112, s25
	s_xor_b32 exec_lo, exec_lo, s26
	s_cbranch_execnz .LBB2_2803
.LBB2_2458:                             ;   in Loop: Header=BB2_2190 Depth=2
	s_or_b32 exec_lo, exec_lo, s26
	s_and_saveexec_b32 s25, s10
	s_cbranch_execz .LBB2_2460
.LBB2_2459:                             ;   in Loop: Header=BB2_2190 Depth=2
	v_and_b32_e32 v112, 0xffff, v101
	v_lshlrev_b32_e32 v116, 16, v12
	s_delay_alu instid0(VALU_DEP_2) | instskip(NEXT) | instid1(VALU_DEP_1)
	v_and_b32_e32 v113, 7, v112
	v_clz_i32_u32_e32 v114, v113
	s_delay_alu instid0(VALU_DEP_1) | instskip(NEXT) | instid1(VALU_DEP_1)
	v_min_u32_e32 v114, 32, v114
	v_subrev_nc_u32_e32 v115, 28, v114
	v_sub_nc_u32_e32 v114, 29, v114
	s_delay_alu instid0(VALU_DEP_2) | instskip(SKIP_1) | instid1(VALU_DEP_2)
	v_lshlrev_b32_e32 v115, v115, v112
	v_bfe_u32 v112, v112, 3, 4
	v_and_b32_e32 v115, 7, v115
	s_delay_alu instid0(VALU_DEP_2) | instskip(NEXT) | instid1(VALU_DEP_2)
	v_cmp_eq_u32_e32 vcc_lo, 0, v112
	v_dual_cndmask_b32 v112, v112, v114 :: v_dual_cndmask_b32 v113, v113, v115
	v_and_b32_e32 v114, 0x80000000, v116
	s_delay_alu instid0(VALU_DEP_2) | instskip(NEXT) | instid1(VALU_DEP_3)
	v_lshl_add_u32 v112, v112, 23, 0x3b800000
	v_lshlrev_b32_e32 v113, 20, v113
	s_delay_alu instid0(VALU_DEP_1)
	v_or3_b32 v112, v114, v112, v113
.LBB2_2460:                             ;   in Loop: Header=BB2_2190 Depth=2
	s_or_b32 exec_lo, exec_lo, s25
	s_delay_alu instid0(VALU_DEP_1) | instskip(SKIP_1) | instid1(VALU_DEP_1)
	v_dual_max_f32 v112, v112, v112 :: v_dual_max_f32 v103, v103, v103
	s_mov_b32 s10, 0
	v_max_f32_e32 v103, v103, v112
	s_branch .LBB2_2462
.LBB2_2461:                             ;   in Loop: Header=BB2_2190 Depth=2
	s_mov_b32 s10, -1
                                        ; implicit-def: $vgpr103
.LBB2_2462:                             ;   in Loop: Header=BB2_2190 Depth=2
	s_delay_alu instid0(SALU_CYCLE_1)
	s_and_b32 vcc_lo, exec_lo, s10
	s_cbranch_vccz .LBB2_2472
; %bb.2463:                             ;   in Loop: Header=BB2_2190 Depth=2
	s_mov_b32 s10, 0
	s_mov_b32 s26, exec_lo
                                        ; implicit-def: $sgpr25
	v_cmpx_lt_i16_e32 0x7f, v102
	s_xor_b32 s26, exec_lo, s26
	s_cbranch_execnz .LBB2_2804
; %bb.2464:                             ;   in Loop: Header=BB2_2190 Depth=2
	s_or_saveexec_b32 s26, s26
	v_mov_b32_e32 v103, s25
	s_xor_b32 exec_lo, exec_lo, s26
	s_cbranch_execnz .LBB2_2807
.LBB2_2465:                             ;   in Loop: Header=BB2_2190 Depth=2
	s_or_b32 exec_lo, exec_lo, s26
	s_and_saveexec_b32 s25, s10
	s_cbranch_execz .LBB2_2467
.LBB2_2466:                             ;   in Loop: Header=BB2_2190 Depth=2
	v_and_b32_e32 v102, 0xffff, v102
	v_lshlrev_b32_e32 v114, 16, v16
	s_delay_alu instid0(VALU_DEP_2) | instskip(NEXT) | instid1(VALU_DEP_1)
	v_and_b32_e32 v103, 7, v102
	v_clz_i32_u32_e32 v112, v103
	s_delay_alu instid0(VALU_DEP_1) | instskip(NEXT) | instid1(VALU_DEP_1)
	v_min_u32_e32 v112, 32, v112
	v_subrev_nc_u32_e32 v113, 28, v112
	v_sub_nc_u32_e32 v112, 29, v112
	s_delay_alu instid0(VALU_DEP_2) | instskip(SKIP_1) | instid1(VALU_DEP_2)
	v_lshlrev_b32_e32 v113, v113, v102
	v_bfe_u32 v102, v102, 3, 4
	v_and_b32_e32 v113, 7, v113
	s_delay_alu instid0(VALU_DEP_2) | instskip(NEXT) | instid1(VALU_DEP_2)
	v_cmp_eq_u32_e32 vcc_lo, 0, v102
	v_dual_cndmask_b32 v102, v102, v112 :: v_dual_cndmask_b32 v103, v103, v113
	v_and_b32_e32 v112, 0x80000000, v114
	s_delay_alu instid0(VALU_DEP_2) | instskip(NEXT) | instid1(VALU_DEP_3)
	v_lshl_add_u32 v102, v102, 23, 0x3b800000
	v_lshlrev_b32_e32 v103, 20, v103
	s_delay_alu instid0(VALU_DEP_1)
	v_or3_b32 v103, v112, v102, v103
.LBB2_2467:                             ;   in Loop: Header=BB2_2190 Depth=2
	s_or_b32 exec_lo, exec_lo, s25
	s_mov_b32 s10, 0
	s_mov_b32 s26, exec_lo
                                        ; implicit-def: $sgpr25
	v_cmpx_lt_i16_e32 0x7f, v101
	s_xor_b32 s26, exec_lo, s26
	s_cbranch_execnz .LBB2_2808
; %bb.2468:                             ;   in Loop: Header=BB2_2190 Depth=2
	s_or_saveexec_b32 s26, s26
	v_mov_b32_e32 v102, s25
	s_xor_b32 exec_lo, exec_lo, s26
	s_cbranch_execnz .LBB2_2811
.LBB2_2469:                             ;   in Loop: Header=BB2_2190 Depth=2
	s_or_b32 exec_lo, exec_lo, s26
	s_and_saveexec_b32 s25, s10
	s_cbranch_execz .LBB2_2471
.LBB2_2470:                             ;   in Loop: Header=BB2_2190 Depth=2
	v_and_b32_e32 v101, 0xffff, v101
	v_lshlrev_b32_e32 v114, 16, v12
	s_delay_alu instid0(VALU_DEP_2) | instskip(NEXT) | instid1(VALU_DEP_1)
	v_and_b32_e32 v102, 7, v101
	v_clz_i32_u32_e32 v112, v102
	s_delay_alu instid0(VALU_DEP_1) | instskip(NEXT) | instid1(VALU_DEP_1)
	v_min_u32_e32 v112, 32, v112
	v_subrev_nc_u32_e32 v113, 28, v112
	v_sub_nc_u32_e32 v112, 29, v112
	s_delay_alu instid0(VALU_DEP_2) | instskip(SKIP_1) | instid1(VALU_DEP_2)
	v_lshlrev_b32_e32 v113, v113, v101
	v_bfe_u32 v101, v101, 3, 4
	v_and_b32_e32 v113, 7, v113
	s_delay_alu instid0(VALU_DEP_2) | instskip(NEXT) | instid1(VALU_DEP_2)
	v_cmp_eq_u32_e32 vcc_lo, 0, v101
	v_dual_cndmask_b32 v101, v101, v112 :: v_dual_cndmask_b32 v102, v102, v113
	v_and_b32_e32 v112, 0x80000000, v114
	s_delay_alu instid0(VALU_DEP_2) | instskip(NEXT) | instid1(VALU_DEP_3)
	v_lshl_add_u32 v101, v101, 23, 0x3b800000
	v_lshlrev_b32_e32 v102, 20, v102
	s_delay_alu instid0(VALU_DEP_1)
	v_or3_b32 v102, v112, v101, v102
.LBB2_2471:                             ;   in Loop: Header=BB2_2190 Depth=2
	s_or_b32 exec_lo, exec_lo, s25
	s_delay_alu instid0(VALU_DEP_1) | instskip(NEXT) | instid1(VALU_DEP_1)
	v_dual_max_f32 v101, v102, v102 :: v_dual_max_f32 v102, v103, v103
	v_min_f32_e32 v103, v102, v101
.LBB2_2472:                             ;   in Loop: Header=BB2_2190 Depth=2
	s_delay_alu instid0(VALU_DEP_1) | instskip(NEXT) | instid1(VALU_DEP_1)
	v_and_b32_e32 v101, 0x7f800000, v103
	v_cmp_ne_u32_e32 vcc_lo, 0x7f800000, v101
	v_mov_b32_e32 v101, 0x80
	s_and_saveexec_b32 s25, vcc_lo
	s_cbranch_execz .LBB2_2480
; %bb.2473:                             ;   in Loop: Header=BB2_2190 Depth=2
	v_mov_b32_e32 v101, 0
	s_mov_b32 s26, exec_lo
	v_cmpx_ne_u32_e32 0, v103
	s_cbranch_execz .LBB2_2479
; %bb.2474:                             ;   in Loop: Header=BB2_2190 Depth=2
	v_bfe_u32 v101, v103, 23, 8
	v_and_b32_e32 v102, 0x7fffff, v103
	s_delay_alu instid0(VALU_DEP_2) | instskip(SKIP_1) | instid1(VALU_DEP_3)
	v_sub_nc_u32_e32 v112, 0x78, v101
	v_cmp_gt_u32_e32 vcc_lo, 0x79, v101
	v_or_b32_e32 v113, 0x800000, v102
	s_delay_alu instid0(VALU_DEP_3) | instskip(SKIP_2) | instid1(VALU_DEP_3)
	v_cndmask_b32_e32 v112, 0, v112, vcc_lo
	v_cmp_eq_u32_e32 vcc_lo, 0, v101
	v_add_nc_u32_e32 v101, 0xffffff89, v101
	v_cndmask_b32_e64 v112, v112, 0x77, vcc_lo
	v_cndmask_b32_e32 v102, v113, v102, vcc_lo
	s_delay_alu instid0(VALU_DEP_3) | instskip(NEXT) | instid1(VALU_DEP_3)
	v_cndmask_b32_e64 v101, v101, 0xffffff8a, vcc_lo
	v_lshl_add_u32 v113, 0x100000, v112, -1
	s_delay_alu instid0(VALU_DEP_3) | instskip(SKIP_1) | instid1(VALU_DEP_4)
	v_lshrrev_b32_e32 v114, v112, v102
	v_lshlrev_b32_e64 v116, v112, 0x80000
	v_add_nc_u32_e32 v112, v112, v101
	s_delay_alu instid0(VALU_DEP_4) | instskip(NEXT) | instid1(VALU_DEP_4)
	v_and_b32_e32 v102, v113, v102
	v_bfe_u32 v115, v114, 20, 1
	s_delay_alu instid0(VALU_DEP_2) | instskip(NEXT) | instid1(VALU_DEP_2)
	v_cmp_eq_u32_e64 s10, v102, v116
	v_add_nc_u32_e32 v113, -1, v115
	s_delay_alu instid0(VALU_DEP_1) | instskip(SKIP_2) | instid1(VALU_DEP_2)
	v_cndmask_b32_e64 v102, 0, v113, s10
	v_lshrrev_b32_e32 v113, 23, v114
	s_mov_b32 s10, exec_lo
	v_add_nc_u32_e32 v102, v102, v114
	s_delay_alu instid0(VALU_DEP_2) | instskip(NEXT) | instid1(VALU_DEP_2)
	v_xor_b32_e32 v113, 1, v113
	v_and_b32_e32 v101, 0xfffff, v102
	s_delay_alu instid0(VALU_DEP_1) | instskip(NEXT) | instid1(VALU_DEP_3)
	v_add_nc_u32_e32 v102, v101, v114
                                        ; implicit-def: $vgpr101
	v_cmpx_ne_u32_e64 v112, v113
	s_xor_b32 s10, exec_lo, s10
; %bb.2475:                             ;   in Loop: Header=BB2_2190 Depth=2
	s_delay_alu instid0(VALU_DEP_2) | instskip(SKIP_2) | instid1(VALU_DEP_2)
	v_cmp_lt_u32_e32 vcc_lo, 0xffffff, v102
	v_sub_nc_u32_e32 v101, v112, v113
	v_cndmask_b32_e64 v112, 0, 1, vcc_lo
	v_add_co_ci_u32_e32 v101, vcc_lo, 0, v101, vcc_lo
	s_delay_alu instid0(VALU_DEP_2)
	v_lshrrev_b32_e32 v102, v112, v102
; %bb.2476:                             ;   in Loop: Header=BB2_2190 Depth=2
	s_and_not1_saveexec_b32 s10, s10
; %bb.2477:                             ;   in Loop: Header=BB2_2190 Depth=2
	s_delay_alu instid0(VALU_DEP_1)
	v_bfe_u32 v101, v102, 23, 1
; %bb.2478:                             ;   in Loop: Header=BB2_2190 Depth=2
	s_or_b32 exec_lo, exec_lo, s10
	v_lshrrev_b32_e32 v102, 20, v102
	s_delay_alu instid0(VALU_DEP_2) | instskip(SKIP_2) | instid1(VALU_DEP_2)
	v_cmp_gt_i32_e32 vcc_lo, 16, v101
	v_lshrrev_b32_e32 v103, 24, v103
	v_min_i32_e32 v112, 15, v101
	v_dual_cndmask_b32 v102, 7, v102 :: v_dual_and_b32 v103, 0x80, v103
	s_delay_alu instid0(VALU_DEP_1) | instskip(SKIP_1) | instid1(VALU_DEP_2)
	v_or_b32_e32 v101, v101, v102
	v_and_b32_e32 v113, 7, v102
	v_cmp_ne_u32_e32 vcc_lo, 0, v101
	v_lshlrev_b32_e32 v112, 3, v112
	s_delay_alu instid0(VALU_DEP_1) | instskip(NEXT) | instid1(VALU_DEP_1)
	v_or3_b32 v102, v112, v103, v113
	v_cndmask_b32_e32 v101, 0, v102, vcc_lo
.LBB2_2479:                             ;   in Loop: Header=BB2_2190 Depth=2
	s_or_b32 exec_lo, exec_lo, s26
.LBB2_2480:                             ;   in Loop: Header=BB2_2190 Depth=2
	s_delay_alu instid0(SALU_CYCLE_1)
	s_or_b32 exec_lo, exec_lo, s25
	v_lshrrev_b32_e32 v103, 16, v16
	v_lshrrev_b32_e32 v102, 16, v12
	s_and_b32 vcc_lo, exec_lo, s24
	s_cbranch_vccz .LBB2_2490
; %bb.2481:                             ;   in Loop: Header=BB2_2190 Depth=2
	s_delay_alu instid0(VALU_DEP_2) | instskip(SKIP_2) | instid1(VALU_DEP_1)
	v_and_b32_e32 v113, 0xff, v103
	s_mov_b32 s10, 0
	s_mov_b32 s26, exec_lo
                                        ; implicit-def: $sgpr25
	v_cmpx_lt_i16_e32 0x7f, v113
	s_xor_b32 s26, exec_lo, s26
	s_cbranch_execnz .LBB2_2812
; %bb.2482:                             ;   in Loop: Header=BB2_2190 Depth=2
	s_or_saveexec_b32 s26, s26
	v_mov_b32_e32 v112, s25
	s_xor_b32 exec_lo, exec_lo, s26
	s_cbranch_execnz .LBB2_2815
.LBB2_2483:                             ;   in Loop: Header=BB2_2190 Depth=2
	s_or_b32 exec_lo, exec_lo, s26
	s_and_saveexec_b32 s25, s10
	s_cbranch_execz .LBB2_2485
.LBB2_2484:                             ;   in Loop: Header=BB2_2190 Depth=2
	v_bfe_u32 v112, v16, 16, 3
	v_bfe_u32 v115, v16, 19, 4
	v_lshlrev_b32_e32 v116, 24, v103
	s_delay_alu instid0(VALU_DEP_3) | instskip(NEXT) | instid1(VALU_DEP_3)
	v_clz_i32_u32_e32 v113, v112
	v_cmp_eq_u32_e32 vcc_lo, 0, v115
	s_delay_alu instid0(VALU_DEP_2) | instskip(NEXT) | instid1(VALU_DEP_1)
	v_min_u32_e32 v113, 32, v113
	v_subrev_nc_u32_e32 v114, 28, v113
	v_sub_nc_u32_e32 v113, 29, v113
	s_delay_alu instid0(VALU_DEP_1) | instskip(NEXT) | instid1(VALU_DEP_1)
	v_dual_cndmask_b32 v113, v115, v113 :: v_dual_lshlrev_b32 v114, v114, v103
	v_and_b32_e32 v114, 7, v114
	s_delay_alu instid0(VALU_DEP_2) | instskip(NEXT) | instid1(VALU_DEP_2)
	v_lshl_add_u32 v113, v113, 23, 0x3b800000
	v_cndmask_b32_e32 v112, v112, v114, vcc_lo
	v_and_b32_e32 v114, 0x80000000, v116
	s_delay_alu instid0(VALU_DEP_2) | instskip(NEXT) | instid1(VALU_DEP_1)
	v_lshlrev_b32_e32 v112, 20, v112
	v_or3_b32 v112, v114, v113, v112
.LBB2_2485:                             ;   in Loop: Header=BB2_2190 Depth=2
	s_or_b32 exec_lo, exec_lo, s25
	v_and_b32_e32 v114, 0xff, v102
	s_mov_b32 s10, 0
	s_mov_b32 s26, exec_lo
                                        ; implicit-def: $sgpr25
	s_delay_alu instid0(VALU_DEP_1)
	v_cmpx_lt_i16_e32 0x7f, v114
	s_xor_b32 s26, exec_lo, s26
	s_cbranch_execnz .LBB2_2816
; %bb.2486:                             ;   in Loop: Header=BB2_2190 Depth=2
	s_or_saveexec_b32 s26, s26
	v_mov_b32_e32 v113, s25
	s_xor_b32 exec_lo, exec_lo, s26
	s_cbranch_execnz .LBB2_2819
.LBB2_2487:                             ;   in Loop: Header=BB2_2190 Depth=2
	s_or_b32 exec_lo, exec_lo, s26
	s_and_saveexec_b32 s25, s10
	s_cbranch_execz .LBB2_2489
.LBB2_2488:                             ;   in Loop: Header=BB2_2190 Depth=2
	v_bfe_u32 v113, v12, 16, 3
	v_bfe_u32 v116, v12, 19, 4
	v_lshlrev_b32_e32 v117, 24, v102
	s_delay_alu instid0(VALU_DEP_3) | instskip(NEXT) | instid1(VALU_DEP_3)
	v_clz_i32_u32_e32 v114, v113
	v_cmp_eq_u32_e32 vcc_lo, 0, v116
	s_delay_alu instid0(VALU_DEP_2) | instskip(NEXT) | instid1(VALU_DEP_1)
	v_min_u32_e32 v114, 32, v114
	v_subrev_nc_u32_e32 v115, 28, v114
	v_sub_nc_u32_e32 v114, 29, v114
	s_delay_alu instid0(VALU_DEP_2) | instskip(NEXT) | instid1(VALU_DEP_1)
	v_lshlrev_b32_e32 v115, v115, v102
	v_dual_cndmask_b32 v114, v116, v114 :: v_dual_and_b32 v115, 7, v115
	s_delay_alu instid0(VALU_DEP_1) | instskip(NEXT) | instid1(VALU_DEP_2)
	v_lshl_add_u32 v114, v114, 23, 0x3b800000
	v_cndmask_b32_e32 v113, v113, v115, vcc_lo
	v_and_b32_e32 v115, 0x80000000, v117
	s_delay_alu instid0(VALU_DEP_2) | instskip(NEXT) | instid1(VALU_DEP_1)
	v_lshlrev_b32_e32 v113, 20, v113
	v_or3_b32 v113, v115, v114, v113
.LBB2_2489:                             ;   in Loop: Header=BB2_2190 Depth=2
	s_or_b32 exec_lo, exec_lo, s25
	s_delay_alu instid0(VALU_DEP_1) | instskip(SKIP_1) | instid1(VALU_DEP_1)
	v_dual_max_f32 v113, v113, v113 :: v_dual_max_f32 v112, v112, v112
	s_mov_b32 s10, 0
	v_max_f32_e32 v112, v112, v113
	s_branch .LBB2_2491
.LBB2_2490:                             ;   in Loop: Header=BB2_2190 Depth=2
	s_mov_b32 s10, -1
                                        ; implicit-def: $vgpr112
.LBB2_2491:                             ;   in Loop: Header=BB2_2190 Depth=2
	s_delay_alu instid0(SALU_CYCLE_1)
	s_and_b32 vcc_lo, exec_lo, s10
	s_cbranch_vccz .LBB2_2501
; %bb.2492:                             ;   in Loop: Header=BB2_2190 Depth=2
	v_and_b32_e32 v113, 0xff, v103
	s_mov_b32 s10, 0
	s_mov_b32 s26, exec_lo
                                        ; implicit-def: $sgpr25
	s_delay_alu instid0(VALU_DEP_1)
	v_cmpx_lt_i16_e32 0x7f, v113
	s_xor_b32 s26, exec_lo, s26
	s_cbranch_execnz .LBB2_2820
; %bb.2493:                             ;   in Loop: Header=BB2_2190 Depth=2
	s_or_saveexec_b32 s26, s26
	v_mov_b32_e32 v112, s25
	s_xor_b32 exec_lo, exec_lo, s26
	s_cbranch_execnz .LBB2_2823
.LBB2_2494:                             ;   in Loop: Header=BB2_2190 Depth=2
	s_or_b32 exec_lo, exec_lo, s26
	s_and_saveexec_b32 s25, s10
	s_cbranch_execz .LBB2_2496
.LBB2_2495:                             ;   in Loop: Header=BB2_2190 Depth=2
	v_bfe_u32 v112, v16, 16, 3
	v_bfe_u32 v115, v16, 19, 4
	s_delay_alu instid0(VALU_DEP_2) | instskip(NEXT) | instid1(VALU_DEP_2)
	v_clz_i32_u32_e32 v113, v112
	v_cmp_eq_u32_e32 vcc_lo, 0, v115
	s_delay_alu instid0(VALU_DEP_2) | instskip(NEXT) | instid1(VALU_DEP_1)
	v_min_u32_e32 v113, 32, v113
	v_subrev_nc_u32_e32 v114, 28, v113
	v_sub_nc_u32_e32 v113, 29, v113
	s_delay_alu instid0(VALU_DEP_1) | instskip(NEXT) | instid1(VALU_DEP_1)
	v_dual_cndmask_b32 v113, v115, v113 :: v_dual_lshlrev_b32 v114, v114, v103
	v_and_b32_e32 v114, 7, v114
	v_lshlrev_b32_e32 v103, 24, v103
	s_delay_alu instid0(VALU_DEP_3) | instskip(NEXT) | instid1(VALU_DEP_2)
	v_lshl_add_u32 v113, v113, 23, 0x3b800000
	v_dual_cndmask_b32 v112, v112, v114 :: v_dual_and_b32 v103, 0x80000000, v103
	s_delay_alu instid0(VALU_DEP_1) | instskip(NEXT) | instid1(VALU_DEP_1)
	v_lshlrev_b32_e32 v112, 20, v112
	v_or3_b32 v112, v103, v113, v112
.LBB2_2496:                             ;   in Loop: Header=BB2_2190 Depth=2
	s_or_b32 exec_lo, exec_lo, s25
	v_and_b32_e32 v113, 0xff, v102
	s_mov_b32 s10, 0
	s_mov_b32 s26, exec_lo
                                        ; implicit-def: $sgpr25
	s_delay_alu instid0(VALU_DEP_1)
	v_cmpx_lt_i16_e32 0x7f, v113
	s_xor_b32 s26, exec_lo, s26
	s_cbranch_execnz .LBB2_2824
; %bb.2497:                             ;   in Loop: Header=BB2_2190 Depth=2
	s_or_saveexec_b32 s26, s26
	v_mov_b32_e32 v103, s25
	s_xor_b32 exec_lo, exec_lo, s26
	s_cbranch_execnz .LBB2_2827
.LBB2_2498:                             ;   in Loop: Header=BB2_2190 Depth=2
	s_or_b32 exec_lo, exec_lo, s26
	s_and_saveexec_b32 s25, s10
	s_cbranch_execz .LBB2_2500
.LBB2_2499:                             ;   in Loop: Header=BB2_2190 Depth=2
	v_bfe_u32 v103, v12, 16, 3
	v_bfe_u32 v115, v12, 19, 4
	s_delay_alu instid0(VALU_DEP_2) | instskip(NEXT) | instid1(VALU_DEP_2)
	v_clz_i32_u32_e32 v113, v103
	v_cmp_eq_u32_e32 vcc_lo, 0, v115
	s_delay_alu instid0(VALU_DEP_2) | instskip(NEXT) | instid1(VALU_DEP_1)
	v_min_u32_e32 v113, 32, v113
	v_subrev_nc_u32_e32 v114, 28, v113
	v_sub_nc_u32_e32 v113, 29, v113
	s_delay_alu instid0(VALU_DEP_1) | instskip(SKIP_1) | instid1(VALU_DEP_2)
	v_dual_cndmask_b32 v113, v115, v113 :: v_dual_lshlrev_b32 v114, v114, v102
	v_lshlrev_b32_e32 v102, 24, v102
	v_and_b32_e32 v114, 7, v114
	s_delay_alu instid0(VALU_DEP_3) | instskip(NEXT) | instid1(VALU_DEP_3)
	v_lshl_add_u32 v113, v113, 23, 0x3b800000
	v_and_b32_e32 v102, 0x80000000, v102
	s_delay_alu instid0(VALU_DEP_3) | instskip(NEXT) | instid1(VALU_DEP_1)
	v_cndmask_b32_e32 v103, v103, v114, vcc_lo
	v_lshlrev_b32_e32 v103, 20, v103
	s_delay_alu instid0(VALU_DEP_1)
	v_or3_b32 v103, v102, v113, v103
.LBB2_2500:                             ;   in Loop: Header=BB2_2190 Depth=2
	s_or_b32 exec_lo, exec_lo, s25
	s_delay_alu instid0(VALU_DEP_1) | instskip(NEXT) | instid1(VALU_DEP_1)
	v_dual_max_f32 v102, v103, v103 :: v_dual_max_f32 v103, v112, v112
	v_min_f32_e32 v112, v103, v102
.LBB2_2501:                             ;   in Loop: Header=BB2_2190 Depth=2
	s_delay_alu instid0(VALU_DEP_1) | instskip(NEXT) | instid1(VALU_DEP_1)
	v_and_b32_e32 v102, 0x7f800000, v112
	v_cmp_ne_u32_e32 vcc_lo, 0x7f800000, v102
	v_mov_b32_e32 v102, 0x80
	s_and_saveexec_b32 s25, vcc_lo
	s_cbranch_execz .LBB2_2509
; %bb.2502:                             ;   in Loop: Header=BB2_2190 Depth=2
	v_mov_b32_e32 v102, 0
	s_mov_b32 s26, exec_lo
	v_cmpx_ne_u32_e32 0, v112
	s_cbranch_execz .LBB2_2508
; %bb.2503:                             ;   in Loop: Header=BB2_2190 Depth=2
	v_bfe_u32 v102, v112, 23, 8
	v_and_b32_e32 v103, 0x7fffff, v112
	s_delay_alu instid0(VALU_DEP_2) | instskip(SKIP_1) | instid1(VALU_DEP_3)
	v_sub_nc_u32_e32 v113, 0x78, v102
	v_cmp_gt_u32_e32 vcc_lo, 0x79, v102
	v_or_b32_e32 v114, 0x800000, v103
	s_delay_alu instid0(VALU_DEP_3) | instskip(SKIP_2) | instid1(VALU_DEP_3)
	v_cndmask_b32_e32 v113, 0, v113, vcc_lo
	v_cmp_eq_u32_e32 vcc_lo, 0, v102
	v_add_nc_u32_e32 v102, 0xffffff89, v102
	v_cndmask_b32_e64 v113, v113, 0x77, vcc_lo
	v_cndmask_b32_e32 v103, v114, v103, vcc_lo
	s_delay_alu instid0(VALU_DEP_3) | instskip(NEXT) | instid1(VALU_DEP_3)
	v_cndmask_b32_e64 v102, v102, 0xffffff8a, vcc_lo
	v_lshl_add_u32 v114, 0x100000, v113, -1
	s_delay_alu instid0(VALU_DEP_3) | instskip(SKIP_1) | instid1(VALU_DEP_4)
	v_lshrrev_b32_e32 v115, v113, v103
	v_lshlrev_b32_e64 v117, v113, 0x80000
	v_add_nc_u32_e32 v113, v113, v102
	s_delay_alu instid0(VALU_DEP_4) | instskip(NEXT) | instid1(VALU_DEP_4)
	v_and_b32_e32 v103, v114, v103
	v_bfe_u32 v116, v115, 20, 1
	s_delay_alu instid0(VALU_DEP_2) | instskip(NEXT) | instid1(VALU_DEP_2)
	v_cmp_eq_u32_e64 s10, v103, v117
	v_add_nc_u32_e32 v114, -1, v116
	s_delay_alu instid0(VALU_DEP_1) | instskip(SKIP_2) | instid1(VALU_DEP_2)
	v_cndmask_b32_e64 v103, 0, v114, s10
	v_lshrrev_b32_e32 v114, 23, v115
	s_mov_b32 s10, exec_lo
	v_add_nc_u32_e32 v103, v103, v115
	s_delay_alu instid0(VALU_DEP_2) | instskip(NEXT) | instid1(VALU_DEP_2)
	v_xor_b32_e32 v114, 1, v114
	v_and_b32_e32 v102, 0xfffff, v103
	s_delay_alu instid0(VALU_DEP_1) | instskip(NEXT) | instid1(VALU_DEP_3)
	v_add_nc_u32_e32 v103, v102, v115
                                        ; implicit-def: $vgpr102
	v_cmpx_ne_u32_e64 v113, v114
	s_xor_b32 s10, exec_lo, s10
; %bb.2504:                             ;   in Loop: Header=BB2_2190 Depth=2
	s_delay_alu instid0(VALU_DEP_2) | instskip(SKIP_2) | instid1(VALU_DEP_2)
	v_cmp_lt_u32_e32 vcc_lo, 0xffffff, v103
	v_sub_nc_u32_e32 v102, v113, v114
	v_cndmask_b32_e64 v113, 0, 1, vcc_lo
	v_add_co_ci_u32_e32 v102, vcc_lo, 0, v102, vcc_lo
	s_delay_alu instid0(VALU_DEP_2)
	v_lshrrev_b32_e32 v103, v113, v103
; %bb.2505:                             ;   in Loop: Header=BB2_2190 Depth=2
	s_and_not1_saveexec_b32 s10, s10
; %bb.2506:                             ;   in Loop: Header=BB2_2190 Depth=2
	s_delay_alu instid0(VALU_DEP_1)
	v_bfe_u32 v102, v103, 23, 1
; %bb.2507:                             ;   in Loop: Header=BB2_2190 Depth=2
	s_or_b32 exec_lo, exec_lo, s10
	v_lshrrev_b32_e32 v103, 20, v103
	s_delay_alu instid0(VALU_DEP_2) | instskip(SKIP_2) | instid1(VALU_DEP_2)
	v_cmp_gt_i32_e32 vcc_lo, 16, v102
	v_lshrrev_b32_e32 v112, 24, v112
	v_min_i32_e32 v113, 15, v102
	v_dual_cndmask_b32 v103, 7, v103 :: v_dual_and_b32 v112, 0x80, v112
	s_delay_alu instid0(VALU_DEP_1) | instskip(SKIP_1) | instid1(VALU_DEP_2)
	v_or_b32_e32 v102, v102, v103
	v_and_b32_e32 v114, 7, v103
	v_cmp_ne_u32_e32 vcc_lo, 0, v102
	v_lshlrev_b32_e32 v113, 3, v113
	s_delay_alu instid0(VALU_DEP_1) | instskip(NEXT) | instid1(VALU_DEP_1)
	v_or3_b32 v103, v113, v112, v114
	v_cndmask_b32_e32 v102, 0, v103, vcc_lo
.LBB2_2508:                             ;   in Loop: Header=BB2_2190 Depth=2
	s_or_b32 exec_lo, exec_lo, s26
.LBB2_2509:                             ;   in Loop: Header=BB2_2190 Depth=2
	s_delay_alu instid0(SALU_CYCLE_1)
	s_or_b32 exec_lo, exec_lo, s25
	v_lshrrev_b32_e32 v112, 24, v16
	v_lshrrev_b32_e32 v103, 24, v12
	s_and_b32 vcc_lo, exec_lo, s24
	s_cbranch_vccz .LBB2_2519
; %bb.2510:                             ;   in Loop: Header=BB2_2190 Depth=2
	s_mov_b32 s10, 0
	s_mov_b32 s26, exec_lo
                                        ; implicit-def: $sgpr25
	v_cmpx_lt_i16_e32 0x7f, v112
	s_xor_b32 s26, exec_lo, s26
	s_cbranch_execnz .LBB2_2828
; %bb.2511:                             ;   in Loop: Header=BB2_2190 Depth=2
	s_or_saveexec_b32 s26, s26
	v_mov_b32_e32 v113, s25
	s_xor_b32 exec_lo, exec_lo, s26
	s_cbranch_execnz .LBB2_2831
.LBB2_2512:                             ;   in Loop: Header=BB2_2190 Depth=2
	s_or_b32 exec_lo, exec_lo, s26
	s_and_saveexec_b32 s25, s10
	s_cbranch_execz .LBB2_2514
.LBB2_2513:                             ;   in Loop: Header=BB2_2190 Depth=2
	v_bfe_u32 v113, v16, 24, 3
	v_bfe_u32 v116, v16, 27, 4
	s_delay_alu instid0(VALU_DEP_2) | instskip(NEXT) | instid1(VALU_DEP_2)
	v_clz_i32_u32_e32 v114, v113
	v_cmp_eq_u32_e32 vcc_lo, 0, v116
	s_delay_alu instid0(VALU_DEP_2) | instskip(NEXT) | instid1(VALU_DEP_1)
	v_min_u32_e32 v114, 32, v114
	v_subrev_nc_u32_e32 v115, 28, v114
	v_sub_nc_u32_e32 v114, 29, v114
	s_delay_alu instid0(VALU_DEP_1) | instskip(NEXT) | instid1(VALU_DEP_1)
	v_dual_cndmask_b32 v114, v116, v114 :: v_dual_lshlrev_b32 v115, v115, v112
	v_and_b32_e32 v115, 7, v115
	s_delay_alu instid0(VALU_DEP_2) | instskip(NEXT) | instid1(VALU_DEP_2)
	v_lshl_add_u32 v114, v114, 23, 0x3b800000
	v_cndmask_b32_e32 v113, v113, v115, vcc_lo
	v_and_b32_e32 v115, 0x80000000, v16
	s_delay_alu instid0(VALU_DEP_2) | instskip(NEXT) | instid1(VALU_DEP_1)
	v_lshlrev_b32_e32 v113, 20, v113
	v_or3_b32 v113, v115, v114, v113
.LBB2_2514:                             ;   in Loop: Header=BB2_2190 Depth=2
	s_or_b32 exec_lo, exec_lo, s25
	s_mov_b32 s10, 0
	s_mov_b32 s26, exec_lo
                                        ; implicit-def: $sgpr25
	v_cmpx_lt_i16_e32 0x7f, v103
	s_xor_b32 s26, exec_lo, s26
	s_cbranch_execnz .LBB2_2832
; %bb.2515:                             ;   in Loop: Header=BB2_2190 Depth=2
	s_or_saveexec_b32 s26, s26
	v_mov_b32_e32 v114, s25
	s_xor_b32 exec_lo, exec_lo, s26
	s_cbranch_execnz .LBB2_2835
.LBB2_2516:                             ;   in Loop: Header=BB2_2190 Depth=2
	s_or_b32 exec_lo, exec_lo, s26
	s_and_saveexec_b32 s25, s10
	s_cbranch_execz .LBB2_2518
.LBB2_2517:                             ;   in Loop: Header=BB2_2190 Depth=2
	v_bfe_u32 v114, v12, 24, 3
	v_bfe_u32 v117, v12, 27, 4
	s_delay_alu instid0(VALU_DEP_2) | instskip(NEXT) | instid1(VALU_DEP_2)
	v_clz_i32_u32_e32 v115, v114
	v_cmp_eq_u32_e32 vcc_lo, 0, v117
	s_delay_alu instid0(VALU_DEP_2) | instskip(NEXT) | instid1(VALU_DEP_1)
	v_min_u32_e32 v115, 32, v115
	v_subrev_nc_u32_e32 v116, 28, v115
	v_sub_nc_u32_e32 v115, 29, v115
	s_delay_alu instid0(VALU_DEP_2) | instskip(NEXT) | instid1(VALU_DEP_1)
	v_lshlrev_b32_e32 v116, v116, v103
	v_dual_cndmask_b32 v115, v117, v115 :: v_dual_and_b32 v116, 7, v116
	s_delay_alu instid0(VALU_DEP_1) | instskip(NEXT) | instid1(VALU_DEP_2)
	v_lshl_add_u32 v115, v115, 23, 0x3b800000
	v_cndmask_b32_e32 v114, v114, v116, vcc_lo
	v_and_b32_e32 v116, 0x80000000, v12
	s_delay_alu instid0(VALU_DEP_2) | instskip(NEXT) | instid1(VALU_DEP_1)
	v_lshlrev_b32_e32 v114, 20, v114
	v_or3_b32 v114, v116, v115, v114
.LBB2_2518:                             ;   in Loop: Header=BB2_2190 Depth=2
	s_or_b32 exec_lo, exec_lo, s25
	s_delay_alu instid0(VALU_DEP_1) | instskip(SKIP_1) | instid1(VALU_DEP_1)
	v_dual_max_f32 v114, v114, v114 :: v_dual_max_f32 v113, v113, v113
	s_mov_b32 s10, 0
	v_max_f32_e32 v113, v113, v114
	s_branch .LBB2_2520
.LBB2_2519:                             ;   in Loop: Header=BB2_2190 Depth=2
	s_mov_b32 s10, -1
                                        ; implicit-def: $vgpr113
.LBB2_2520:                             ;   in Loop: Header=BB2_2190 Depth=2
	s_delay_alu instid0(SALU_CYCLE_1)
	s_and_b32 vcc_lo, exec_lo, s10
	s_cbranch_vccz .LBB2_2530
; %bb.2521:                             ;   in Loop: Header=BB2_2190 Depth=2
	s_mov_b32 s10, 0
	s_mov_b32 s26, exec_lo
                                        ; implicit-def: $sgpr25
	v_cmpx_lt_i16_e32 0x7f, v112
	s_xor_b32 s26, exec_lo, s26
	s_cbranch_execnz .LBB2_2836
; %bb.2522:                             ;   in Loop: Header=BB2_2190 Depth=2
	s_or_saveexec_b32 s26, s26
	v_mov_b32_e32 v113, s25
	s_xor_b32 exec_lo, exec_lo, s26
	s_cbranch_execnz .LBB2_2839
.LBB2_2523:                             ;   in Loop: Header=BB2_2190 Depth=2
	s_or_b32 exec_lo, exec_lo, s26
	s_and_saveexec_b32 s25, s10
	s_cbranch_execz .LBB2_2525
.LBB2_2524:                             ;   in Loop: Header=BB2_2190 Depth=2
	v_bfe_u32 v113, v16, 24, 3
	s_delay_alu instid0(VALU_DEP_1) | instskip(NEXT) | instid1(VALU_DEP_1)
	v_clz_i32_u32_e32 v114, v113
	v_min_u32_e32 v114, 32, v114
	s_delay_alu instid0(VALU_DEP_1) | instskip(SKIP_1) | instid1(VALU_DEP_2)
	v_subrev_nc_u32_e32 v115, 28, v114
	v_sub_nc_u32_e32 v114, 29, v114
	v_lshlrev_b32_e32 v112, v115, v112
	v_bfe_u32 v115, v16, 27, 4
	v_and_b32_e32 v16, 0x80000000, v16
	s_delay_alu instid0(VALU_DEP_3) | instskip(NEXT) | instid1(VALU_DEP_3)
	v_and_b32_e32 v112, 7, v112
	v_cmp_eq_u32_e32 vcc_lo, 0, v115
	v_cndmask_b32_e32 v114, v115, v114, vcc_lo
	s_delay_alu instid0(VALU_DEP_3) | instskip(NEXT) | instid1(VALU_DEP_2)
	v_cndmask_b32_e32 v112, v113, v112, vcc_lo
	v_lshl_add_u32 v113, v114, 23, 0x3b800000
	s_delay_alu instid0(VALU_DEP_2) | instskip(NEXT) | instid1(VALU_DEP_1)
	v_lshlrev_b32_e32 v112, 20, v112
	v_or3_b32 v113, v16, v113, v112
.LBB2_2525:                             ;   in Loop: Header=BB2_2190 Depth=2
	s_or_b32 exec_lo, exec_lo, s25
	s_mov_b32 s10, 0
	s_mov_b32 s26, exec_lo
                                        ; implicit-def: $sgpr25
	v_cmpx_lt_i16_e32 0x7f, v103
	s_xor_b32 s26, exec_lo, s26
	s_cbranch_execnz .LBB2_2840
; %bb.2526:                             ;   in Loop: Header=BB2_2190 Depth=2
	s_or_saveexec_b32 s26, s26
	v_mov_b32_e32 v16, s25
	s_xor_b32 exec_lo, exec_lo, s26
	s_cbranch_execnz .LBB2_2843
.LBB2_2527:                             ;   in Loop: Header=BB2_2190 Depth=2
	s_or_b32 exec_lo, exec_lo, s26
	s_and_saveexec_b32 s25, s10
	s_cbranch_execz .LBB2_2529
.LBB2_2528:                             ;   in Loop: Header=BB2_2190 Depth=2
	v_bfe_u32 v16, v12, 24, 3
	s_delay_alu instid0(VALU_DEP_1) | instskip(NEXT) | instid1(VALU_DEP_1)
	v_clz_i32_u32_e32 v112, v16
	v_min_u32_e32 v112, 32, v112
	s_delay_alu instid0(VALU_DEP_1) | instskip(SKIP_1) | instid1(VALU_DEP_2)
	v_subrev_nc_u32_e32 v114, 28, v112
	v_sub_nc_u32_e32 v112, 29, v112
	v_lshlrev_b32_e32 v103, v114, v103
	v_bfe_u32 v114, v12, 27, 4
	v_and_b32_e32 v12, 0x80000000, v12
	s_delay_alu instid0(VALU_DEP_2) | instskip(NEXT) | instid1(VALU_DEP_4)
	v_cmp_eq_u32_e32 vcc_lo, 0, v114
	v_dual_cndmask_b32 v112, v114, v112 :: v_dual_and_b32 v103, 7, v103
	s_delay_alu instid0(VALU_DEP_1) | instskip(NEXT) | instid1(VALU_DEP_2)
	v_cndmask_b32_e32 v16, v16, v103, vcc_lo
	v_lshl_add_u32 v103, v112, 23, 0x3b800000
	s_delay_alu instid0(VALU_DEP_2) | instskip(NEXT) | instid1(VALU_DEP_1)
	v_lshlrev_b32_e32 v16, 20, v16
	v_or3_b32 v16, v12, v103, v16
.LBB2_2529:                             ;   in Loop: Header=BB2_2190 Depth=2
	s_or_b32 exec_lo, exec_lo, s25
	s_delay_alu instid0(VALU_DEP_1) | instskip(SKIP_1) | instid1(VALU_DEP_1)
	v_max_f32_e32 v12, v16, v16
	v_max_f32_e32 v16, v113, v113
	v_min_f32_e32 v113, v16, v12
.LBB2_2530:                             ;   in Loop: Header=BB2_2190 Depth=2
	s_delay_alu instid0(VALU_DEP_1) | instskip(NEXT) | instid1(VALU_DEP_1)
	v_and_b32_e32 v12, 0x7f800000, v113
	v_cmp_ne_u32_e32 vcc_lo, 0x7f800000, v12
	v_mov_b32_e32 v12, 0x80
	s_and_saveexec_b32 s25, vcc_lo
	s_cbranch_execz .LBB2_2538
; %bb.2531:                             ;   in Loop: Header=BB2_2190 Depth=2
	v_mov_b32_e32 v12, 0
	s_mov_b32 s26, exec_lo
	v_cmpx_ne_u32_e32 0, v113
	s_cbranch_execz .LBB2_2537
; %bb.2532:                             ;   in Loop: Header=BB2_2190 Depth=2
	v_bfe_u32 v12, v113, 23, 8
	s_delay_alu instid0(VALU_DEP_1) | instskip(SKIP_1) | instid1(VALU_DEP_2)
	v_sub_nc_u32_e32 v103, 0x78, v12
	v_cmp_gt_u32_e32 vcc_lo, 0x79, v12
	v_dual_cndmask_b32 v103, 0, v103 :: v_dual_and_b32 v16, 0x7fffff, v113
	s_delay_alu instid0(VALU_DEP_1) | instskip(SKIP_2) | instid1(VALU_DEP_4)
	v_or_b32_e32 v112, 0x800000, v16
	v_cmp_eq_u32_e32 vcc_lo, 0, v12
	v_add_nc_u32_e32 v12, 0xffffff89, v12
	v_cndmask_b32_e64 v103, v103, 0x77, vcc_lo
	s_delay_alu instid0(VALU_DEP_4) | instskip(NEXT) | instid1(VALU_DEP_3)
	v_cndmask_b32_e32 v16, v112, v16, vcc_lo
	v_cndmask_b32_e64 v12, v12, 0xffffff8a, vcc_lo
	s_delay_alu instid0(VALU_DEP_3) | instskip(NEXT) | instid1(VALU_DEP_3)
	v_lshl_add_u32 v112, 0x100000, v103, -1
	v_lshrrev_b32_e32 v114, v103, v16
	v_lshlrev_b32_e64 v116, v103, 0x80000
	s_delay_alu instid0(VALU_DEP_4) | instskip(NEXT) | instid1(VALU_DEP_4)
	v_add_nc_u32_e32 v103, v103, v12
	v_and_b32_e32 v16, v112, v16
	s_delay_alu instid0(VALU_DEP_4) | instskip(NEXT) | instid1(VALU_DEP_2)
	v_bfe_u32 v115, v114, 20, 1
	v_cmp_eq_u32_e64 s10, v16, v116
	s_delay_alu instid0(VALU_DEP_2) | instskip(NEXT) | instid1(VALU_DEP_1)
	v_add_nc_u32_e32 v112, -1, v115
	v_cndmask_b32_e64 v16, 0, v112, s10
	v_lshrrev_b32_e32 v112, 23, v114
	s_mov_b32 s10, exec_lo
	s_delay_alu instid0(VALU_DEP_2) | instskip(NEXT) | instid1(VALU_DEP_2)
	v_add_nc_u32_e32 v16, v16, v114
	v_xor_b32_e32 v112, 1, v112
	s_delay_alu instid0(VALU_DEP_2) | instskip(NEXT) | instid1(VALU_DEP_1)
	v_and_b32_e32 v12, 0xfffff, v16
	v_add_nc_u32_e32 v16, v12, v114
                                        ; implicit-def: $vgpr12
	s_delay_alu instid0(VALU_DEP_3)
	v_cmpx_ne_u32_e64 v103, v112
	s_xor_b32 s10, exec_lo, s10
; %bb.2533:                             ;   in Loop: Header=BB2_2190 Depth=2
	s_delay_alu instid0(VALU_DEP_2) | instskip(SKIP_2) | instid1(VALU_DEP_2)
	v_cmp_lt_u32_e32 vcc_lo, 0xffffff, v16
	v_sub_nc_u32_e32 v12, v103, v112
	v_cndmask_b32_e64 v103, 0, 1, vcc_lo
	v_add_co_ci_u32_e32 v12, vcc_lo, 0, v12, vcc_lo
	s_delay_alu instid0(VALU_DEP_2)
	v_lshrrev_b32_e32 v16, v103, v16
; %bb.2534:                             ;   in Loop: Header=BB2_2190 Depth=2
	s_and_not1_saveexec_b32 s10, s10
; %bb.2535:                             ;   in Loop: Header=BB2_2190 Depth=2
	s_delay_alu instid0(VALU_DEP_1)
	v_bfe_u32 v12, v16, 23, 1
; %bb.2536:                             ;   in Loop: Header=BB2_2190 Depth=2
	s_or_b32 exec_lo, exec_lo, s10
	v_lshrrev_b32_e32 v16, 20, v16
	s_delay_alu instid0(VALU_DEP_2) | instskip(SKIP_2) | instid1(VALU_DEP_2)
	v_cmp_gt_i32_e32 vcc_lo, 16, v12
	v_lshrrev_b32_e32 v103, 24, v113
	v_min_i32_e32 v112, 15, v12
	v_dual_cndmask_b32 v16, 7, v16 :: v_dual_and_b32 v103, 0x80, v103
	s_delay_alu instid0(VALU_DEP_2) | instskip(NEXT) | instid1(VALU_DEP_2)
	v_lshlrev_b32_e32 v112, 3, v112
	v_and_b32_e32 v113, 7, v16
	v_or_b32_e32 v12, v12, v16
	s_delay_alu instid0(VALU_DEP_2) | instskip(NEXT) | instid1(VALU_DEP_2)
	v_or3_b32 v16, v112, v103, v113
	v_cmp_ne_u32_e32 vcc_lo, 0, v12
	s_delay_alu instid0(VALU_DEP_2)
	v_cndmask_b32_e32 v12, 0, v16, vcc_lo
.LBB2_2537:                             ;   in Loop: Header=BB2_2190 Depth=2
	s_or_b32 exec_lo, exec_lo, s26
.LBB2_2538:                             ;   in Loop: Header=BB2_2190 Depth=2
	s_delay_alu instid0(SALU_CYCLE_1) | instskip(NEXT) | instid1(SALU_CYCLE_1)
	s_or_b32 exec_lo, exec_lo, s25
	s_and_b32 vcc_lo, exec_lo, s24
	s_cbranch_vccz .LBB2_2548
; %bb.2539:                             ;   in Loop: Header=BB2_2190 Depth=2
	v_and_b32_e32 v103, 0xff, v17
	s_mov_b32 s10, 0
	s_mov_b32 s26, exec_lo
                                        ; implicit-def: $sgpr25
	s_delay_alu instid0(VALU_DEP_1)
	v_cmpx_lt_i16_e32 0x7f, v103
	s_xor_b32 s26, exec_lo, s26
	s_cbranch_execnz .LBB2_2844
; %bb.2540:                             ;   in Loop: Header=BB2_2190 Depth=2
	s_or_saveexec_b32 s26, s26
	v_mov_b32_e32 v16, s25
	s_xor_b32 exec_lo, exec_lo, s26
	s_cbranch_execnz .LBB2_2847
.LBB2_2541:                             ;   in Loop: Header=BB2_2190 Depth=2
	s_or_b32 exec_lo, exec_lo, s26
	s_and_saveexec_b32 s25, s10
	s_cbranch_execz .LBB2_2543
.LBB2_2542:                             ;   in Loop: Header=BB2_2190 Depth=2
	v_bfe_u32 v113, v17, 3, 4
	v_lshlrev_b32_e32 v114, 24, v17
	s_delay_alu instid0(VALU_DEP_2) | instskip(SKIP_1) | instid1(VALU_DEP_1)
	v_cmp_eq_u32_e32 vcc_lo, 0, v113
	v_and_b32_e32 v16, 7, v17
	v_clz_i32_u32_e32 v103, v16
	s_delay_alu instid0(VALU_DEP_1) | instskip(NEXT) | instid1(VALU_DEP_1)
	v_min_u32_e32 v103, 32, v103
	v_subrev_nc_u32_e32 v112, 28, v103
	v_sub_nc_u32_e32 v103, 29, v103
	s_delay_alu instid0(VALU_DEP_1) | instskip(NEXT) | instid1(VALU_DEP_1)
	v_dual_cndmask_b32 v103, v113, v103 :: v_dual_lshlrev_b32 v112, v112, v17
	v_and_b32_e32 v112, 7, v112
	s_delay_alu instid0(VALU_DEP_2) | instskip(NEXT) | instid1(VALU_DEP_2)
	v_lshl_add_u32 v103, v103, 23, 0x3b800000
	v_cndmask_b32_e32 v16, v16, v112, vcc_lo
	v_and_b32_e32 v112, 0x80000000, v114
	s_delay_alu instid0(VALU_DEP_2) | instskip(NEXT) | instid1(VALU_DEP_1)
	v_lshlrev_b32_e32 v16, 20, v16
	v_or3_b32 v16, v112, v103, v16
.LBB2_2543:                             ;   in Loop: Header=BB2_2190 Depth=2
	s_or_b32 exec_lo, exec_lo, s25
	v_and_b32_e32 v112, 0xff, v13
	s_mov_b32 s10, 0
	s_mov_b32 s26, exec_lo
                                        ; implicit-def: $sgpr25
	s_delay_alu instid0(VALU_DEP_1)
	v_cmpx_lt_i16_e32 0x7f, v112
	s_xor_b32 s26, exec_lo, s26
	s_cbranch_execnz .LBB2_2848
; %bb.2544:                             ;   in Loop: Header=BB2_2190 Depth=2
	s_or_saveexec_b32 s26, s26
	v_mov_b32_e32 v103, s25
	s_xor_b32 exec_lo, exec_lo, s26
	s_cbranch_execnz .LBB2_2851
.LBB2_2545:                             ;   in Loop: Header=BB2_2190 Depth=2
	s_or_b32 exec_lo, exec_lo, s26
	s_and_saveexec_b32 s25, s10
	s_cbranch_execz .LBB2_2547
.LBB2_2546:                             ;   in Loop: Header=BB2_2190 Depth=2
	v_bfe_u32 v114, v13, 3, 4
	v_lshlrev_b32_e32 v115, 24, v13
	s_delay_alu instid0(VALU_DEP_2) | instskip(SKIP_1) | instid1(VALU_DEP_1)
	v_cmp_eq_u32_e32 vcc_lo, 0, v114
	v_and_b32_e32 v103, 7, v13
	v_clz_i32_u32_e32 v112, v103
	s_delay_alu instid0(VALU_DEP_1) | instskip(NEXT) | instid1(VALU_DEP_1)
	v_min_u32_e32 v112, 32, v112
	v_subrev_nc_u32_e32 v113, 28, v112
	v_sub_nc_u32_e32 v112, 29, v112
	s_delay_alu instid0(VALU_DEP_1) | instskip(NEXT) | instid1(VALU_DEP_1)
	v_dual_cndmask_b32 v112, v114, v112 :: v_dual_lshlrev_b32 v113, v113, v13
	v_and_b32_e32 v113, 7, v113
	s_delay_alu instid0(VALU_DEP_2) | instskip(NEXT) | instid1(VALU_DEP_2)
	v_lshl_add_u32 v112, v112, 23, 0x3b800000
	v_cndmask_b32_e32 v103, v103, v113, vcc_lo
	v_and_b32_e32 v113, 0x80000000, v115
	s_delay_alu instid0(VALU_DEP_2) | instskip(NEXT) | instid1(VALU_DEP_1)
	v_lshlrev_b32_e32 v103, 20, v103
	v_or3_b32 v103, v113, v112, v103
.LBB2_2547:                             ;   in Loop: Header=BB2_2190 Depth=2
	s_or_b32 exec_lo, exec_lo, s25
	s_delay_alu instid0(VALU_DEP_1) | instskip(SKIP_1) | instid1(VALU_DEP_1)
	v_dual_max_f32 v103, v103, v103 :: v_dual_max_f32 v16, v16, v16
	s_mov_b32 s10, 0
	v_max_f32_e32 v103, v16, v103
	s_branch .LBB2_2549
.LBB2_2548:                             ;   in Loop: Header=BB2_2190 Depth=2
	s_mov_b32 s10, -1
                                        ; implicit-def: $vgpr103
.LBB2_2549:                             ;   in Loop: Header=BB2_2190 Depth=2
	s_delay_alu instid0(SALU_CYCLE_1)
	s_and_b32 vcc_lo, exec_lo, s10
	s_cbranch_vccz .LBB2_2559
; %bb.2550:                             ;   in Loop: Header=BB2_2190 Depth=2
	v_and_b32_e32 v103, 0xff, v17
	s_mov_b32 s10, 0
	s_mov_b32 s26, exec_lo
                                        ; implicit-def: $sgpr25
	s_delay_alu instid0(VALU_DEP_1)
	v_cmpx_lt_i16_e32 0x7f, v103
	s_xor_b32 s26, exec_lo, s26
	s_cbranch_execnz .LBB2_2852
; %bb.2551:                             ;   in Loop: Header=BB2_2190 Depth=2
	s_or_saveexec_b32 s26, s26
	v_mov_b32_e32 v16, s25
	s_xor_b32 exec_lo, exec_lo, s26
	s_cbranch_execnz .LBB2_2855
.LBB2_2552:                             ;   in Loop: Header=BB2_2190 Depth=2
	s_or_b32 exec_lo, exec_lo, s26
	s_and_saveexec_b32 s25, s10
	s_cbranch_execz .LBB2_2554
.LBB2_2553:                             ;   in Loop: Header=BB2_2190 Depth=2
	v_bfe_u32 v113, v17, 3, 4
	v_lshlrev_b32_e32 v114, 24, v17
	s_delay_alu instid0(VALU_DEP_2) | instskip(SKIP_1) | instid1(VALU_DEP_1)
	v_cmp_eq_u32_e32 vcc_lo, 0, v113
	v_and_b32_e32 v16, 7, v17
	v_clz_i32_u32_e32 v103, v16
	s_delay_alu instid0(VALU_DEP_1) | instskip(NEXT) | instid1(VALU_DEP_1)
	v_min_u32_e32 v103, 32, v103
	v_subrev_nc_u32_e32 v112, 28, v103
	v_sub_nc_u32_e32 v103, 29, v103
	s_delay_alu instid0(VALU_DEP_1) | instskip(NEXT) | instid1(VALU_DEP_1)
	v_dual_cndmask_b32 v103, v113, v103 :: v_dual_lshlrev_b32 v112, v112, v17
	v_and_b32_e32 v112, 7, v112
	s_delay_alu instid0(VALU_DEP_2) | instskip(NEXT) | instid1(VALU_DEP_2)
	v_lshl_add_u32 v103, v103, 23, 0x3b800000
	v_cndmask_b32_e32 v16, v16, v112, vcc_lo
	v_and_b32_e32 v112, 0x80000000, v114
	s_delay_alu instid0(VALU_DEP_2) | instskip(NEXT) | instid1(VALU_DEP_1)
	v_lshlrev_b32_e32 v16, 20, v16
	v_or3_b32 v16, v112, v103, v16
.LBB2_2554:                             ;   in Loop: Header=BB2_2190 Depth=2
	s_or_b32 exec_lo, exec_lo, s25
	v_and_b32_e32 v112, 0xff, v13
	s_mov_b32 s10, 0
	s_mov_b32 s26, exec_lo
                                        ; implicit-def: $sgpr25
	s_delay_alu instid0(VALU_DEP_1)
	v_cmpx_lt_i16_e32 0x7f, v112
	s_xor_b32 s26, exec_lo, s26
	s_cbranch_execnz .LBB2_2856
; %bb.2555:                             ;   in Loop: Header=BB2_2190 Depth=2
	s_or_saveexec_b32 s26, s26
	v_mov_b32_e32 v103, s25
	s_xor_b32 exec_lo, exec_lo, s26
	s_cbranch_execnz .LBB2_2859
.LBB2_2556:                             ;   in Loop: Header=BB2_2190 Depth=2
	s_or_b32 exec_lo, exec_lo, s26
	s_and_saveexec_b32 s25, s10
	s_cbranch_execz .LBB2_2558
.LBB2_2557:                             ;   in Loop: Header=BB2_2190 Depth=2
	v_bfe_u32 v114, v13, 3, 4
	v_lshlrev_b32_e32 v115, 24, v13
	s_delay_alu instid0(VALU_DEP_2) | instskip(SKIP_1) | instid1(VALU_DEP_1)
	v_cmp_eq_u32_e32 vcc_lo, 0, v114
	v_and_b32_e32 v103, 7, v13
	v_clz_i32_u32_e32 v112, v103
	s_delay_alu instid0(VALU_DEP_1) | instskip(NEXT) | instid1(VALU_DEP_1)
	v_min_u32_e32 v112, 32, v112
	v_subrev_nc_u32_e32 v113, 28, v112
	v_sub_nc_u32_e32 v112, 29, v112
	s_delay_alu instid0(VALU_DEP_1) | instskip(NEXT) | instid1(VALU_DEP_1)
	v_dual_cndmask_b32 v112, v114, v112 :: v_dual_lshlrev_b32 v113, v113, v13
	v_and_b32_e32 v113, 7, v113
	s_delay_alu instid0(VALU_DEP_2) | instskip(NEXT) | instid1(VALU_DEP_2)
	v_lshl_add_u32 v112, v112, 23, 0x3b800000
	v_cndmask_b32_e32 v103, v103, v113, vcc_lo
	v_and_b32_e32 v113, 0x80000000, v115
	s_delay_alu instid0(VALU_DEP_2) | instskip(NEXT) | instid1(VALU_DEP_1)
	v_lshlrev_b32_e32 v103, 20, v103
	v_or3_b32 v103, v113, v112, v103
.LBB2_2558:                             ;   in Loop: Header=BB2_2190 Depth=2
	s_or_b32 exec_lo, exec_lo, s25
	s_delay_alu instid0(VALU_DEP_1) | instskip(NEXT) | instid1(VALU_DEP_1)
	v_dual_max_f32 v103, v103, v103 :: v_dual_max_f32 v16, v16, v16
	v_min_f32_e32 v103, v16, v103
.LBB2_2559:                             ;   in Loop: Header=BB2_2190 Depth=2
	s_delay_alu instid0(VALU_DEP_1) | instskip(NEXT) | instid1(VALU_DEP_1)
	v_and_b32_e32 v16, 0x7f800000, v103
	v_cmp_ne_u32_e32 vcc_lo, 0x7f800000, v16
	v_mov_b32_e32 v16, 0x80
	s_and_saveexec_b32 s25, vcc_lo
	s_cbranch_execz .LBB2_2567
; %bb.2560:                             ;   in Loop: Header=BB2_2190 Depth=2
	v_mov_b32_e32 v16, 0
	s_mov_b32 s26, exec_lo
	v_cmpx_ne_u32_e32 0, v103
	s_cbranch_execz .LBB2_2566
; %bb.2561:                             ;   in Loop: Header=BB2_2190 Depth=2
	v_bfe_u32 v16, v103, 23, 8
	s_delay_alu instid0(VALU_DEP_1) | instskip(SKIP_1) | instid1(VALU_DEP_2)
	v_sub_nc_u32_e32 v113, 0x78, v16
	v_cmp_gt_u32_e32 vcc_lo, 0x79, v16
	v_dual_cndmask_b32 v113, 0, v113 :: v_dual_and_b32 v112, 0x7fffff, v103
	s_delay_alu instid0(VALU_DEP_1) | instskip(SKIP_2) | instid1(VALU_DEP_4)
	v_or_b32_e32 v114, 0x800000, v112
	v_cmp_eq_u32_e32 vcc_lo, 0, v16
	v_add_nc_u32_e32 v16, 0xffffff89, v16
	v_cndmask_b32_e64 v113, v113, 0x77, vcc_lo
	s_delay_alu instid0(VALU_DEP_4) | instskip(NEXT) | instid1(VALU_DEP_3)
	v_cndmask_b32_e32 v112, v114, v112, vcc_lo
	v_cndmask_b32_e64 v16, v16, 0xffffff8a, vcc_lo
	s_delay_alu instid0(VALU_DEP_3) | instskip(NEXT) | instid1(VALU_DEP_3)
	v_lshl_add_u32 v114, 0x100000, v113, -1
	v_lshrrev_b32_e32 v115, v113, v112
	v_lshlrev_b32_e64 v117, v113, 0x80000
	s_delay_alu instid0(VALU_DEP_4) | instskip(NEXT) | instid1(VALU_DEP_4)
	v_add_nc_u32_e32 v113, v113, v16
	v_and_b32_e32 v112, v114, v112
	s_delay_alu instid0(VALU_DEP_4) | instskip(NEXT) | instid1(VALU_DEP_2)
	v_bfe_u32 v116, v115, 20, 1
	v_cmp_eq_u32_e64 s10, v112, v117
	s_delay_alu instid0(VALU_DEP_2) | instskip(NEXT) | instid1(VALU_DEP_1)
	v_add_nc_u32_e32 v114, -1, v116
	v_cndmask_b32_e64 v112, 0, v114, s10
	v_lshrrev_b32_e32 v114, 23, v115
	s_mov_b32 s10, exec_lo
	s_delay_alu instid0(VALU_DEP_2) | instskip(NEXT) | instid1(VALU_DEP_2)
	v_add_nc_u32_e32 v112, v112, v115
	v_xor_b32_e32 v114, 1, v114
	s_delay_alu instid0(VALU_DEP_2) | instskip(NEXT) | instid1(VALU_DEP_1)
	v_and_b32_e32 v16, 0xfffff, v112
	v_add_nc_u32_e32 v112, v16, v115
                                        ; implicit-def: $vgpr16
	s_delay_alu instid0(VALU_DEP_3)
	v_cmpx_ne_u32_e64 v113, v114
	s_xor_b32 s10, exec_lo, s10
; %bb.2562:                             ;   in Loop: Header=BB2_2190 Depth=2
	s_delay_alu instid0(VALU_DEP_2) | instskip(SKIP_2) | instid1(VALU_DEP_2)
	v_cmp_lt_u32_e32 vcc_lo, 0xffffff, v112
	v_sub_nc_u32_e32 v16, v113, v114
	v_cndmask_b32_e64 v113, 0, 1, vcc_lo
	v_add_co_ci_u32_e32 v16, vcc_lo, 0, v16, vcc_lo
	s_delay_alu instid0(VALU_DEP_2)
	v_lshrrev_b32_e32 v112, v113, v112
; %bb.2563:                             ;   in Loop: Header=BB2_2190 Depth=2
	s_and_not1_saveexec_b32 s10, s10
; %bb.2564:                             ;   in Loop: Header=BB2_2190 Depth=2
	s_delay_alu instid0(VALU_DEP_1)
	v_bfe_u32 v16, v112, 23, 1
; %bb.2565:                             ;   in Loop: Header=BB2_2190 Depth=2
	s_or_b32 exec_lo, exec_lo, s10
	v_lshrrev_b32_e32 v112, 20, v112
	s_delay_alu instid0(VALU_DEP_2) | instskip(SKIP_2) | instid1(VALU_DEP_2)
	v_cmp_gt_i32_e32 vcc_lo, 16, v16
	v_lshrrev_b32_e32 v103, 24, v103
	v_min_i32_e32 v113, 15, v16
	v_dual_cndmask_b32 v112, 7, v112 :: v_dual_and_b32 v103, 0x80, v103
	s_delay_alu instid0(VALU_DEP_1) | instskip(SKIP_1) | instid1(VALU_DEP_2)
	v_or_b32_e32 v16, v16, v112
	v_and_b32_e32 v114, 7, v112
	v_cmp_ne_u32_e32 vcc_lo, 0, v16
	v_lshlrev_b32_e32 v113, 3, v113
	s_delay_alu instid0(VALU_DEP_1) | instskip(NEXT) | instid1(VALU_DEP_1)
	v_or3_b32 v103, v113, v103, v114
	v_cndmask_b32_e32 v16, 0, v103, vcc_lo
.LBB2_2566:                             ;   in Loop: Header=BB2_2190 Depth=2
	s_or_b32 exec_lo, exec_lo, s26
.LBB2_2567:                             ;   in Loop: Header=BB2_2190 Depth=2
	s_delay_alu instid0(SALU_CYCLE_1)
	s_or_b32 exec_lo, exec_lo, s25
	v_lshrrev_b16 v112, 8, v17
	v_lshrrev_b16 v103, 8, v13
	s_and_b32 vcc_lo, exec_lo, s24
	s_cbranch_vccz .LBB2_2577
; %bb.2568:                             ;   in Loop: Header=BB2_2190 Depth=2
	s_mov_b32 s10, 0
	s_mov_b32 s26, exec_lo
                                        ; implicit-def: $sgpr25
	v_cmpx_lt_i16_e32 0x7f, v112
	s_xor_b32 s26, exec_lo, s26
	s_cbranch_execnz .LBB2_2860
; %bb.2569:                             ;   in Loop: Header=BB2_2190 Depth=2
	s_or_saveexec_b32 s26, s26
	v_mov_b32_e32 v113, s25
	s_xor_b32 exec_lo, exec_lo, s26
	s_cbranch_execnz .LBB2_2863
.LBB2_2570:                             ;   in Loop: Header=BB2_2190 Depth=2
	s_or_b32 exec_lo, exec_lo, s26
	s_and_saveexec_b32 s25, s10
	s_cbranch_execz .LBB2_2572
.LBB2_2571:                             ;   in Loop: Header=BB2_2190 Depth=2
	v_and_b32_e32 v113, 0xffff, v112
	s_delay_alu instid0(VALU_DEP_1) | instskip(NEXT) | instid1(VALU_DEP_1)
	v_and_b32_e32 v114, 7, v113
	v_clz_i32_u32_e32 v115, v114
	s_delay_alu instid0(VALU_DEP_1) | instskip(NEXT) | instid1(VALU_DEP_1)
	v_min_u32_e32 v115, 32, v115
	v_subrev_nc_u32_e32 v116, 28, v115
	v_sub_nc_u32_e32 v115, 29, v115
	s_delay_alu instid0(VALU_DEP_2) | instskip(SKIP_1) | instid1(VALU_DEP_2)
	v_lshlrev_b32_e32 v116, v116, v113
	v_bfe_u32 v113, v113, 3, 4
	v_and_b32_e32 v116, 7, v116
	s_delay_alu instid0(VALU_DEP_2) | instskip(SKIP_1) | instid1(VALU_DEP_3)
	v_cmp_eq_u32_e32 vcc_lo, 0, v113
	v_cndmask_b32_e32 v113, v113, v115, vcc_lo
	v_dual_cndmask_b32 v114, v114, v116 :: v_dual_lshlrev_b32 v117, 16, v17
	s_delay_alu instid0(VALU_DEP_2) | instskip(NEXT) | instid1(VALU_DEP_2)
	v_lshl_add_u32 v113, v113, 23, 0x3b800000
	v_and_b32_e32 v115, 0x80000000, v117
	s_delay_alu instid0(VALU_DEP_3) | instskip(NEXT) | instid1(VALU_DEP_1)
	v_lshlrev_b32_e32 v114, 20, v114
	v_or3_b32 v113, v115, v113, v114
.LBB2_2572:                             ;   in Loop: Header=BB2_2190 Depth=2
	s_or_b32 exec_lo, exec_lo, s25
	s_mov_b32 s10, 0
	s_mov_b32 s26, exec_lo
                                        ; implicit-def: $sgpr25
	v_cmpx_lt_i16_e32 0x7f, v103
	s_xor_b32 s26, exec_lo, s26
	s_cbranch_execnz .LBB2_2864
; %bb.2573:                             ;   in Loop: Header=BB2_2190 Depth=2
	s_or_saveexec_b32 s26, s26
	v_mov_b32_e32 v114, s25
	s_xor_b32 exec_lo, exec_lo, s26
	s_cbranch_execnz .LBB2_2867
.LBB2_2574:                             ;   in Loop: Header=BB2_2190 Depth=2
	s_or_b32 exec_lo, exec_lo, s26
	s_and_saveexec_b32 s25, s10
	s_cbranch_execz .LBB2_2576
.LBB2_2575:                             ;   in Loop: Header=BB2_2190 Depth=2
	v_and_b32_e32 v114, 0xffff, v103
	v_lshlrev_b32_e32 v118, 16, v13
	s_delay_alu instid0(VALU_DEP_2) | instskip(NEXT) | instid1(VALU_DEP_1)
	v_and_b32_e32 v115, 7, v114
	v_clz_i32_u32_e32 v116, v115
	s_delay_alu instid0(VALU_DEP_1) | instskip(NEXT) | instid1(VALU_DEP_1)
	v_min_u32_e32 v116, 32, v116
	v_subrev_nc_u32_e32 v117, 28, v116
	v_sub_nc_u32_e32 v116, 29, v116
	s_delay_alu instid0(VALU_DEP_2) | instskip(SKIP_1) | instid1(VALU_DEP_2)
	v_lshlrev_b32_e32 v117, v117, v114
	v_bfe_u32 v114, v114, 3, 4
	v_and_b32_e32 v117, 7, v117
	s_delay_alu instid0(VALU_DEP_2) | instskip(NEXT) | instid1(VALU_DEP_2)
	v_cmp_eq_u32_e32 vcc_lo, 0, v114
	v_dual_cndmask_b32 v114, v114, v116 :: v_dual_cndmask_b32 v115, v115, v117
	v_and_b32_e32 v116, 0x80000000, v118
	s_delay_alu instid0(VALU_DEP_2) | instskip(NEXT) | instid1(VALU_DEP_3)
	v_lshl_add_u32 v114, v114, 23, 0x3b800000
	v_lshlrev_b32_e32 v115, 20, v115
	s_delay_alu instid0(VALU_DEP_1)
	v_or3_b32 v114, v116, v114, v115
.LBB2_2576:                             ;   in Loop: Header=BB2_2190 Depth=2
	s_or_b32 exec_lo, exec_lo, s25
	s_delay_alu instid0(VALU_DEP_1) | instskip(SKIP_1) | instid1(VALU_DEP_1)
	v_dual_max_f32 v114, v114, v114 :: v_dual_max_f32 v113, v113, v113
	s_mov_b32 s10, 0
	v_max_f32_e32 v113, v113, v114
	s_branch .LBB2_2578
.LBB2_2577:                             ;   in Loop: Header=BB2_2190 Depth=2
	s_mov_b32 s10, -1
                                        ; implicit-def: $vgpr113
.LBB2_2578:                             ;   in Loop: Header=BB2_2190 Depth=2
	s_delay_alu instid0(SALU_CYCLE_1)
	s_and_b32 vcc_lo, exec_lo, s10
	s_cbranch_vccz .LBB2_2588
; %bb.2579:                             ;   in Loop: Header=BB2_2190 Depth=2
	s_mov_b32 s10, 0
	s_mov_b32 s26, exec_lo
                                        ; implicit-def: $sgpr25
	v_cmpx_lt_i16_e32 0x7f, v112
	s_xor_b32 s26, exec_lo, s26
	s_cbranch_execnz .LBB2_2868
; %bb.2580:                             ;   in Loop: Header=BB2_2190 Depth=2
	s_or_saveexec_b32 s26, s26
	v_mov_b32_e32 v113, s25
	s_xor_b32 exec_lo, exec_lo, s26
	s_cbranch_execnz .LBB2_2871
.LBB2_2581:                             ;   in Loop: Header=BB2_2190 Depth=2
	s_or_b32 exec_lo, exec_lo, s26
	s_and_saveexec_b32 s25, s10
	s_cbranch_execz .LBB2_2583
.LBB2_2582:                             ;   in Loop: Header=BB2_2190 Depth=2
	v_and_b32_e32 v112, 0xffff, v112
	v_lshlrev_b32_e32 v116, 16, v17
	s_delay_alu instid0(VALU_DEP_2) | instskip(NEXT) | instid1(VALU_DEP_1)
	v_and_b32_e32 v113, 7, v112
	v_clz_i32_u32_e32 v114, v113
	s_delay_alu instid0(VALU_DEP_1) | instskip(NEXT) | instid1(VALU_DEP_1)
	v_min_u32_e32 v114, 32, v114
	v_subrev_nc_u32_e32 v115, 28, v114
	v_sub_nc_u32_e32 v114, 29, v114
	s_delay_alu instid0(VALU_DEP_2) | instskip(SKIP_1) | instid1(VALU_DEP_2)
	v_lshlrev_b32_e32 v115, v115, v112
	v_bfe_u32 v112, v112, 3, 4
	v_and_b32_e32 v115, 7, v115
	s_delay_alu instid0(VALU_DEP_2) | instskip(NEXT) | instid1(VALU_DEP_2)
	v_cmp_eq_u32_e32 vcc_lo, 0, v112
	v_dual_cndmask_b32 v112, v112, v114 :: v_dual_cndmask_b32 v113, v113, v115
	v_and_b32_e32 v114, 0x80000000, v116
	s_delay_alu instid0(VALU_DEP_2) | instskip(NEXT) | instid1(VALU_DEP_3)
	v_lshl_add_u32 v112, v112, 23, 0x3b800000
	v_lshlrev_b32_e32 v113, 20, v113
	s_delay_alu instid0(VALU_DEP_1)
	v_or3_b32 v113, v114, v112, v113
.LBB2_2583:                             ;   in Loop: Header=BB2_2190 Depth=2
	s_or_b32 exec_lo, exec_lo, s25
	s_mov_b32 s10, 0
	s_mov_b32 s26, exec_lo
                                        ; implicit-def: $sgpr25
	v_cmpx_lt_i16_e32 0x7f, v103
	s_xor_b32 s26, exec_lo, s26
	s_cbranch_execnz .LBB2_2872
; %bb.2584:                             ;   in Loop: Header=BB2_2190 Depth=2
	s_or_saveexec_b32 s26, s26
	v_mov_b32_e32 v112, s25
	s_xor_b32 exec_lo, exec_lo, s26
	s_cbranch_execnz .LBB2_2875
.LBB2_2585:                             ;   in Loop: Header=BB2_2190 Depth=2
	s_or_b32 exec_lo, exec_lo, s26
	s_and_saveexec_b32 s25, s10
	s_cbranch_execz .LBB2_2587
.LBB2_2586:                             ;   in Loop: Header=BB2_2190 Depth=2
	v_and_b32_e32 v103, 0xffff, v103
	v_lshlrev_b32_e32 v116, 16, v13
	s_delay_alu instid0(VALU_DEP_2) | instskip(NEXT) | instid1(VALU_DEP_1)
	v_and_b32_e32 v112, 7, v103
	v_clz_i32_u32_e32 v114, v112
	s_delay_alu instid0(VALU_DEP_1) | instskip(NEXT) | instid1(VALU_DEP_1)
	v_min_u32_e32 v114, 32, v114
	v_subrev_nc_u32_e32 v115, 28, v114
	v_sub_nc_u32_e32 v114, 29, v114
	s_delay_alu instid0(VALU_DEP_2) | instskip(SKIP_1) | instid1(VALU_DEP_2)
	v_lshlrev_b32_e32 v115, v115, v103
	v_bfe_u32 v103, v103, 3, 4
	v_and_b32_e32 v115, 7, v115
	s_delay_alu instid0(VALU_DEP_2) | instskip(NEXT) | instid1(VALU_DEP_2)
	v_cmp_eq_u32_e32 vcc_lo, 0, v103
	v_dual_cndmask_b32 v103, v103, v114 :: v_dual_cndmask_b32 v112, v112, v115
	v_and_b32_e32 v114, 0x80000000, v116
	s_delay_alu instid0(VALU_DEP_2) | instskip(NEXT) | instid1(VALU_DEP_3)
	v_lshl_add_u32 v103, v103, 23, 0x3b800000
	v_lshlrev_b32_e32 v112, 20, v112
	s_delay_alu instid0(VALU_DEP_1)
	v_or3_b32 v112, v114, v103, v112
.LBB2_2587:                             ;   in Loop: Header=BB2_2190 Depth=2
	s_or_b32 exec_lo, exec_lo, s25
	s_delay_alu instid0(VALU_DEP_1) | instskip(NEXT) | instid1(VALU_DEP_1)
	v_dual_max_f32 v103, v112, v112 :: v_dual_max_f32 v112, v113, v113
	v_min_f32_e32 v113, v112, v103
.LBB2_2588:                             ;   in Loop: Header=BB2_2190 Depth=2
	s_delay_alu instid0(VALU_DEP_1) | instskip(NEXT) | instid1(VALU_DEP_1)
	v_and_b32_e32 v103, 0x7f800000, v113
	v_cmp_ne_u32_e32 vcc_lo, 0x7f800000, v103
	v_mov_b32_e32 v103, 0x80
	s_and_saveexec_b32 s25, vcc_lo
	s_cbranch_execz .LBB2_2596
; %bb.2589:                             ;   in Loop: Header=BB2_2190 Depth=2
	v_mov_b32_e32 v103, 0
	s_mov_b32 s26, exec_lo
	v_cmpx_ne_u32_e32 0, v113
	s_cbranch_execz .LBB2_2595
; %bb.2590:                             ;   in Loop: Header=BB2_2190 Depth=2
	v_bfe_u32 v103, v113, 23, 8
	v_and_b32_e32 v112, 0x7fffff, v113
	s_delay_alu instid0(VALU_DEP_2) | instskip(SKIP_1) | instid1(VALU_DEP_3)
	v_sub_nc_u32_e32 v114, 0x78, v103
	v_cmp_gt_u32_e32 vcc_lo, 0x79, v103
	v_or_b32_e32 v115, 0x800000, v112
	s_delay_alu instid0(VALU_DEP_3) | instskip(SKIP_2) | instid1(VALU_DEP_3)
	v_cndmask_b32_e32 v114, 0, v114, vcc_lo
	v_cmp_eq_u32_e32 vcc_lo, 0, v103
	v_add_nc_u32_e32 v103, 0xffffff89, v103
	v_cndmask_b32_e64 v114, v114, 0x77, vcc_lo
	v_cndmask_b32_e32 v112, v115, v112, vcc_lo
	s_delay_alu instid0(VALU_DEP_3) | instskip(NEXT) | instid1(VALU_DEP_3)
	v_cndmask_b32_e64 v103, v103, 0xffffff8a, vcc_lo
	v_lshl_add_u32 v115, 0x100000, v114, -1
	s_delay_alu instid0(VALU_DEP_3) | instskip(SKIP_1) | instid1(VALU_DEP_4)
	v_lshrrev_b32_e32 v116, v114, v112
	v_lshlrev_b32_e64 v118, v114, 0x80000
	v_add_nc_u32_e32 v114, v114, v103
	s_delay_alu instid0(VALU_DEP_4) | instskip(NEXT) | instid1(VALU_DEP_4)
	v_and_b32_e32 v112, v115, v112
	v_bfe_u32 v117, v116, 20, 1
	s_delay_alu instid0(VALU_DEP_2) | instskip(NEXT) | instid1(VALU_DEP_2)
	v_cmp_eq_u32_e64 s10, v112, v118
	v_add_nc_u32_e32 v115, -1, v117
	s_delay_alu instid0(VALU_DEP_1) | instskip(SKIP_2) | instid1(VALU_DEP_2)
	v_cndmask_b32_e64 v112, 0, v115, s10
	v_lshrrev_b32_e32 v115, 23, v116
	s_mov_b32 s10, exec_lo
	v_add_nc_u32_e32 v112, v112, v116
	s_delay_alu instid0(VALU_DEP_2) | instskip(NEXT) | instid1(VALU_DEP_2)
	v_xor_b32_e32 v115, 1, v115
	v_and_b32_e32 v103, 0xfffff, v112
	s_delay_alu instid0(VALU_DEP_1) | instskip(NEXT) | instid1(VALU_DEP_3)
	v_add_nc_u32_e32 v112, v103, v116
                                        ; implicit-def: $vgpr103
	v_cmpx_ne_u32_e64 v114, v115
	s_xor_b32 s10, exec_lo, s10
; %bb.2591:                             ;   in Loop: Header=BB2_2190 Depth=2
	s_delay_alu instid0(VALU_DEP_2) | instskip(SKIP_2) | instid1(VALU_DEP_2)
	v_cmp_lt_u32_e32 vcc_lo, 0xffffff, v112
	v_sub_nc_u32_e32 v103, v114, v115
	v_cndmask_b32_e64 v114, 0, 1, vcc_lo
	v_add_co_ci_u32_e32 v103, vcc_lo, 0, v103, vcc_lo
	s_delay_alu instid0(VALU_DEP_2)
	v_lshrrev_b32_e32 v112, v114, v112
; %bb.2592:                             ;   in Loop: Header=BB2_2190 Depth=2
	s_and_not1_saveexec_b32 s10, s10
; %bb.2593:                             ;   in Loop: Header=BB2_2190 Depth=2
	s_delay_alu instid0(VALU_DEP_1)
	v_bfe_u32 v103, v112, 23, 1
; %bb.2594:                             ;   in Loop: Header=BB2_2190 Depth=2
	s_or_b32 exec_lo, exec_lo, s10
	v_lshrrev_b32_e32 v112, 20, v112
	s_delay_alu instid0(VALU_DEP_2) | instskip(SKIP_2) | instid1(VALU_DEP_2)
	v_cmp_gt_i32_e32 vcc_lo, 16, v103
	v_lshrrev_b32_e32 v113, 24, v113
	v_min_i32_e32 v114, 15, v103
	v_dual_cndmask_b32 v112, 7, v112 :: v_dual_and_b32 v113, 0x80, v113
	s_delay_alu instid0(VALU_DEP_1) | instskip(SKIP_1) | instid1(VALU_DEP_2)
	v_or_b32_e32 v103, v103, v112
	v_and_b32_e32 v115, 7, v112
	v_cmp_ne_u32_e32 vcc_lo, 0, v103
	v_lshlrev_b32_e32 v114, 3, v114
	s_delay_alu instid0(VALU_DEP_1) | instskip(NEXT) | instid1(VALU_DEP_1)
	v_or3_b32 v112, v114, v113, v115
	v_cndmask_b32_e32 v103, 0, v112, vcc_lo
.LBB2_2595:                             ;   in Loop: Header=BB2_2190 Depth=2
	s_or_b32 exec_lo, exec_lo, s26
.LBB2_2596:                             ;   in Loop: Header=BB2_2190 Depth=2
	s_delay_alu instid0(SALU_CYCLE_1)
	s_or_b32 exec_lo, exec_lo, s25
	v_lshrrev_b32_e32 v113, 16, v17
	v_lshrrev_b32_e32 v112, 16, v13
	s_and_b32 vcc_lo, exec_lo, s24
	s_cbranch_vccz .LBB2_2606
; %bb.2597:                             ;   in Loop: Header=BB2_2190 Depth=2
	s_delay_alu instid0(VALU_DEP_2) | instskip(SKIP_2) | instid1(VALU_DEP_1)
	v_and_b32_e32 v115, 0xff, v113
	s_mov_b32 s10, 0
	s_mov_b32 s26, exec_lo
                                        ; implicit-def: $sgpr25
	v_cmpx_lt_i16_e32 0x7f, v115
	s_xor_b32 s26, exec_lo, s26
	s_cbranch_execnz .LBB2_2876
; %bb.2598:                             ;   in Loop: Header=BB2_2190 Depth=2
	s_or_saveexec_b32 s26, s26
	v_mov_b32_e32 v114, s25
	s_xor_b32 exec_lo, exec_lo, s26
	s_cbranch_execnz .LBB2_2879
.LBB2_2599:                             ;   in Loop: Header=BB2_2190 Depth=2
	s_or_b32 exec_lo, exec_lo, s26
	s_and_saveexec_b32 s25, s10
	s_cbranch_execz .LBB2_2601
.LBB2_2600:                             ;   in Loop: Header=BB2_2190 Depth=2
	v_bfe_u32 v114, v17, 16, 3
	v_bfe_u32 v117, v17, 19, 4
	v_lshlrev_b32_e32 v118, 24, v113
	s_delay_alu instid0(VALU_DEP_3) | instskip(NEXT) | instid1(VALU_DEP_3)
	v_clz_i32_u32_e32 v115, v114
	v_cmp_eq_u32_e32 vcc_lo, 0, v117
	s_delay_alu instid0(VALU_DEP_2) | instskip(NEXT) | instid1(VALU_DEP_1)
	v_min_u32_e32 v115, 32, v115
	v_subrev_nc_u32_e32 v116, 28, v115
	v_sub_nc_u32_e32 v115, 29, v115
	s_delay_alu instid0(VALU_DEP_1) | instskip(NEXT) | instid1(VALU_DEP_1)
	v_dual_cndmask_b32 v115, v117, v115 :: v_dual_lshlrev_b32 v116, v116, v113
	v_and_b32_e32 v116, 7, v116
	s_delay_alu instid0(VALU_DEP_2) | instskip(NEXT) | instid1(VALU_DEP_2)
	v_lshl_add_u32 v115, v115, 23, 0x3b800000
	v_cndmask_b32_e32 v114, v114, v116, vcc_lo
	v_and_b32_e32 v116, 0x80000000, v118
	s_delay_alu instid0(VALU_DEP_2) | instskip(NEXT) | instid1(VALU_DEP_1)
	v_lshlrev_b32_e32 v114, 20, v114
	v_or3_b32 v114, v116, v115, v114
.LBB2_2601:                             ;   in Loop: Header=BB2_2190 Depth=2
	s_or_b32 exec_lo, exec_lo, s25
	v_and_b32_e32 v116, 0xff, v112
	s_mov_b32 s10, 0
	s_mov_b32 s26, exec_lo
                                        ; implicit-def: $sgpr25
	s_delay_alu instid0(VALU_DEP_1)
	v_cmpx_lt_i16_e32 0x7f, v116
	s_xor_b32 s26, exec_lo, s26
	s_cbranch_execnz .LBB2_2880
; %bb.2602:                             ;   in Loop: Header=BB2_2190 Depth=2
	s_or_saveexec_b32 s26, s26
	v_mov_b32_e32 v115, s25
	s_xor_b32 exec_lo, exec_lo, s26
	s_cbranch_execnz .LBB2_2883
.LBB2_2603:                             ;   in Loop: Header=BB2_2190 Depth=2
	s_or_b32 exec_lo, exec_lo, s26
	s_and_saveexec_b32 s25, s10
	s_cbranch_execz .LBB2_2605
.LBB2_2604:                             ;   in Loop: Header=BB2_2190 Depth=2
	v_bfe_u32 v115, v13, 16, 3
	v_bfe_u32 v118, v13, 19, 4
	v_lshlrev_b32_e32 v119, 24, v112
	s_delay_alu instid0(VALU_DEP_3) | instskip(NEXT) | instid1(VALU_DEP_3)
	v_clz_i32_u32_e32 v116, v115
	v_cmp_eq_u32_e32 vcc_lo, 0, v118
	s_delay_alu instid0(VALU_DEP_2) | instskip(NEXT) | instid1(VALU_DEP_1)
	v_min_u32_e32 v116, 32, v116
	v_subrev_nc_u32_e32 v117, 28, v116
	v_sub_nc_u32_e32 v116, 29, v116
	s_delay_alu instid0(VALU_DEP_2) | instskip(NEXT) | instid1(VALU_DEP_1)
	v_lshlrev_b32_e32 v117, v117, v112
	v_dual_cndmask_b32 v116, v118, v116 :: v_dual_and_b32 v117, 7, v117
	s_delay_alu instid0(VALU_DEP_1) | instskip(NEXT) | instid1(VALU_DEP_2)
	v_lshl_add_u32 v116, v116, 23, 0x3b800000
	v_cndmask_b32_e32 v115, v115, v117, vcc_lo
	v_and_b32_e32 v117, 0x80000000, v119
	s_delay_alu instid0(VALU_DEP_2) | instskip(NEXT) | instid1(VALU_DEP_1)
	v_lshlrev_b32_e32 v115, 20, v115
	v_or3_b32 v115, v117, v116, v115
.LBB2_2605:                             ;   in Loop: Header=BB2_2190 Depth=2
	s_or_b32 exec_lo, exec_lo, s25
	s_delay_alu instid0(VALU_DEP_1) | instskip(SKIP_1) | instid1(VALU_DEP_1)
	v_dual_max_f32 v115, v115, v115 :: v_dual_max_f32 v114, v114, v114
	s_mov_b32 s10, 0
	v_max_f32_e32 v114, v114, v115
	s_branch .LBB2_2607
.LBB2_2606:                             ;   in Loop: Header=BB2_2190 Depth=2
	s_mov_b32 s10, -1
                                        ; implicit-def: $vgpr114
.LBB2_2607:                             ;   in Loop: Header=BB2_2190 Depth=2
	s_delay_alu instid0(SALU_CYCLE_1)
	s_and_b32 vcc_lo, exec_lo, s10
	s_cbranch_vccz .LBB2_2617
; %bb.2608:                             ;   in Loop: Header=BB2_2190 Depth=2
	v_and_b32_e32 v115, 0xff, v113
	s_mov_b32 s10, 0
	s_mov_b32 s26, exec_lo
                                        ; implicit-def: $sgpr25
	s_delay_alu instid0(VALU_DEP_1)
	v_cmpx_lt_i16_e32 0x7f, v115
	s_xor_b32 s26, exec_lo, s26
	s_cbranch_execnz .LBB2_2884
; %bb.2609:                             ;   in Loop: Header=BB2_2190 Depth=2
	s_or_saveexec_b32 s26, s26
	v_mov_b32_e32 v114, s25
	s_xor_b32 exec_lo, exec_lo, s26
	s_cbranch_execnz .LBB2_2887
.LBB2_2610:                             ;   in Loop: Header=BB2_2190 Depth=2
	s_or_b32 exec_lo, exec_lo, s26
	s_and_saveexec_b32 s25, s10
	s_cbranch_execz .LBB2_2612
.LBB2_2611:                             ;   in Loop: Header=BB2_2190 Depth=2
	v_bfe_u32 v114, v17, 16, 3
	v_bfe_u32 v117, v17, 19, 4
	s_delay_alu instid0(VALU_DEP_2) | instskip(NEXT) | instid1(VALU_DEP_2)
	v_clz_i32_u32_e32 v115, v114
	v_cmp_eq_u32_e32 vcc_lo, 0, v117
	s_delay_alu instid0(VALU_DEP_2) | instskip(NEXT) | instid1(VALU_DEP_1)
	v_min_u32_e32 v115, 32, v115
	v_subrev_nc_u32_e32 v116, 28, v115
	v_sub_nc_u32_e32 v115, 29, v115
	s_delay_alu instid0(VALU_DEP_1) | instskip(NEXT) | instid1(VALU_DEP_1)
	v_dual_cndmask_b32 v115, v117, v115 :: v_dual_lshlrev_b32 v116, v116, v113
	v_and_b32_e32 v116, 7, v116
	v_lshlrev_b32_e32 v113, 24, v113
	s_delay_alu instid0(VALU_DEP_3) | instskip(NEXT) | instid1(VALU_DEP_2)
	v_lshl_add_u32 v115, v115, 23, 0x3b800000
	v_dual_cndmask_b32 v114, v114, v116 :: v_dual_and_b32 v113, 0x80000000, v113
	s_delay_alu instid0(VALU_DEP_1) | instskip(NEXT) | instid1(VALU_DEP_1)
	v_lshlrev_b32_e32 v114, 20, v114
	v_or3_b32 v114, v113, v115, v114
.LBB2_2612:                             ;   in Loop: Header=BB2_2190 Depth=2
	s_or_b32 exec_lo, exec_lo, s25
	v_and_b32_e32 v115, 0xff, v112
	s_mov_b32 s10, 0
	s_mov_b32 s26, exec_lo
                                        ; implicit-def: $sgpr25
	s_delay_alu instid0(VALU_DEP_1)
	v_cmpx_lt_i16_e32 0x7f, v115
	s_xor_b32 s26, exec_lo, s26
	s_cbranch_execnz .LBB2_2888
; %bb.2613:                             ;   in Loop: Header=BB2_2190 Depth=2
	s_or_saveexec_b32 s26, s26
	v_mov_b32_e32 v113, s25
	s_xor_b32 exec_lo, exec_lo, s26
	s_cbranch_execnz .LBB2_2891
.LBB2_2614:                             ;   in Loop: Header=BB2_2190 Depth=2
	s_or_b32 exec_lo, exec_lo, s26
	s_and_saveexec_b32 s25, s10
	s_cbranch_execz .LBB2_2616
.LBB2_2615:                             ;   in Loop: Header=BB2_2190 Depth=2
	v_bfe_u32 v113, v13, 16, 3
	v_bfe_u32 v117, v13, 19, 4
	s_delay_alu instid0(VALU_DEP_2) | instskip(NEXT) | instid1(VALU_DEP_2)
	v_clz_i32_u32_e32 v115, v113
	v_cmp_eq_u32_e32 vcc_lo, 0, v117
	s_delay_alu instid0(VALU_DEP_2) | instskip(NEXT) | instid1(VALU_DEP_1)
	v_min_u32_e32 v115, 32, v115
	v_subrev_nc_u32_e32 v116, 28, v115
	v_sub_nc_u32_e32 v115, 29, v115
	s_delay_alu instid0(VALU_DEP_1) | instskip(SKIP_1) | instid1(VALU_DEP_2)
	v_dual_cndmask_b32 v115, v117, v115 :: v_dual_lshlrev_b32 v116, v116, v112
	v_lshlrev_b32_e32 v112, 24, v112
	v_and_b32_e32 v116, 7, v116
	s_delay_alu instid0(VALU_DEP_3) | instskip(NEXT) | instid1(VALU_DEP_3)
	v_lshl_add_u32 v115, v115, 23, 0x3b800000
	v_and_b32_e32 v112, 0x80000000, v112
	s_delay_alu instid0(VALU_DEP_3) | instskip(NEXT) | instid1(VALU_DEP_1)
	v_cndmask_b32_e32 v113, v113, v116, vcc_lo
	v_lshlrev_b32_e32 v113, 20, v113
	s_delay_alu instid0(VALU_DEP_1)
	v_or3_b32 v113, v112, v115, v113
.LBB2_2616:                             ;   in Loop: Header=BB2_2190 Depth=2
	s_or_b32 exec_lo, exec_lo, s25
	s_delay_alu instid0(VALU_DEP_1) | instskip(NEXT) | instid1(VALU_DEP_1)
	v_dual_max_f32 v112, v113, v113 :: v_dual_max_f32 v113, v114, v114
	v_min_f32_e32 v114, v113, v112
.LBB2_2617:                             ;   in Loop: Header=BB2_2190 Depth=2
	s_delay_alu instid0(VALU_DEP_1) | instskip(NEXT) | instid1(VALU_DEP_1)
	v_and_b32_e32 v112, 0x7f800000, v114
	v_cmp_ne_u32_e32 vcc_lo, 0x7f800000, v112
	v_mov_b32_e32 v112, 0x80
	s_and_saveexec_b32 s25, vcc_lo
	s_cbranch_execz .LBB2_2625
; %bb.2618:                             ;   in Loop: Header=BB2_2190 Depth=2
	v_mov_b32_e32 v112, 0
	s_mov_b32 s26, exec_lo
	v_cmpx_ne_u32_e32 0, v114
	s_cbranch_execz .LBB2_2624
; %bb.2619:                             ;   in Loop: Header=BB2_2190 Depth=2
	v_bfe_u32 v112, v114, 23, 8
	v_and_b32_e32 v113, 0x7fffff, v114
	s_delay_alu instid0(VALU_DEP_2) | instskip(SKIP_1) | instid1(VALU_DEP_3)
	v_sub_nc_u32_e32 v115, 0x78, v112
	v_cmp_gt_u32_e32 vcc_lo, 0x79, v112
	v_or_b32_e32 v116, 0x800000, v113
	s_delay_alu instid0(VALU_DEP_3) | instskip(SKIP_2) | instid1(VALU_DEP_3)
	v_cndmask_b32_e32 v115, 0, v115, vcc_lo
	v_cmp_eq_u32_e32 vcc_lo, 0, v112
	v_add_nc_u32_e32 v112, 0xffffff89, v112
	v_cndmask_b32_e64 v115, v115, 0x77, vcc_lo
	v_cndmask_b32_e32 v113, v116, v113, vcc_lo
	s_delay_alu instid0(VALU_DEP_3) | instskip(NEXT) | instid1(VALU_DEP_3)
	v_cndmask_b32_e64 v112, v112, 0xffffff8a, vcc_lo
	v_lshl_add_u32 v116, 0x100000, v115, -1
	s_delay_alu instid0(VALU_DEP_3) | instskip(SKIP_1) | instid1(VALU_DEP_4)
	v_lshrrev_b32_e32 v117, v115, v113
	v_lshlrev_b32_e64 v119, v115, 0x80000
	v_add_nc_u32_e32 v115, v115, v112
	s_delay_alu instid0(VALU_DEP_4) | instskip(NEXT) | instid1(VALU_DEP_4)
	v_and_b32_e32 v113, v116, v113
	v_bfe_u32 v118, v117, 20, 1
	s_delay_alu instid0(VALU_DEP_2) | instskip(NEXT) | instid1(VALU_DEP_2)
	v_cmp_eq_u32_e64 s10, v113, v119
	v_add_nc_u32_e32 v116, -1, v118
	s_delay_alu instid0(VALU_DEP_1) | instskip(SKIP_2) | instid1(VALU_DEP_2)
	v_cndmask_b32_e64 v113, 0, v116, s10
	v_lshrrev_b32_e32 v116, 23, v117
	s_mov_b32 s10, exec_lo
	v_add_nc_u32_e32 v113, v113, v117
	s_delay_alu instid0(VALU_DEP_2) | instskip(NEXT) | instid1(VALU_DEP_2)
	v_xor_b32_e32 v116, 1, v116
	v_and_b32_e32 v112, 0xfffff, v113
	s_delay_alu instid0(VALU_DEP_1) | instskip(NEXT) | instid1(VALU_DEP_3)
	v_add_nc_u32_e32 v113, v112, v117
                                        ; implicit-def: $vgpr112
	v_cmpx_ne_u32_e64 v115, v116
	s_xor_b32 s10, exec_lo, s10
; %bb.2620:                             ;   in Loop: Header=BB2_2190 Depth=2
	s_delay_alu instid0(VALU_DEP_2) | instskip(SKIP_2) | instid1(VALU_DEP_2)
	v_cmp_lt_u32_e32 vcc_lo, 0xffffff, v113
	v_sub_nc_u32_e32 v112, v115, v116
	v_cndmask_b32_e64 v115, 0, 1, vcc_lo
	v_add_co_ci_u32_e32 v112, vcc_lo, 0, v112, vcc_lo
	s_delay_alu instid0(VALU_DEP_2)
	v_lshrrev_b32_e32 v113, v115, v113
; %bb.2621:                             ;   in Loop: Header=BB2_2190 Depth=2
	s_and_not1_saveexec_b32 s10, s10
; %bb.2622:                             ;   in Loop: Header=BB2_2190 Depth=2
	s_delay_alu instid0(VALU_DEP_1)
	v_bfe_u32 v112, v113, 23, 1
; %bb.2623:                             ;   in Loop: Header=BB2_2190 Depth=2
	s_or_b32 exec_lo, exec_lo, s10
	v_lshrrev_b32_e32 v113, 20, v113
	s_delay_alu instid0(VALU_DEP_2) | instskip(SKIP_2) | instid1(VALU_DEP_2)
	v_cmp_gt_i32_e32 vcc_lo, 16, v112
	v_lshrrev_b32_e32 v114, 24, v114
	v_min_i32_e32 v115, 15, v112
	v_dual_cndmask_b32 v113, 7, v113 :: v_dual_and_b32 v114, 0x80, v114
	s_delay_alu instid0(VALU_DEP_1) | instskip(SKIP_1) | instid1(VALU_DEP_2)
	v_or_b32_e32 v112, v112, v113
	v_and_b32_e32 v116, 7, v113
	v_cmp_ne_u32_e32 vcc_lo, 0, v112
	v_lshlrev_b32_e32 v115, 3, v115
	s_delay_alu instid0(VALU_DEP_1) | instskip(NEXT) | instid1(VALU_DEP_1)
	v_and_b32_e32 v115, 0xf8, v115
	v_or3_b32 v113, v115, v114, v116
	s_delay_alu instid0(VALU_DEP_1)
	v_cndmask_b32_e32 v112, 0, v113, vcc_lo
.LBB2_2624:                             ;   in Loop: Header=BB2_2190 Depth=2
	s_or_b32 exec_lo, exec_lo, s26
.LBB2_2625:                             ;   in Loop: Header=BB2_2190 Depth=2
	s_delay_alu instid0(SALU_CYCLE_1)
	s_or_b32 exec_lo, exec_lo, s25
	v_lshrrev_b32_e32 v114, 24, v17
	v_lshrrev_b32_e32 v113, 24, v13
	s_and_b32 vcc_lo, exec_lo, s24
	s_cbranch_vccz .LBB2_2635
; %bb.2626:                             ;   in Loop: Header=BB2_2190 Depth=2
	s_mov_b32 s10, 0
	s_mov_b32 s26, exec_lo
                                        ; implicit-def: $sgpr25
	v_cmpx_lt_i16_e32 0x7f, v114
	s_xor_b32 s26, exec_lo, s26
	s_cbranch_execnz .LBB2_2892
; %bb.2627:                             ;   in Loop: Header=BB2_2190 Depth=2
	s_or_saveexec_b32 s26, s26
	v_mov_b32_e32 v115, s25
	s_xor_b32 exec_lo, exec_lo, s26
	s_cbranch_execnz .LBB2_2895
.LBB2_2628:                             ;   in Loop: Header=BB2_2190 Depth=2
	s_or_b32 exec_lo, exec_lo, s26
	s_and_saveexec_b32 s25, s10
	s_cbranch_execz .LBB2_2630
.LBB2_2629:                             ;   in Loop: Header=BB2_2190 Depth=2
	v_bfe_u32 v115, v17, 24, 3
	v_bfe_u32 v118, v17, 27, 4
	s_delay_alu instid0(VALU_DEP_2) | instskip(NEXT) | instid1(VALU_DEP_2)
	v_clz_i32_u32_e32 v116, v115
	v_cmp_eq_u32_e32 vcc_lo, 0, v118
	s_delay_alu instid0(VALU_DEP_2) | instskip(NEXT) | instid1(VALU_DEP_1)
	v_min_u32_e32 v116, 32, v116
	v_subrev_nc_u32_e32 v117, 28, v116
	v_sub_nc_u32_e32 v116, 29, v116
	s_delay_alu instid0(VALU_DEP_1) | instskip(NEXT) | instid1(VALU_DEP_1)
	v_dual_cndmask_b32 v116, v118, v116 :: v_dual_lshlrev_b32 v117, v117, v114
	v_and_b32_e32 v117, 7, v117
	s_delay_alu instid0(VALU_DEP_2) | instskip(NEXT) | instid1(VALU_DEP_2)
	v_lshl_add_u32 v116, v116, 23, 0x3b800000
	v_cndmask_b32_e32 v115, v115, v117, vcc_lo
	v_and_b32_e32 v117, 0x80000000, v17
	s_delay_alu instid0(VALU_DEP_2) | instskip(NEXT) | instid1(VALU_DEP_1)
	v_lshlrev_b32_e32 v115, 20, v115
	v_or3_b32 v115, v117, v116, v115
.LBB2_2630:                             ;   in Loop: Header=BB2_2190 Depth=2
	s_or_b32 exec_lo, exec_lo, s25
	s_mov_b32 s10, 0
	s_mov_b32 s26, exec_lo
                                        ; implicit-def: $sgpr25
	v_cmpx_lt_i16_e32 0x7f, v113
	s_xor_b32 s26, exec_lo, s26
	s_cbranch_execnz .LBB2_2896
; %bb.2631:                             ;   in Loop: Header=BB2_2190 Depth=2
	s_or_saveexec_b32 s26, s26
	v_mov_b32_e32 v116, s25
	s_xor_b32 exec_lo, exec_lo, s26
	s_cbranch_execnz .LBB2_2899
.LBB2_2632:                             ;   in Loop: Header=BB2_2190 Depth=2
	s_or_b32 exec_lo, exec_lo, s26
	s_and_saveexec_b32 s25, s10
	s_cbranch_execz .LBB2_2634
.LBB2_2633:                             ;   in Loop: Header=BB2_2190 Depth=2
	v_bfe_u32 v116, v13, 24, 3
	v_bfe_u32 v119, v13, 27, 4
	s_delay_alu instid0(VALU_DEP_2) | instskip(NEXT) | instid1(VALU_DEP_2)
	v_clz_i32_u32_e32 v117, v116
	v_cmp_eq_u32_e32 vcc_lo, 0, v119
	s_delay_alu instid0(VALU_DEP_2) | instskip(NEXT) | instid1(VALU_DEP_1)
	v_min_u32_e32 v117, 32, v117
	v_subrev_nc_u32_e32 v118, 28, v117
	v_sub_nc_u32_e32 v117, 29, v117
	s_delay_alu instid0(VALU_DEP_2) | instskip(NEXT) | instid1(VALU_DEP_1)
	v_lshlrev_b32_e32 v118, v118, v113
	v_dual_cndmask_b32 v117, v119, v117 :: v_dual_and_b32 v118, 7, v118
	s_delay_alu instid0(VALU_DEP_1) | instskip(NEXT) | instid1(VALU_DEP_2)
	v_lshl_add_u32 v117, v117, 23, 0x3b800000
	v_cndmask_b32_e32 v116, v116, v118, vcc_lo
	v_and_b32_e32 v118, 0x80000000, v13
	s_delay_alu instid0(VALU_DEP_2) | instskip(NEXT) | instid1(VALU_DEP_1)
	v_lshlrev_b32_e32 v116, 20, v116
	v_or3_b32 v116, v118, v117, v116
.LBB2_2634:                             ;   in Loop: Header=BB2_2190 Depth=2
	s_or_b32 exec_lo, exec_lo, s25
	s_delay_alu instid0(VALU_DEP_1) | instskip(SKIP_1) | instid1(VALU_DEP_1)
	v_dual_max_f32 v116, v116, v116 :: v_dual_max_f32 v115, v115, v115
	s_mov_b32 s10, 0
	v_max_f32_e32 v115, v115, v116
	s_branch .LBB2_2636
.LBB2_2635:                             ;   in Loop: Header=BB2_2190 Depth=2
	s_mov_b32 s10, -1
                                        ; implicit-def: $vgpr115
.LBB2_2636:                             ;   in Loop: Header=BB2_2190 Depth=2
	s_delay_alu instid0(SALU_CYCLE_1)
	s_and_b32 vcc_lo, exec_lo, s10
	s_cbranch_vccz .LBB2_2646
; %bb.2637:                             ;   in Loop: Header=BB2_2190 Depth=2
	s_mov_b32 s10, 0
	s_mov_b32 s26, exec_lo
                                        ; implicit-def: $sgpr25
	v_cmpx_lt_i16_e32 0x7f, v114
	s_xor_b32 s26, exec_lo, s26
	s_cbranch_execnz .LBB2_2900
; %bb.2638:                             ;   in Loop: Header=BB2_2190 Depth=2
	s_or_saveexec_b32 s26, s26
	v_mov_b32_e32 v115, s25
	s_xor_b32 exec_lo, exec_lo, s26
	s_cbranch_execnz .LBB2_2903
.LBB2_2639:                             ;   in Loop: Header=BB2_2190 Depth=2
	s_or_b32 exec_lo, exec_lo, s26
	s_and_saveexec_b32 s25, s10
	s_cbranch_execz .LBB2_2641
.LBB2_2640:                             ;   in Loop: Header=BB2_2190 Depth=2
	v_bfe_u32 v115, v17, 24, 3
	s_delay_alu instid0(VALU_DEP_1) | instskip(NEXT) | instid1(VALU_DEP_1)
	v_clz_i32_u32_e32 v116, v115
	v_min_u32_e32 v116, 32, v116
	s_delay_alu instid0(VALU_DEP_1) | instskip(SKIP_1) | instid1(VALU_DEP_2)
	v_subrev_nc_u32_e32 v117, 28, v116
	v_sub_nc_u32_e32 v116, 29, v116
	v_lshlrev_b32_e32 v114, v117, v114
	v_bfe_u32 v117, v17, 27, 4
	v_and_b32_e32 v17, 0x80000000, v17
	s_delay_alu instid0(VALU_DEP_3) | instskip(NEXT) | instid1(VALU_DEP_3)
	v_and_b32_e32 v114, 7, v114
	v_cmp_eq_u32_e32 vcc_lo, 0, v117
	v_cndmask_b32_e32 v116, v117, v116, vcc_lo
	s_delay_alu instid0(VALU_DEP_3) | instskip(NEXT) | instid1(VALU_DEP_2)
	v_cndmask_b32_e32 v114, v115, v114, vcc_lo
	v_lshl_add_u32 v115, v116, 23, 0x3b800000
	s_delay_alu instid0(VALU_DEP_2) | instskip(NEXT) | instid1(VALU_DEP_1)
	v_lshlrev_b32_e32 v114, 20, v114
	v_or3_b32 v115, v17, v115, v114
.LBB2_2641:                             ;   in Loop: Header=BB2_2190 Depth=2
	s_or_b32 exec_lo, exec_lo, s25
	s_mov_b32 s10, 0
	s_mov_b32 s26, exec_lo
                                        ; implicit-def: $sgpr25
	v_cmpx_lt_i16_e32 0x7f, v113
	s_xor_b32 s26, exec_lo, s26
	s_cbranch_execnz .LBB2_2904
; %bb.2642:                             ;   in Loop: Header=BB2_2190 Depth=2
	s_or_saveexec_b32 s26, s26
	v_mov_b32_e32 v17, s25
	s_xor_b32 exec_lo, exec_lo, s26
	s_cbranch_execnz .LBB2_2907
.LBB2_2643:                             ;   in Loop: Header=BB2_2190 Depth=2
	s_or_b32 exec_lo, exec_lo, s26
	s_and_saveexec_b32 s25, s10
	s_cbranch_execz .LBB2_2645
.LBB2_2644:                             ;   in Loop: Header=BB2_2190 Depth=2
	v_bfe_u32 v17, v13, 24, 3
	s_delay_alu instid0(VALU_DEP_1) | instskip(NEXT) | instid1(VALU_DEP_1)
	v_clz_i32_u32_e32 v114, v17
	v_min_u32_e32 v114, 32, v114
	s_delay_alu instid0(VALU_DEP_1) | instskip(SKIP_1) | instid1(VALU_DEP_2)
	v_subrev_nc_u32_e32 v116, 28, v114
	v_sub_nc_u32_e32 v114, 29, v114
	v_lshlrev_b32_e32 v113, v116, v113
	v_bfe_u32 v116, v13, 27, 4
	v_and_b32_e32 v13, 0x80000000, v13
	s_delay_alu instid0(VALU_DEP_2) | instskip(NEXT) | instid1(VALU_DEP_4)
	v_cmp_eq_u32_e32 vcc_lo, 0, v116
	v_dual_cndmask_b32 v114, v116, v114 :: v_dual_and_b32 v113, 7, v113
	s_delay_alu instid0(VALU_DEP_1) | instskip(NEXT) | instid1(VALU_DEP_2)
	v_cndmask_b32_e32 v17, v17, v113, vcc_lo
	v_lshl_add_u32 v113, v114, 23, 0x3b800000
	s_delay_alu instid0(VALU_DEP_2) | instskip(NEXT) | instid1(VALU_DEP_1)
	v_lshlrev_b32_e32 v17, 20, v17
	v_or3_b32 v17, v13, v113, v17
.LBB2_2645:                             ;   in Loop: Header=BB2_2190 Depth=2
	s_or_b32 exec_lo, exec_lo, s25
	s_delay_alu instid0(VALU_DEP_1) | instskip(SKIP_1) | instid1(VALU_DEP_1)
	v_max_f32_e32 v13, v17, v17
	v_max_f32_e32 v17, v115, v115
	v_min_f32_e32 v115, v17, v13
.LBB2_2646:                             ;   in Loop: Header=BB2_2190 Depth=2
	s_delay_alu instid0(VALU_DEP_1) | instskip(NEXT) | instid1(VALU_DEP_1)
	v_and_b32_e32 v13, 0x7f800000, v115
	v_cmp_ne_u32_e32 vcc_lo, 0x7f800000, v13
	v_mov_b32_e32 v13, 0x8000
	s_and_saveexec_b32 s25, vcc_lo
	s_cbranch_execz .LBB2_2189
; %bb.2647:                             ;   in Loop: Header=BB2_2190 Depth=2
	v_mov_b32_e32 v13, 0
	s_mov_b32 s26, exec_lo
	v_cmpx_ne_u32_e32 0, v115
	s_cbranch_execz .LBB2_2188
; %bb.2648:                             ;   in Loop: Header=BB2_2190 Depth=2
	v_bfe_u32 v13, v115, 23, 8
	v_and_b32_e32 v17, 0x7fffff, v115
	s_delay_alu instid0(VALU_DEP_2) | instskip(SKIP_1) | instid1(VALU_DEP_3)
	v_sub_nc_u32_e32 v113, 0x78, v13
	v_cmp_gt_u32_e32 vcc_lo, 0x79, v13
	v_or_b32_e32 v114, 0x800000, v17
	s_delay_alu instid0(VALU_DEP_3) | instskip(SKIP_2) | instid1(VALU_DEP_3)
	v_cndmask_b32_e32 v113, 0, v113, vcc_lo
	v_cmp_eq_u32_e32 vcc_lo, 0, v13
	v_add_nc_u32_e32 v13, 0xffffff89, v13
	v_cndmask_b32_e64 v113, v113, 0x77, vcc_lo
	v_cndmask_b32_e32 v17, v114, v17, vcc_lo
	s_delay_alu instid0(VALU_DEP_3) | instskip(NEXT) | instid1(VALU_DEP_3)
	v_cndmask_b32_e64 v13, v13, 0xffffff8a, vcc_lo
	v_lshl_add_u32 v114, 0x100000, v113, -1
	s_delay_alu instid0(VALU_DEP_3) | instskip(SKIP_1) | instid1(VALU_DEP_4)
	v_lshrrev_b32_e32 v116, v113, v17
	v_lshlrev_b32_e64 v118, v113, 0x80000
	v_add_nc_u32_e32 v113, v113, v13
	s_delay_alu instid0(VALU_DEP_4) | instskip(NEXT) | instid1(VALU_DEP_4)
	v_and_b32_e32 v17, v114, v17
	v_bfe_u32 v117, v116, 20, 1
	s_delay_alu instid0(VALU_DEP_2) | instskip(NEXT) | instid1(VALU_DEP_2)
	v_cmp_eq_u32_e64 s10, v17, v118
	v_add_nc_u32_e32 v114, -1, v117
	s_delay_alu instid0(VALU_DEP_1) | instskip(SKIP_2) | instid1(VALU_DEP_2)
	v_cndmask_b32_e64 v17, 0, v114, s10
	v_lshrrev_b32_e32 v114, 23, v116
	s_mov_b32 s10, exec_lo
	v_add_nc_u32_e32 v17, v17, v116
	s_delay_alu instid0(VALU_DEP_2) | instskip(NEXT) | instid1(VALU_DEP_2)
	v_xor_b32_e32 v114, 1, v114
	v_and_b32_e32 v13, 0xfffff, v17
	s_delay_alu instid0(VALU_DEP_1) | instskip(NEXT) | instid1(VALU_DEP_3)
	v_add_nc_u32_e32 v17, v13, v116
                                        ; implicit-def: $vgpr13
	v_cmpx_ne_u32_e64 v113, v114
	s_xor_b32 s10, exec_lo, s10
; %bb.2649:                             ;   in Loop: Header=BB2_2190 Depth=2
	s_delay_alu instid0(VALU_DEP_2) | instskip(SKIP_2) | instid1(VALU_DEP_2)
	v_cmp_lt_u32_e32 vcc_lo, 0xffffff, v17
	v_sub_nc_u32_e32 v13, v113, v114
	v_cndmask_b32_e64 v113, 0, 1, vcc_lo
	v_add_co_ci_u32_e32 v13, vcc_lo, 0, v13, vcc_lo
	s_delay_alu instid0(VALU_DEP_2)
	v_lshrrev_b32_e32 v17, v113, v17
; %bb.2650:                             ;   in Loop: Header=BB2_2190 Depth=2
	s_and_not1_saveexec_b32 s10, s10
	s_cbranch_execz .LBB2_2187
; %bb.2651:                             ;   in Loop: Header=BB2_2190 Depth=2
	s_delay_alu instid0(VALU_DEP_1)
	v_bfe_u32 v13, v17, 23, 1
	s_branch .LBB2_2187
.LBB2_2652:                             ;   in Loop: Header=BB2_2190 Depth=2
	s_mov_b32 s10, -1
	s_mov_b32 s27, exec_lo
                                        ; implicit-def: $sgpr25
	v_cmpx_eq_u16_e32 0x80, v97
; %bb.2653:                             ;   in Loop: Header=BB2_2190 Depth=2
	s_mov_b32 s25, 0x7f800001
	s_xor_b32 s10, exec_lo, -1
; %bb.2654:                             ;   in Loop: Header=BB2_2190 Depth=2
	s_or_b32 exec_lo, exec_lo, s27
	s_delay_alu instid0(SALU_CYCLE_1)
	s_and_b32 s10, s10, exec_lo
                                        ; implicit-def: $vgpr97
	s_or_saveexec_b32 s26, s26
	v_mov_b32_e32 v86, s25
	s_xor_b32 exec_lo, exec_lo, s26
	s_cbranch_execz .LBB2_2193
.LBB2_2655:                             ;   in Loop: Header=BB2_2190 Depth=2
	v_cmp_ne_u16_e32 vcc_lo, 0, v97
	v_mov_b32_e32 v86, 0
	s_and_not1_b32 s10, s10, exec_lo
	s_and_b32 s25, vcc_lo, exec_lo
	s_delay_alu instid0(SALU_CYCLE_1)
	s_or_b32 s10, s10, s25
	s_or_b32 exec_lo, exec_lo, s26
	s_and_saveexec_b32 s25, s10
	s_cbranch_execnz .LBB2_2194
	s_branch .LBB2_2195
.LBB2_2656:                             ;   in Loop: Header=BB2_2190 Depth=2
	s_mov_b32 s10, -1
	s_mov_b32 s27, exec_lo
                                        ; implicit-def: $sgpr25
	v_cmpx_eq_u16_e32 0x80, v98
; %bb.2657:                             ;   in Loop: Header=BB2_2190 Depth=2
	s_mov_b32 s25, 0x7f800001
	s_xor_b32 s10, exec_lo, -1
; %bb.2658:                             ;   in Loop: Header=BB2_2190 Depth=2
	s_or_b32 exec_lo, exec_lo, s27
	s_delay_alu instid0(SALU_CYCLE_1)
	s_and_b32 s10, s10, exec_lo
                                        ; implicit-def: $vgpr98
	s_or_saveexec_b32 s26, s26
	v_mov_b32_e32 v97, s25
	s_xor_b32 exec_lo, exec_lo, s26
	s_cbranch_execz .LBB2_2197
.LBB2_2659:                             ;   in Loop: Header=BB2_2190 Depth=2
	v_cmp_ne_u16_e32 vcc_lo, 0, v98
	v_mov_b32_e32 v97, 0
	s_and_not1_b32 s10, s10, exec_lo
	s_and_b32 s25, vcc_lo, exec_lo
	s_delay_alu instid0(SALU_CYCLE_1)
	s_or_b32 s10, s10, s25
	s_or_b32 exec_lo, exec_lo, s26
	s_and_saveexec_b32 s25, s10
	s_cbranch_execnz .LBB2_2198
	s_branch .LBB2_2199
.LBB2_2660:                             ;   in Loop: Header=BB2_2190 Depth=2
	s_mov_b32 s10, -1
	s_mov_b32 s27, exec_lo
                                        ; implicit-def: $sgpr25
	v_cmpx_eq_u16_e32 0x80, v97
; %bb.2661:                             ;   in Loop: Header=BB2_2190 Depth=2
	s_mov_b32 s25, 0x7f800001
	s_xor_b32 s10, exec_lo, -1
; %bb.2662:                             ;   in Loop: Header=BB2_2190 Depth=2
	s_or_b32 exec_lo, exec_lo, s27
	s_delay_alu instid0(SALU_CYCLE_1)
	s_and_b32 s10, s10, exec_lo
                                        ; implicit-def: $vgpr97
	s_or_saveexec_b32 s26, s26
	v_mov_b32_e32 v86, s25
	s_xor_b32 exec_lo, exec_lo, s26
	s_cbranch_execz .LBB2_2204
.LBB2_2663:                             ;   in Loop: Header=BB2_2190 Depth=2
	v_cmp_ne_u16_e32 vcc_lo, 0, v97
	v_mov_b32_e32 v86, 0
	s_and_not1_b32 s10, s10, exec_lo
	s_and_b32 s25, vcc_lo, exec_lo
	s_delay_alu instid0(SALU_CYCLE_1)
	s_or_b32 s10, s10, s25
	s_or_b32 exec_lo, exec_lo, s26
	s_and_saveexec_b32 s25, s10
	s_cbranch_execnz .LBB2_2205
	s_branch .LBB2_2206
.LBB2_2664:                             ;   in Loop: Header=BB2_2190 Depth=2
	s_mov_b32 s10, -1
	s_mov_b32 s27, exec_lo
                                        ; implicit-def: $sgpr25
	v_cmpx_eq_u16_e32 0x80, v98
; %bb.2665:                             ;   in Loop: Header=BB2_2190 Depth=2
	s_mov_b32 s25, 0x7f800001
	s_xor_b32 s10, exec_lo, -1
; %bb.2666:                             ;   in Loop: Header=BB2_2190 Depth=2
	s_or_b32 exec_lo, exec_lo, s27
	s_delay_alu instid0(SALU_CYCLE_1)
	s_and_b32 s10, s10, exec_lo
                                        ; implicit-def: $vgpr98
	s_or_saveexec_b32 s26, s26
	v_mov_b32_e32 v97, s25
	s_xor_b32 exec_lo, exec_lo, s26
	s_cbranch_execz .LBB2_2208
.LBB2_2667:                             ;   in Loop: Header=BB2_2190 Depth=2
	v_cmp_ne_u16_e32 vcc_lo, 0, v98
	v_mov_b32_e32 v97, 0
	s_and_not1_b32 s10, s10, exec_lo
	s_and_b32 s25, vcc_lo, exec_lo
	s_delay_alu instid0(SALU_CYCLE_1)
	s_or_b32 s10, s10, s25
	s_or_b32 exec_lo, exec_lo, s26
	s_and_saveexec_b32 s25, s10
	s_cbranch_execnz .LBB2_2209
	s_branch .LBB2_2210
.LBB2_2668:                             ;   in Loop: Header=BB2_2190 Depth=2
	s_mov_b32 s10, -1
	s_mov_b32 s27, exec_lo
                                        ; implicit-def: $sgpr25
	v_cmpx_eq_u16_e32 0x80, v98
; %bb.2669:                             ;   in Loop: Header=BB2_2190 Depth=2
	s_mov_b32 s25, 0x7f800001
	s_xor_b32 s10, exec_lo, -1
; %bb.2670:                             ;   in Loop: Header=BB2_2190 Depth=2
	s_or_b32 exec_lo, exec_lo, s27
	s_delay_alu instid0(SALU_CYCLE_1)
	s_and_b32 s10, s10, exec_lo
	s_or_saveexec_b32 s26, s26
	v_mov_b32_e32 v99, s25
	s_xor_b32 exec_lo, exec_lo, s26
	s_cbranch_execz .LBB2_2222
.LBB2_2671:                             ;   in Loop: Header=BB2_2190 Depth=2
	v_cmp_ne_u16_e32 vcc_lo, 0, v98
	v_mov_b32_e32 v99, 0
	s_and_not1_b32 s10, s10, exec_lo
	s_and_b32 s25, vcc_lo, exec_lo
	s_delay_alu instid0(SALU_CYCLE_1)
	s_or_b32 s10, s10, s25
	s_or_b32 exec_lo, exec_lo, s26
	s_and_saveexec_b32 s25, s10
	s_cbranch_execnz .LBB2_2223
	s_branch .LBB2_2224
.LBB2_2672:                             ;   in Loop: Header=BB2_2190 Depth=2
	s_mov_b32 s10, -1
	s_mov_b32 s27, exec_lo
                                        ; implicit-def: $sgpr25
	v_cmpx_eq_u16_e32 0x80, v97
; %bb.2673:                             ;   in Loop: Header=BB2_2190 Depth=2
	s_mov_b32 s25, 0x7f800001
	s_xor_b32 s10, exec_lo, -1
; %bb.2674:                             ;   in Loop: Header=BB2_2190 Depth=2
	s_or_b32 exec_lo, exec_lo, s27
	s_delay_alu instid0(SALU_CYCLE_1)
	s_and_b32 s10, s10, exec_lo
	s_or_saveexec_b32 s26, s26
	v_mov_b32_e32 v100, s25
	s_xor_b32 exec_lo, exec_lo, s26
	s_cbranch_execz .LBB2_2226
.LBB2_2675:                             ;   in Loop: Header=BB2_2190 Depth=2
	v_cmp_ne_u16_e32 vcc_lo, 0, v97
	v_mov_b32_e32 v100, 0
	s_and_not1_b32 s10, s10, exec_lo
	s_and_b32 s25, vcc_lo, exec_lo
	s_delay_alu instid0(SALU_CYCLE_1)
	s_or_b32 s10, s10, s25
	s_or_b32 exec_lo, exec_lo, s26
	s_and_saveexec_b32 s25, s10
	s_cbranch_execnz .LBB2_2227
	s_branch .LBB2_2228
.LBB2_2676:                             ;   in Loop: Header=BB2_2190 Depth=2
	s_mov_b32 s10, -1
	s_mov_b32 s27, exec_lo
                                        ; implicit-def: $sgpr25
	v_cmpx_eq_u16_e32 0x80, v98
; %bb.2677:                             ;   in Loop: Header=BB2_2190 Depth=2
	s_mov_b32 s25, 0x7f800001
	s_xor_b32 s10, exec_lo, -1
; %bb.2678:                             ;   in Loop: Header=BB2_2190 Depth=2
	s_or_b32 exec_lo, exec_lo, s27
	s_delay_alu instid0(SALU_CYCLE_1)
	s_and_b32 s10, s10, exec_lo
	s_or_saveexec_b32 s26, s26
	v_mov_b32_e32 v99, s25
	s_xor_b32 exec_lo, exec_lo, s26
	s_cbranch_execz .LBB2_2233
.LBB2_2679:                             ;   in Loop: Header=BB2_2190 Depth=2
	v_cmp_ne_u16_e32 vcc_lo, 0, v98
	v_mov_b32_e32 v99, 0
	s_and_not1_b32 s10, s10, exec_lo
	s_and_b32 s25, vcc_lo, exec_lo
	s_delay_alu instid0(SALU_CYCLE_1)
	s_or_b32 s10, s10, s25
	s_or_b32 exec_lo, exec_lo, s26
	s_and_saveexec_b32 s25, s10
	s_cbranch_execnz .LBB2_2234
	s_branch .LBB2_2235
.LBB2_2680:                             ;   in Loop: Header=BB2_2190 Depth=2
	s_mov_b32 s10, -1
	s_mov_b32 s27, exec_lo
                                        ; implicit-def: $sgpr25
	v_cmpx_eq_u16_e32 0x80, v97
; %bb.2681:                             ;   in Loop: Header=BB2_2190 Depth=2
	s_mov_b32 s25, 0x7f800001
	s_xor_b32 s10, exec_lo, -1
; %bb.2682:                             ;   in Loop: Header=BB2_2190 Depth=2
	s_or_b32 exec_lo, exec_lo, s27
	s_delay_alu instid0(SALU_CYCLE_1)
	s_and_b32 s10, s10, exec_lo
	s_or_saveexec_b32 s26, s26
	v_mov_b32_e32 v98, s25
	s_xor_b32 exec_lo, exec_lo, s26
	s_cbranch_execz .LBB2_2237
.LBB2_2683:                             ;   in Loop: Header=BB2_2190 Depth=2
	v_cmp_ne_u16_e32 vcc_lo, 0, v97
	v_mov_b32_e32 v98, 0
	s_and_not1_b32 s10, s10, exec_lo
	s_and_b32 s25, vcc_lo, exec_lo
	s_delay_alu instid0(SALU_CYCLE_1)
	s_or_b32 s10, s10, s25
	s_or_b32 exec_lo, exec_lo, s26
	s_and_saveexec_b32 s25, s10
	s_cbranch_execnz .LBB2_2238
	s_branch .LBB2_2239
.LBB2_2684:                             ;   in Loop: Header=BB2_2190 Depth=2
	s_mov_b32 s10, -1
	s_mov_b32 s27, exec_lo
                                        ; implicit-def: $sgpr25
	v_cmpx_eq_u16_e32 0x80, v101
; %bb.2685:                             ;   in Loop: Header=BB2_2190 Depth=2
	s_mov_b32 s25, 0x7f800001
	s_xor_b32 s10, exec_lo, -1
; %bb.2686:                             ;   in Loop: Header=BB2_2190 Depth=2
	s_or_b32 exec_lo, exec_lo, s27
	s_delay_alu instid0(SALU_CYCLE_1)
	s_and_b32 s10, s10, exec_lo
                                        ; implicit-def: $vgpr101
	s_or_saveexec_b32 s26, s26
	v_mov_b32_e32 v100, s25
	s_xor_b32 exec_lo, exec_lo, s26
	s_cbranch_execz .LBB2_2251
.LBB2_2687:                             ;   in Loop: Header=BB2_2190 Depth=2
	v_cmp_ne_u16_e32 vcc_lo, 0, v101
	v_mov_b32_e32 v100, 0
	s_and_not1_b32 s10, s10, exec_lo
	s_and_b32 s25, vcc_lo, exec_lo
	s_delay_alu instid0(SALU_CYCLE_1)
	s_or_b32 s10, s10, s25
	s_or_b32 exec_lo, exec_lo, s26
	s_and_saveexec_b32 s25, s10
	s_cbranch_execnz .LBB2_2252
	s_branch .LBB2_2253
.LBB2_2688:                             ;   in Loop: Header=BB2_2190 Depth=2
	s_mov_b32 s10, -1
	s_mov_b32 s27, exec_lo
                                        ; implicit-def: $sgpr25
	v_cmpx_eq_u16_e32 0x80, v102
; %bb.2689:                             ;   in Loop: Header=BB2_2190 Depth=2
	s_mov_b32 s25, 0x7f800001
	s_xor_b32 s10, exec_lo, -1
; %bb.2690:                             ;   in Loop: Header=BB2_2190 Depth=2
	s_or_b32 exec_lo, exec_lo, s27
	s_delay_alu instid0(SALU_CYCLE_1)
	s_and_b32 s10, s10, exec_lo
                                        ; implicit-def: $vgpr102
	s_or_saveexec_b32 s26, s26
	v_mov_b32_e32 v101, s25
	s_xor_b32 exec_lo, exec_lo, s26
	s_cbranch_execz .LBB2_2255
.LBB2_2691:                             ;   in Loop: Header=BB2_2190 Depth=2
	v_cmp_ne_u16_e32 vcc_lo, 0, v102
	v_mov_b32_e32 v101, 0
	s_and_not1_b32 s10, s10, exec_lo
	s_and_b32 s25, vcc_lo, exec_lo
	s_delay_alu instid0(SALU_CYCLE_1)
	s_or_b32 s10, s10, s25
	s_or_b32 exec_lo, exec_lo, s26
	s_and_saveexec_b32 s25, s10
	s_cbranch_execnz .LBB2_2256
	s_branch .LBB2_2257
.LBB2_2692:                             ;   in Loop: Header=BB2_2190 Depth=2
	s_mov_b32 s10, -1
	s_mov_b32 s27, exec_lo
                                        ; implicit-def: $sgpr25
	v_cmpx_eq_u16_e32 0x80, v101
; %bb.2693:                             ;   in Loop: Header=BB2_2190 Depth=2
	s_mov_b32 s25, 0x7f800001
	s_xor_b32 s10, exec_lo, -1
; %bb.2694:                             ;   in Loop: Header=BB2_2190 Depth=2
	s_or_b32 exec_lo, exec_lo, s27
	s_delay_alu instid0(SALU_CYCLE_1)
	s_and_b32 s10, s10, exec_lo
                                        ; implicit-def: $vgpr101
	s_or_saveexec_b32 s26, s26
	v_mov_b32_e32 v100, s25
	s_xor_b32 exec_lo, exec_lo, s26
	s_cbranch_execz .LBB2_2262
.LBB2_2695:                             ;   in Loop: Header=BB2_2190 Depth=2
	v_cmp_ne_u16_e32 vcc_lo, 0, v101
	v_mov_b32_e32 v100, 0
	s_and_not1_b32 s10, s10, exec_lo
	s_and_b32 s25, vcc_lo, exec_lo
	s_delay_alu instid0(SALU_CYCLE_1)
	s_or_b32 s10, s10, s25
	s_or_b32 exec_lo, exec_lo, s26
	s_and_saveexec_b32 s25, s10
	s_cbranch_execnz .LBB2_2263
	s_branch .LBB2_2264
.LBB2_2696:                             ;   in Loop: Header=BB2_2190 Depth=2
	s_mov_b32 s10, -1
	s_mov_b32 s27, exec_lo
                                        ; implicit-def: $sgpr25
	v_cmpx_eq_u16_e32 0x80, v101
; %bb.2697:                             ;   in Loop: Header=BB2_2190 Depth=2
	s_mov_b32 s25, 0x7f800001
	s_xor_b32 s10, exec_lo, -1
; %bb.2698:                             ;   in Loop: Header=BB2_2190 Depth=2
	s_or_b32 exec_lo, exec_lo, s27
	s_delay_alu instid0(SALU_CYCLE_1)
	s_and_b32 s10, s10, exec_lo
                                        ; implicit-def: $vgpr101
	s_or_saveexec_b32 s26, s26
	v_mov_b32_e32 v99, s25
	s_xor_b32 exec_lo, exec_lo, s26
	s_cbranch_execz .LBB2_2266
.LBB2_2699:                             ;   in Loop: Header=BB2_2190 Depth=2
	v_cmp_ne_u16_e32 vcc_lo, 0, v101
	v_mov_b32_e32 v99, 0
	s_and_not1_b32 s10, s10, exec_lo
	s_and_b32 s25, vcc_lo, exec_lo
	s_delay_alu instid0(SALU_CYCLE_1)
	s_or_b32 s10, s10, s25
	s_or_b32 exec_lo, exec_lo, s26
	s_and_saveexec_b32 s25, s10
	s_cbranch_execnz .LBB2_2267
	s_branch .LBB2_2268
.LBB2_2700:                             ;   in Loop: Header=BB2_2190 Depth=2
	s_mov_b32 s10, -1
	s_mov_b32 s27, exec_lo
                                        ; implicit-def: $sgpr25
	v_cmpx_eq_u16_e32 0x80, v100
; %bb.2701:                             ;   in Loop: Header=BB2_2190 Depth=2
	s_mov_b32 s25, 0x7f800001
	s_xor_b32 s10, exec_lo, -1
; %bb.2702:                             ;   in Loop: Header=BB2_2190 Depth=2
	s_or_b32 exec_lo, exec_lo, s27
	s_delay_alu instid0(SALU_CYCLE_1)
	s_and_b32 s10, s10, exec_lo
	s_or_saveexec_b32 s26, s26
	v_mov_b32_e32 v101, s25
	s_xor_b32 exec_lo, exec_lo, s26
	s_cbranch_execz .LBB2_2280
.LBB2_2703:                             ;   in Loop: Header=BB2_2190 Depth=2
	v_cmp_ne_u16_e32 vcc_lo, 0, v100
	v_mov_b32_e32 v101, 0
	s_and_not1_b32 s10, s10, exec_lo
	s_and_b32 s25, vcc_lo, exec_lo
	s_delay_alu instid0(SALU_CYCLE_1)
	s_or_b32 s10, s10, s25
	s_or_b32 exec_lo, exec_lo, s26
	s_and_saveexec_b32 s25, s10
	s_cbranch_execnz .LBB2_2281
	s_branch .LBB2_2282
.LBB2_2704:                             ;   in Loop: Header=BB2_2190 Depth=2
	s_mov_b32 s10, -1
	s_mov_b32 s27, exec_lo
                                        ; implicit-def: $sgpr25
	v_cmpx_eq_u16_e32 0x80, v99
; %bb.2705:                             ;   in Loop: Header=BB2_2190 Depth=2
	s_mov_b32 s25, 0x7f800001
	s_xor_b32 s10, exec_lo, -1
; %bb.2706:                             ;   in Loop: Header=BB2_2190 Depth=2
	s_or_b32 exec_lo, exec_lo, s27
	s_delay_alu instid0(SALU_CYCLE_1)
	s_and_b32 s10, s10, exec_lo
	s_or_saveexec_b32 s26, s26
	v_mov_b32_e32 v102, s25
	s_xor_b32 exec_lo, exec_lo, s26
	s_cbranch_execz .LBB2_2284
.LBB2_2707:                             ;   in Loop: Header=BB2_2190 Depth=2
	v_cmp_ne_u16_e32 vcc_lo, 0, v99
	v_mov_b32_e32 v102, 0
	s_and_not1_b32 s10, s10, exec_lo
	s_and_b32 s25, vcc_lo, exec_lo
	s_delay_alu instid0(SALU_CYCLE_1)
	s_or_b32 s10, s10, s25
	s_or_b32 exec_lo, exec_lo, s26
	s_and_saveexec_b32 s25, s10
	s_cbranch_execnz .LBB2_2285
	s_branch .LBB2_2286
.LBB2_2708:                             ;   in Loop: Header=BB2_2190 Depth=2
	s_mov_b32 s10, -1
	s_mov_b32 s27, exec_lo
                                        ; implicit-def: $sgpr25
	v_cmpx_eq_u16_e32 0x80, v100
; %bb.2709:                             ;   in Loop: Header=BB2_2190 Depth=2
	s_mov_b32 s25, 0x7f800001
	s_xor_b32 s10, exec_lo, -1
; %bb.2710:                             ;   in Loop: Header=BB2_2190 Depth=2
	s_or_b32 exec_lo, exec_lo, s27
	s_delay_alu instid0(SALU_CYCLE_1)
	s_and_b32 s10, s10, exec_lo
	s_or_saveexec_b32 s26, s26
	v_mov_b32_e32 v101, s25
	s_xor_b32 exec_lo, exec_lo, s26
	s_cbranch_execz .LBB2_2291
.LBB2_2711:                             ;   in Loop: Header=BB2_2190 Depth=2
	v_cmp_ne_u16_e32 vcc_lo, 0, v100
	v_mov_b32_e32 v101, 0
	s_and_not1_b32 s10, s10, exec_lo
	s_and_b32 s25, vcc_lo, exec_lo
	s_delay_alu instid0(SALU_CYCLE_1)
	s_or_b32 s10, s10, s25
	s_or_b32 exec_lo, exec_lo, s26
	s_and_saveexec_b32 s25, s10
	s_cbranch_execnz .LBB2_2292
	s_branch .LBB2_2293
.LBB2_2712:                             ;   in Loop: Header=BB2_2190 Depth=2
	s_mov_b32 s10, -1
	s_mov_b32 s27, exec_lo
                                        ; implicit-def: $sgpr25
	v_cmpx_eq_u16_e32 0x80, v99
; %bb.2713:                             ;   in Loop: Header=BB2_2190 Depth=2
	s_mov_b32 s25, 0x7f800001
	s_xor_b32 s10, exec_lo, -1
; %bb.2714:                             ;   in Loop: Header=BB2_2190 Depth=2
	s_or_b32 exec_lo, exec_lo, s27
	s_delay_alu instid0(SALU_CYCLE_1)
	s_and_b32 s10, s10, exec_lo
	s_or_saveexec_b32 s26, s26
	v_mov_b32_e32 v14, s25
	s_xor_b32 exec_lo, exec_lo, s26
	s_cbranch_execz .LBB2_2295
.LBB2_2715:                             ;   in Loop: Header=BB2_2190 Depth=2
	v_cmp_ne_u16_e32 vcc_lo, 0, v99
	v_mov_b32_e32 v14, 0
	s_and_not1_b32 s10, s10, exec_lo
	s_and_b32 s25, vcc_lo, exec_lo
	s_delay_alu instid0(SALU_CYCLE_1)
	s_or_b32 s10, s10, s25
	s_or_b32 exec_lo, exec_lo, s26
	s_and_saveexec_b32 s25, s10
	s_cbranch_execnz .LBB2_2296
	s_branch .LBB2_2297
.LBB2_2716:                             ;   in Loop: Header=BB2_2190 Depth=2
	s_mov_b32 s10, -1
	s_mov_b32 s27, exec_lo
                                        ; implicit-def: $sgpr25
	v_cmpx_eq_u16_e32 0x80, v99
; %bb.2717:                             ;   in Loop: Header=BB2_2190 Depth=2
	s_mov_b32 s25, 0x7f800001
	s_xor_b32 s10, exec_lo, -1
; %bb.2718:                             ;   in Loop: Header=BB2_2190 Depth=2
	s_or_b32 exec_lo, exec_lo, s27
	s_delay_alu instid0(SALU_CYCLE_1)
	s_and_b32 s10, s10, exec_lo
                                        ; implicit-def: $vgpr99
	s_or_saveexec_b32 s26, s26
	v_mov_b32_e32 v14, s25
	s_xor_b32 exec_lo, exec_lo, s26
	s_cbranch_execz .LBB2_2309
.LBB2_2719:                             ;   in Loop: Header=BB2_2190 Depth=2
	v_cmp_ne_u16_e32 vcc_lo, 0, v99
	v_mov_b32_e32 v14, 0
	s_and_not1_b32 s10, s10, exec_lo
	s_and_b32 s25, vcc_lo, exec_lo
	s_delay_alu instid0(SALU_CYCLE_1)
	s_or_b32 s10, s10, s25
	s_or_b32 exec_lo, exec_lo, s26
	s_and_saveexec_b32 s25, s10
	s_cbranch_execnz .LBB2_2310
	s_branch .LBB2_2311
.LBB2_2720:                             ;   in Loop: Header=BB2_2190 Depth=2
	s_mov_b32 s10, -1
	s_mov_b32 s27, exec_lo
                                        ; implicit-def: $sgpr25
	v_cmpx_eq_u16_e32 0x80, v100
; %bb.2721:                             ;   in Loop: Header=BB2_2190 Depth=2
	s_mov_b32 s25, 0x7f800001
	s_xor_b32 s10, exec_lo, -1
; %bb.2722:                             ;   in Loop: Header=BB2_2190 Depth=2
	s_or_b32 exec_lo, exec_lo, s27
	s_delay_alu instid0(SALU_CYCLE_1)
	s_and_b32 s10, s10, exec_lo
                                        ; implicit-def: $vgpr100
	s_or_saveexec_b32 s26, s26
	v_mov_b32_e32 v99, s25
	s_xor_b32 exec_lo, exec_lo, s26
	s_cbranch_execz .LBB2_2313
.LBB2_2723:                             ;   in Loop: Header=BB2_2190 Depth=2
	v_cmp_ne_u16_e32 vcc_lo, 0, v100
	v_mov_b32_e32 v99, 0
	s_and_not1_b32 s10, s10, exec_lo
	s_and_b32 s25, vcc_lo, exec_lo
	s_delay_alu instid0(SALU_CYCLE_1)
	s_or_b32 s10, s10, s25
	s_or_b32 exec_lo, exec_lo, s26
	s_and_saveexec_b32 s25, s10
	s_cbranch_execnz .LBB2_2314
	s_branch .LBB2_2315
.LBB2_2724:                             ;   in Loop: Header=BB2_2190 Depth=2
	s_mov_b32 s10, -1
	s_mov_b32 s27, exec_lo
                                        ; implicit-def: $sgpr25
	v_cmpx_eq_u16_e32 0x80, v99
; %bb.2725:                             ;   in Loop: Header=BB2_2190 Depth=2
	s_mov_b32 s25, 0x7f800001
	s_xor_b32 s10, exec_lo, -1
; %bb.2726:                             ;   in Loop: Header=BB2_2190 Depth=2
	s_or_b32 exec_lo, exec_lo, s27
	s_delay_alu instid0(SALU_CYCLE_1)
	s_and_b32 s10, s10, exec_lo
                                        ; implicit-def: $vgpr99
	s_or_saveexec_b32 s26, s26
	v_mov_b32_e32 v14, s25
	s_xor_b32 exec_lo, exec_lo, s26
	s_cbranch_execz .LBB2_2320
.LBB2_2727:                             ;   in Loop: Header=BB2_2190 Depth=2
	v_cmp_ne_u16_e32 vcc_lo, 0, v99
	v_mov_b32_e32 v14, 0
	s_and_not1_b32 s10, s10, exec_lo
	s_and_b32 s25, vcc_lo, exec_lo
	s_delay_alu instid0(SALU_CYCLE_1)
	s_or_b32 s10, s10, s25
	s_or_b32 exec_lo, exec_lo, s26
	s_and_saveexec_b32 s25, s10
	s_cbranch_execnz .LBB2_2321
	s_branch .LBB2_2322
.LBB2_2728:                             ;   in Loop: Header=BB2_2190 Depth=2
	s_mov_b32 s10, -1
	s_mov_b32 s27, exec_lo
                                        ; implicit-def: $sgpr25
	v_cmpx_eq_u16_e32 0x80, v100
; %bb.2729:                             ;   in Loop: Header=BB2_2190 Depth=2
	s_mov_b32 s25, 0x7f800001
	s_xor_b32 s10, exec_lo, -1
; %bb.2730:                             ;   in Loop: Header=BB2_2190 Depth=2
	s_or_b32 exec_lo, exec_lo, s27
	s_delay_alu instid0(SALU_CYCLE_1)
	s_and_b32 s10, s10, exec_lo
                                        ; implicit-def: $vgpr100
	s_or_saveexec_b32 s26, s26
	v_mov_b32_e32 v99, s25
	s_xor_b32 exec_lo, exec_lo, s26
	s_cbranch_execz .LBB2_2324
.LBB2_2731:                             ;   in Loop: Header=BB2_2190 Depth=2
	v_cmp_ne_u16_e32 vcc_lo, 0, v100
	v_mov_b32_e32 v99, 0
	s_and_not1_b32 s10, s10, exec_lo
	s_and_b32 s25, vcc_lo, exec_lo
	s_delay_alu instid0(SALU_CYCLE_1)
	s_or_b32 s10, s10, s25
	s_or_b32 exec_lo, exec_lo, s26
	s_and_saveexec_b32 s25, s10
	s_cbranch_execnz .LBB2_2325
	s_branch .LBB2_2326
.LBB2_2732:                             ;   in Loop: Header=BB2_2190 Depth=2
	s_mov_b32 s10, -1
	s_mov_b32 s27, exec_lo
                                        ; implicit-def: $sgpr25
	v_cmpx_eq_u16_e32 0x80, v100
; %bb.2733:                             ;   in Loop: Header=BB2_2190 Depth=2
	s_mov_b32 s25, 0x7f800001
	s_xor_b32 s10, exec_lo, -1
; %bb.2734:                             ;   in Loop: Header=BB2_2190 Depth=2
	s_or_b32 exec_lo, exec_lo, s27
	s_delay_alu instid0(SALU_CYCLE_1)
	s_and_b32 s10, s10, exec_lo
	s_or_saveexec_b32 s26, s26
	v_mov_b32_e32 v101, s25
	s_xor_b32 exec_lo, exec_lo, s26
	s_cbranch_execz .LBB2_2338
.LBB2_2735:                             ;   in Loop: Header=BB2_2190 Depth=2
	v_cmp_ne_u16_e32 vcc_lo, 0, v100
	v_mov_b32_e32 v101, 0
	s_and_not1_b32 s10, s10, exec_lo
	s_and_b32 s25, vcc_lo, exec_lo
	s_delay_alu instid0(SALU_CYCLE_1)
	s_or_b32 s10, s10, s25
	s_or_b32 exec_lo, exec_lo, s26
	s_and_saveexec_b32 s25, s10
	s_cbranch_execnz .LBB2_2339
	s_branch .LBB2_2340
.LBB2_2736:                             ;   in Loop: Header=BB2_2190 Depth=2
	s_mov_b32 s10, -1
	s_mov_b32 s27, exec_lo
                                        ; implicit-def: $sgpr25
	v_cmpx_eq_u16_e32 0x80, v99
; %bb.2737:                             ;   in Loop: Header=BB2_2190 Depth=2
	s_mov_b32 s25, 0x7f800001
	s_xor_b32 s10, exec_lo, -1
; %bb.2738:                             ;   in Loop: Header=BB2_2190 Depth=2
	s_or_b32 exec_lo, exec_lo, s27
	s_delay_alu instid0(SALU_CYCLE_1)
	s_and_b32 s10, s10, exec_lo
	s_or_saveexec_b32 s26, s26
	v_mov_b32_e32 v102, s25
	s_xor_b32 exec_lo, exec_lo, s26
	s_cbranch_execz .LBB2_2342
.LBB2_2739:                             ;   in Loop: Header=BB2_2190 Depth=2
	v_cmp_ne_u16_e32 vcc_lo, 0, v99
	v_mov_b32_e32 v102, 0
	s_and_not1_b32 s10, s10, exec_lo
	s_and_b32 s25, vcc_lo, exec_lo
	s_delay_alu instid0(SALU_CYCLE_1)
	s_or_b32 s10, s10, s25
	s_or_b32 exec_lo, exec_lo, s26
	s_and_saveexec_b32 s25, s10
	s_cbranch_execnz .LBB2_2343
	s_branch .LBB2_2344
.LBB2_2740:                             ;   in Loop: Header=BB2_2190 Depth=2
	s_mov_b32 s10, -1
	s_mov_b32 s27, exec_lo
                                        ; implicit-def: $sgpr25
	v_cmpx_eq_u16_e32 0x80, v100
; %bb.2741:                             ;   in Loop: Header=BB2_2190 Depth=2
	s_mov_b32 s25, 0x7f800001
	s_xor_b32 s10, exec_lo, -1
; %bb.2742:                             ;   in Loop: Header=BB2_2190 Depth=2
	s_or_b32 exec_lo, exec_lo, s27
	s_delay_alu instid0(SALU_CYCLE_1)
	s_and_b32 s10, s10, exec_lo
	s_or_saveexec_b32 s26, s26
	v_mov_b32_e32 v101, s25
	s_xor_b32 exec_lo, exec_lo, s26
	s_cbranch_execz .LBB2_2349
.LBB2_2743:                             ;   in Loop: Header=BB2_2190 Depth=2
	v_cmp_ne_u16_e32 vcc_lo, 0, v100
	v_mov_b32_e32 v101, 0
	s_and_not1_b32 s10, s10, exec_lo
	s_and_b32 s25, vcc_lo, exec_lo
	s_delay_alu instid0(SALU_CYCLE_1)
	s_or_b32 s10, s10, s25
	s_or_b32 exec_lo, exec_lo, s26
	s_and_saveexec_b32 s25, s10
	s_cbranch_execnz .LBB2_2350
	s_branch .LBB2_2351
.LBB2_2744:                             ;   in Loop: Header=BB2_2190 Depth=2
	s_mov_b32 s10, -1
	s_mov_b32 s27, exec_lo
                                        ; implicit-def: $sgpr25
	v_cmpx_eq_u16_e32 0x80, v99
; %bb.2745:                             ;   in Loop: Header=BB2_2190 Depth=2
	s_mov_b32 s25, 0x7f800001
	s_xor_b32 s10, exec_lo, -1
; %bb.2746:                             ;   in Loop: Header=BB2_2190 Depth=2
	s_or_b32 exec_lo, exec_lo, s27
	s_delay_alu instid0(SALU_CYCLE_1)
	s_and_b32 s10, s10, exec_lo
	s_or_saveexec_b32 s26, s26
	v_mov_b32_e32 v100, s25
	s_xor_b32 exec_lo, exec_lo, s26
	s_cbranch_execz .LBB2_2353
.LBB2_2747:                             ;   in Loop: Header=BB2_2190 Depth=2
	v_cmp_ne_u16_e32 vcc_lo, 0, v99
	v_mov_b32_e32 v100, 0
	s_and_not1_b32 s10, s10, exec_lo
	s_and_b32 s25, vcc_lo, exec_lo
	s_delay_alu instid0(SALU_CYCLE_1)
	s_or_b32 s10, s10, s25
	s_or_b32 exec_lo, exec_lo, s26
	s_and_saveexec_b32 s25, s10
	s_cbranch_execnz .LBB2_2354
	s_branch .LBB2_2355
.LBB2_2748:                             ;   in Loop: Header=BB2_2190 Depth=2
	s_mov_b32 s10, -1
	s_mov_b32 s27, exec_lo
                                        ; implicit-def: $sgpr25
	v_cmpx_eq_u16_e32 0x80, v103
; %bb.2749:                             ;   in Loop: Header=BB2_2190 Depth=2
	s_mov_b32 s25, 0x7f800001
	s_xor_b32 s10, exec_lo, -1
; %bb.2750:                             ;   in Loop: Header=BB2_2190 Depth=2
	s_or_b32 exec_lo, exec_lo, s27
	s_delay_alu instid0(SALU_CYCLE_1)
	s_and_b32 s10, s10, exec_lo
                                        ; implicit-def: $vgpr103
	s_or_saveexec_b32 s26, s26
	v_mov_b32_e32 v102, s25
	s_xor_b32 exec_lo, exec_lo, s26
	s_cbranch_execz .LBB2_2367
.LBB2_2751:                             ;   in Loop: Header=BB2_2190 Depth=2
	v_cmp_ne_u16_e32 vcc_lo, 0, v103
	v_mov_b32_e32 v102, 0
	s_and_not1_b32 s10, s10, exec_lo
	s_and_b32 s25, vcc_lo, exec_lo
	s_delay_alu instid0(SALU_CYCLE_1)
	s_or_b32 s10, s10, s25
	s_or_b32 exec_lo, exec_lo, s26
	s_and_saveexec_b32 s25, s10
	s_cbranch_execnz .LBB2_2368
	s_branch .LBB2_2369
.LBB2_2752:                             ;   in Loop: Header=BB2_2190 Depth=2
	s_mov_b32 s10, -1
	s_mov_b32 s27, exec_lo
                                        ; implicit-def: $sgpr25
	v_cmpx_eq_u16_e32 0x80, v112
; %bb.2753:                             ;   in Loop: Header=BB2_2190 Depth=2
	s_mov_b32 s25, 0x7f800001
	s_xor_b32 s10, exec_lo, -1
; %bb.2754:                             ;   in Loop: Header=BB2_2190 Depth=2
	s_or_b32 exec_lo, exec_lo, s27
	s_delay_alu instid0(SALU_CYCLE_1)
	s_and_b32 s10, s10, exec_lo
                                        ; implicit-def: $vgpr112
	s_or_saveexec_b32 s26, s26
	v_mov_b32_e32 v103, s25
	s_xor_b32 exec_lo, exec_lo, s26
	s_cbranch_execz .LBB2_2371
.LBB2_2755:                             ;   in Loop: Header=BB2_2190 Depth=2
	v_cmp_ne_u16_e32 vcc_lo, 0, v112
	v_mov_b32_e32 v103, 0
	s_and_not1_b32 s10, s10, exec_lo
	s_and_b32 s25, vcc_lo, exec_lo
	s_delay_alu instid0(SALU_CYCLE_1)
	s_or_b32 s10, s10, s25
	s_or_b32 exec_lo, exec_lo, s26
	s_and_saveexec_b32 s25, s10
	s_cbranch_execnz .LBB2_2372
	s_branch .LBB2_2373
.LBB2_2756:                             ;   in Loop: Header=BB2_2190 Depth=2
	s_mov_b32 s10, -1
	s_mov_b32 s27, exec_lo
                                        ; implicit-def: $sgpr25
	v_cmpx_eq_u16_e32 0x80, v103
; %bb.2757:                             ;   in Loop: Header=BB2_2190 Depth=2
	s_mov_b32 s25, 0x7f800001
	s_xor_b32 s10, exec_lo, -1
; %bb.2758:                             ;   in Loop: Header=BB2_2190 Depth=2
	s_or_b32 exec_lo, exec_lo, s27
	s_delay_alu instid0(SALU_CYCLE_1)
	s_and_b32 s10, s10, exec_lo
                                        ; implicit-def: $vgpr103
	s_or_saveexec_b32 s26, s26
	v_mov_b32_e32 v102, s25
	s_xor_b32 exec_lo, exec_lo, s26
	s_cbranch_execz .LBB2_2378
.LBB2_2759:                             ;   in Loop: Header=BB2_2190 Depth=2
	v_cmp_ne_u16_e32 vcc_lo, 0, v103
	v_mov_b32_e32 v102, 0
	s_and_not1_b32 s10, s10, exec_lo
	s_and_b32 s25, vcc_lo, exec_lo
	s_delay_alu instid0(SALU_CYCLE_1)
	s_or_b32 s10, s10, s25
	s_or_b32 exec_lo, exec_lo, s26
	s_and_saveexec_b32 s25, s10
	s_cbranch_execnz .LBB2_2379
	s_branch .LBB2_2380
.LBB2_2760:                             ;   in Loop: Header=BB2_2190 Depth=2
	s_mov_b32 s10, -1
	s_mov_b32 s27, exec_lo
                                        ; implicit-def: $sgpr25
	v_cmpx_eq_u16_e32 0x80, v103
; %bb.2761:                             ;   in Loop: Header=BB2_2190 Depth=2
	s_mov_b32 s25, 0x7f800001
	s_xor_b32 s10, exec_lo, -1
; %bb.2762:                             ;   in Loop: Header=BB2_2190 Depth=2
	s_or_b32 exec_lo, exec_lo, s27
	s_delay_alu instid0(SALU_CYCLE_1)
	s_and_b32 s10, s10, exec_lo
                                        ; implicit-def: $vgpr103
	s_or_saveexec_b32 s26, s26
	v_mov_b32_e32 v101, s25
	s_xor_b32 exec_lo, exec_lo, s26
	s_cbranch_execz .LBB2_2382
.LBB2_2763:                             ;   in Loop: Header=BB2_2190 Depth=2
	v_cmp_ne_u16_e32 vcc_lo, 0, v103
	v_mov_b32_e32 v101, 0
	s_and_not1_b32 s10, s10, exec_lo
	s_and_b32 s25, vcc_lo, exec_lo
	s_delay_alu instid0(SALU_CYCLE_1)
	s_or_b32 s10, s10, s25
	s_or_b32 exec_lo, exec_lo, s26
	s_and_saveexec_b32 s25, s10
	s_cbranch_execnz .LBB2_2383
	s_branch .LBB2_2384
.LBB2_2764:                             ;   in Loop: Header=BB2_2190 Depth=2
	s_mov_b32 s10, -1
	s_mov_b32 s27, exec_lo
                                        ; implicit-def: $sgpr25
	v_cmpx_eq_u16_e32 0x80, v102
; %bb.2765:                             ;   in Loop: Header=BB2_2190 Depth=2
	s_mov_b32 s25, 0x7f800001
	s_xor_b32 s10, exec_lo, -1
; %bb.2766:                             ;   in Loop: Header=BB2_2190 Depth=2
	s_or_b32 exec_lo, exec_lo, s27
	s_delay_alu instid0(SALU_CYCLE_1)
	s_and_b32 s10, s10, exec_lo
	s_or_saveexec_b32 s26, s26
	v_mov_b32_e32 v103, s25
	s_xor_b32 exec_lo, exec_lo, s26
	s_cbranch_execz .LBB2_2396
.LBB2_2767:                             ;   in Loop: Header=BB2_2190 Depth=2
	v_cmp_ne_u16_e32 vcc_lo, 0, v102
	v_mov_b32_e32 v103, 0
	s_and_not1_b32 s10, s10, exec_lo
	s_and_b32 s25, vcc_lo, exec_lo
	s_delay_alu instid0(SALU_CYCLE_1)
	s_or_b32 s10, s10, s25
	s_or_b32 exec_lo, exec_lo, s26
	s_and_saveexec_b32 s25, s10
	s_cbranch_execnz .LBB2_2397
	s_branch .LBB2_2398
.LBB2_2768:                             ;   in Loop: Header=BB2_2190 Depth=2
	s_mov_b32 s10, -1
	s_mov_b32 s27, exec_lo
                                        ; implicit-def: $sgpr25
	v_cmpx_eq_u16_e32 0x80, v101
; %bb.2769:                             ;   in Loop: Header=BB2_2190 Depth=2
	s_mov_b32 s25, 0x7f800001
	s_xor_b32 s10, exec_lo, -1
; %bb.2770:                             ;   in Loop: Header=BB2_2190 Depth=2
	s_or_b32 exec_lo, exec_lo, s27
	s_delay_alu instid0(SALU_CYCLE_1)
	s_and_b32 s10, s10, exec_lo
	s_or_saveexec_b32 s26, s26
	v_mov_b32_e32 v112, s25
	s_xor_b32 exec_lo, exec_lo, s26
	s_cbranch_execz .LBB2_2400
.LBB2_2771:                             ;   in Loop: Header=BB2_2190 Depth=2
	v_cmp_ne_u16_e32 vcc_lo, 0, v101
	v_mov_b32_e32 v112, 0
	s_and_not1_b32 s10, s10, exec_lo
	s_and_b32 s25, vcc_lo, exec_lo
	s_delay_alu instid0(SALU_CYCLE_1)
	s_or_b32 s10, s10, s25
	s_or_b32 exec_lo, exec_lo, s26
	s_and_saveexec_b32 s25, s10
	s_cbranch_execnz .LBB2_2401
	s_branch .LBB2_2402
.LBB2_2772:                             ;   in Loop: Header=BB2_2190 Depth=2
	s_mov_b32 s10, -1
	s_mov_b32 s27, exec_lo
                                        ; implicit-def: $sgpr25
	v_cmpx_eq_u16_e32 0x80, v102
; %bb.2773:                             ;   in Loop: Header=BB2_2190 Depth=2
	s_mov_b32 s25, 0x7f800001
	s_xor_b32 s10, exec_lo, -1
; %bb.2774:                             ;   in Loop: Header=BB2_2190 Depth=2
	s_or_b32 exec_lo, exec_lo, s27
	s_delay_alu instid0(SALU_CYCLE_1)
	s_and_b32 s10, s10, exec_lo
	s_or_saveexec_b32 s26, s26
	v_mov_b32_e32 v103, s25
	s_xor_b32 exec_lo, exec_lo, s26
	s_cbranch_execz .LBB2_2407
.LBB2_2775:                             ;   in Loop: Header=BB2_2190 Depth=2
	v_cmp_ne_u16_e32 vcc_lo, 0, v102
	v_mov_b32_e32 v103, 0
	s_and_not1_b32 s10, s10, exec_lo
	s_and_b32 s25, vcc_lo, exec_lo
	s_delay_alu instid0(SALU_CYCLE_1)
	s_or_b32 s10, s10, s25
	s_or_b32 exec_lo, exec_lo, s26
	s_and_saveexec_b32 s25, s10
	s_cbranch_execnz .LBB2_2408
	s_branch .LBB2_2409
.LBB2_2776:                             ;   in Loop: Header=BB2_2190 Depth=2
	s_mov_b32 s10, -1
	s_mov_b32 s27, exec_lo
                                        ; implicit-def: $sgpr25
	v_cmpx_eq_u16_e32 0x80, v101
; %bb.2777:                             ;   in Loop: Header=BB2_2190 Depth=2
	s_mov_b32 s25, 0x7f800001
	s_xor_b32 s10, exec_lo, -1
; %bb.2778:                             ;   in Loop: Header=BB2_2190 Depth=2
	s_or_b32 exec_lo, exec_lo, s27
	s_delay_alu instid0(SALU_CYCLE_1)
	s_and_b32 s10, s10, exec_lo
	s_or_saveexec_b32 s26, s26
	v_mov_b32_e32 v15, s25
	s_xor_b32 exec_lo, exec_lo, s26
	s_cbranch_execz .LBB2_2411
.LBB2_2779:                             ;   in Loop: Header=BB2_2190 Depth=2
	v_cmp_ne_u16_e32 vcc_lo, 0, v101
	v_mov_b32_e32 v15, 0
	s_and_not1_b32 s10, s10, exec_lo
	s_and_b32 s25, vcc_lo, exec_lo
	s_delay_alu instid0(SALU_CYCLE_1)
	s_or_b32 s10, s10, s25
	s_or_b32 exec_lo, exec_lo, s26
	s_and_saveexec_b32 s25, s10
	s_cbranch_execnz .LBB2_2412
	s_branch .LBB2_2413
.LBB2_2780:                             ;   in Loop: Header=BB2_2190 Depth=2
	s_mov_b32 s10, -1
	s_mov_b32 s27, exec_lo
                                        ; implicit-def: $sgpr25
	v_cmpx_eq_u16_e32 0x80, v101
; %bb.2781:                             ;   in Loop: Header=BB2_2190 Depth=2
	s_mov_b32 s25, 0x7f800001
	s_xor_b32 s10, exec_lo, -1
; %bb.2782:                             ;   in Loop: Header=BB2_2190 Depth=2
	s_or_b32 exec_lo, exec_lo, s27
	s_delay_alu instid0(SALU_CYCLE_1)
	s_and_b32 s10, s10, exec_lo
                                        ; implicit-def: $vgpr101
	s_or_saveexec_b32 s26, s26
	v_mov_b32_e32 v15, s25
	s_xor_b32 exec_lo, exec_lo, s26
	s_cbranch_execz .LBB2_2425
.LBB2_2783:                             ;   in Loop: Header=BB2_2190 Depth=2
	v_cmp_ne_u16_e32 vcc_lo, 0, v101
	v_mov_b32_e32 v15, 0
	s_and_not1_b32 s10, s10, exec_lo
	s_and_b32 s25, vcc_lo, exec_lo
	s_delay_alu instid0(SALU_CYCLE_1)
	s_or_b32 s10, s10, s25
	s_or_b32 exec_lo, exec_lo, s26
	s_and_saveexec_b32 s25, s10
	s_cbranch_execnz .LBB2_2426
	s_branch .LBB2_2427
.LBB2_2784:                             ;   in Loop: Header=BB2_2190 Depth=2
	s_mov_b32 s10, -1
	s_mov_b32 s27, exec_lo
                                        ; implicit-def: $sgpr25
	v_cmpx_eq_u16_e32 0x80, v102
; %bb.2785:                             ;   in Loop: Header=BB2_2190 Depth=2
	s_mov_b32 s25, 0x7f800001
	s_xor_b32 s10, exec_lo, -1
; %bb.2786:                             ;   in Loop: Header=BB2_2190 Depth=2
	s_or_b32 exec_lo, exec_lo, s27
	s_delay_alu instid0(SALU_CYCLE_1)
	s_and_b32 s10, s10, exec_lo
                                        ; implicit-def: $vgpr102
	s_or_saveexec_b32 s26, s26
	v_mov_b32_e32 v101, s25
	s_xor_b32 exec_lo, exec_lo, s26
	s_cbranch_execz .LBB2_2429
.LBB2_2787:                             ;   in Loop: Header=BB2_2190 Depth=2
	v_cmp_ne_u16_e32 vcc_lo, 0, v102
	v_mov_b32_e32 v101, 0
	s_and_not1_b32 s10, s10, exec_lo
	s_and_b32 s25, vcc_lo, exec_lo
	s_delay_alu instid0(SALU_CYCLE_1)
	s_or_b32 s10, s10, s25
	s_or_b32 exec_lo, exec_lo, s26
	s_and_saveexec_b32 s25, s10
	s_cbranch_execnz .LBB2_2430
	s_branch .LBB2_2431
.LBB2_2788:                             ;   in Loop: Header=BB2_2190 Depth=2
	s_mov_b32 s10, -1
	s_mov_b32 s27, exec_lo
                                        ; implicit-def: $sgpr25
	v_cmpx_eq_u16_e32 0x80, v101
; %bb.2789:                             ;   in Loop: Header=BB2_2190 Depth=2
	s_mov_b32 s25, 0x7f800001
	s_xor_b32 s10, exec_lo, -1
; %bb.2790:                             ;   in Loop: Header=BB2_2190 Depth=2
	s_or_b32 exec_lo, exec_lo, s27
	s_delay_alu instid0(SALU_CYCLE_1)
	s_and_b32 s10, s10, exec_lo
                                        ; implicit-def: $vgpr101
	s_or_saveexec_b32 s26, s26
	v_mov_b32_e32 v15, s25
	s_xor_b32 exec_lo, exec_lo, s26
	s_cbranch_execz .LBB2_2436
.LBB2_2791:                             ;   in Loop: Header=BB2_2190 Depth=2
	v_cmp_ne_u16_e32 vcc_lo, 0, v101
	v_mov_b32_e32 v15, 0
	s_and_not1_b32 s10, s10, exec_lo
	s_and_b32 s25, vcc_lo, exec_lo
	s_delay_alu instid0(SALU_CYCLE_1)
	s_or_b32 s10, s10, s25
	s_or_b32 exec_lo, exec_lo, s26
	s_and_saveexec_b32 s25, s10
	s_cbranch_execnz .LBB2_2437
	s_branch .LBB2_2438
.LBB2_2792:                             ;   in Loop: Header=BB2_2190 Depth=2
	s_mov_b32 s10, -1
	s_mov_b32 s27, exec_lo
                                        ; implicit-def: $sgpr25
	v_cmpx_eq_u16_e32 0x80, v102
; %bb.2793:                             ;   in Loop: Header=BB2_2190 Depth=2
	s_mov_b32 s25, 0x7f800001
	s_xor_b32 s10, exec_lo, -1
; %bb.2794:                             ;   in Loop: Header=BB2_2190 Depth=2
	s_or_b32 exec_lo, exec_lo, s27
	s_delay_alu instid0(SALU_CYCLE_1)
	s_and_b32 s10, s10, exec_lo
                                        ; implicit-def: $vgpr102
	s_or_saveexec_b32 s26, s26
	v_mov_b32_e32 v101, s25
	s_xor_b32 exec_lo, exec_lo, s26
	s_cbranch_execz .LBB2_2440
.LBB2_2795:                             ;   in Loop: Header=BB2_2190 Depth=2
	v_cmp_ne_u16_e32 vcc_lo, 0, v102
	v_mov_b32_e32 v101, 0
	s_and_not1_b32 s10, s10, exec_lo
	s_and_b32 s25, vcc_lo, exec_lo
	s_delay_alu instid0(SALU_CYCLE_1)
	s_or_b32 s10, s10, s25
	s_or_b32 exec_lo, exec_lo, s26
	s_and_saveexec_b32 s25, s10
	s_cbranch_execnz .LBB2_2441
	s_branch .LBB2_2442
.LBB2_2796:                             ;   in Loop: Header=BB2_2190 Depth=2
	s_mov_b32 s10, -1
	s_mov_b32 s27, exec_lo
                                        ; implicit-def: $sgpr25
	v_cmpx_eq_u16_e32 0x80, v102
; %bb.2797:                             ;   in Loop: Header=BB2_2190 Depth=2
	s_mov_b32 s25, 0x7f800001
	s_xor_b32 s10, exec_lo, -1
; %bb.2798:                             ;   in Loop: Header=BB2_2190 Depth=2
	s_or_b32 exec_lo, exec_lo, s27
	s_delay_alu instid0(SALU_CYCLE_1)
	s_and_b32 s10, s10, exec_lo
	s_or_saveexec_b32 s26, s26
	v_mov_b32_e32 v103, s25
	s_xor_b32 exec_lo, exec_lo, s26
	s_cbranch_execz .LBB2_2454
.LBB2_2799:                             ;   in Loop: Header=BB2_2190 Depth=2
	v_cmp_ne_u16_e32 vcc_lo, 0, v102
	v_mov_b32_e32 v103, 0
	s_and_not1_b32 s10, s10, exec_lo
	s_and_b32 s25, vcc_lo, exec_lo
	s_delay_alu instid0(SALU_CYCLE_1)
	s_or_b32 s10, s10, s25
	s_or_b32 exec_lo, exec_lo, s26
	s_and_saveexec_b32 s25, s10
	s_cbranch_execnz .LBB2_2455
	s_branch .LBB2_2456
.LBB2_2800:                             ;   in Loop: Header=BB2_2190 Depth=2
	s_mov_b32 s10, -1
	s_mov_b32 s27, exec_lo
                                        ; implicit-def: $sgpr25
	v_cmpx_eq_u16_e32 0x80, v101
; %bb.2801:                             ;   in Loop: Header=BB2_2190 Depth=2
	s_mov_b32 s25, 0x7f800001
	s_xor_b32 s10, exec_lo, -1
; %bb.2802:                             ;   in Loop: Header=BB2_2190 Depth=2
	s_or_b32 exec_lo, exec_lo, s27
	s_delay_alu instid0(SALU_CYCLE_1)
	s_and_b32 s10, s10, exec_lo
	s_or_saveexec_b32 s26, s26
	v_mov_b32_e32 v112, s25
	s_xor_b32 exec_lo, exec_lo, s26
	s_cbranch_execz .LBB2_2458
.LBB2_2803:                             ;   in Loop: Header=BB2_2190 Depth=2
	v_cmp_ne_u16_e32 vcc_lo, 0, v101
	v_mov_b32_e32 v112, 0
	s_and_not1_b32 s10, s10, exec_lo
	s_and_b32 s25, vcc_lo, exec_lo
	s_delay_alu instid0(SALU_CYCLE_1)
	s_or_b32 s10, s10, s25
	s_or_b32 exec_lo, exec_lo, s26
	s_and_saveexec_b32 s25, s10
	s_cbranch_execnz .LBB2_2459
	s_branch .LBB2_2460
.LBB2_2804:                             ;   in Loop: Header=BB2_2190 Depth=2
	s_mov_b32 s10, -1
	s_mov_b32 s27, exec_lo
                                        ; implicit-def: $sgpr25
	v_cmpx_eq_u16_e32 0x80, v102
; %bb.2805:                             ;   in Loop: Header=BB2_2190 Depth=2
	s_mov_b32 s25, 0x7f800001
	s_xor_b32 s10, exec_lo, -1
; %bb.2806:                             ;   in Loop: Header=BB2_2190 Depth=2
	s_or_b32 exec_lo, exec_lo, s27
	s_delay_alu instid0(SALU_CYCLE_1)
	s_and_b32 s10, s10, exec_lo
	s_or_saveexec_b32 s26, s26
	v_mov_b32_e32 v103, s25
	s_xor_b32 exec_lo, exec_lo, s26
	s_cbranch_execz .LBB2_2465
.LBB2_2807:                             ;   in Loop: Header=BB2_2190 Depth=2
	v_cmp_ne_u16_e32 vcc_lo, 0, v102
	v_mov_b32_e32 v103, 0
	s_and_not1_b32 s10, s10, exec_lo
	s_and_b32 s25, vcc_lo, exec_lo
	s_delay_alu instid0(SALU_CYCLE_1)
	s_or_b32 s10, s10, s25
	s_or_b32 exec_lo, exec_lo, s26
	s_and_saveexec_b32 s25, s10
	s_cbranch_execnz .LBB2_2466
	s_branch .LBB2_2467
.LBB2_2808:                             ;   in Loop: Header=BB2_2190 Depth=2
	s_mov_b32 s10, -1
	s_mov_b32 s27, exec_lo
                                        ; implicit-def: $sgpr25
	v_cmpx_eq_u16_e32 0x80, v101
; %bb.2809:                             ;   in Loop: Header=BB2_2190 Depth=2
	s_mov_b32 s25, 0x7f800001
	s_xor_b32 s10, exec_lo, -1
; %bb.2810:                             ;   in Loop: Header=BB2_2190 Depth=2
	s_or_b32 exec_lo, exec_lo, s27
	s_delay_alu instid0(SALU_CYCLE_1)
	s_and_b32 s10, s10, exec_lo
	s_or_saveexec_b32 s26, s26
	v_mov_b32_e32 v102, s25
	s_xor_b32 exec_lo, exec_lo, s26
	s_cbranch_execz .LBB2_2469
.LBB2_2811:                             ;   in Loop: Header=BB2_2190 Depth=2
	v_cmp_ne_u16_e32 vcc_lo, 0, v101
	v_mov_b32_e32 v102, 0
	s_and_not1_b32 s10, s10, exec_lo
	s_and_b32 s25, vcc_lo, exec_lo
	s_delay_alu instid0(SALU_CYCLE_1)
	s_or_b32 s10, s10, s25
	s_or_b32 exec_lo, exec_lo, s26
	s_and_saveexec_b32 s25, s10
	s_cbranch_execnz .LBB2_2470
	s_branch .LBB2_2471
.LBB2_2812:                             ;   in Loop: Header=BB2_2190 Depth=2
	s_mov_b32 s10, -1
	s_mov_b32 s27, exec_lo
                                        ; implicit-def: $sgpr25
	v_cmpx_eq_u16_e32 0x80, v113
; %bb.2813:                             ;   in Loop: Header=BB2_2190 Depth=2
	s_mov_b32 s25, 0x7f800001
	s_xor_b32 s10, exec_lo, -1
; %bb.2814:                             ;   in Loop: Header=BB2_2190 Depth=2
	s_or_b32 exec_lo, exec_lo, s27
	s_delay_alu instid0(SALU_CYCLE_1)
	s_and_b32 s10, s10, exec_lo
                                        ; implicit-def: $vgpr113
	s_or_saveexec_b32 s26, s26
	v_mov_b32_e32 v112, s25
	s_xor_b32 exec_lo, exec_lo, s26
	s_cbranch_execz .LBB2_2483
.LBB2_2815:                             ;   in Loop: Header=BB2_2190 Depth=2
	v_cmp_ne_u16_e32 vcc_lo, 0, v113
	v_mov_b32_e32 v112, 0
	s_and_not1_b32 s10, s10, exec_lo
	s_and_b32 s25, vcc_lo, exec_lo
	s_delay_alu instid0(SALU_CYCLE_1)
	s_or_b32 s10, s10, s25
	s_or_b32 exec_lo, exec_lo, s26
	s_and_saveexec_b32 s25, s10
	s_cbranch_execnz .LBB2_2484
	s_branch .LBB2_2485
.LBB2_2816:                             ;   in Loop: Header=BB2_2190 Depth=2
	s_mov_b32 s10, -1
	s_mov_b32 s27, exec_lo
                                        ; implicit-def: $sgpr25
	v_cmpx_eq_u16_e32 0x80, v114
; %bb.2817:                             ;   in Loop: Header=BB2_2190 Depth=2
	s_mov_b32 s25, 0x7f800001
	s_xor_b32 s10, exec_lo, -1
; %bb.2818:                             ;   in Loop: Header=BB2_2190 Depth=2
	s_or_b32 exec_lo, exec_lo, s27
	s_delay_alu instid0(SALU_CYCLE_1)
	s_and_b32 s10, s10, exec_lo
                                        ; implicit-def: $vgpr114
	s_or_saveexec_b32 s26, s26
	v_mov_b32_e32 v113, s25
	s_xor_b32 exec_lo, exec_lo, s26
	s_cbranch_execz .LBB2_2487
.LBB2_2819:                             ;   in Loop: Header=BB2_2190 Depth=2
	v_cmp_ne_u16_e32 vcc_lo, 0, v114
	v_mov_b32_e32 v113, 0
	s_and_not1_b32 s10, s10, exec_lo
	s_and_b32 s25, vcc_lo, exec_lo
	s_delay_alu instid0(SALU_CYCLE_1)
	s_or_b32 s10, s10, s25
	s_or_b32 exec_lo, exec_lo, s26
	s_and_saveexec_b32 s25, s10
	s_cbranch_execnz .LBB2_2488
	s_branch .LBB2_2489
.LBB2_2820:                             ;   in Loop: Header=BB2_2190 Depth=2
	s_mov_b32 s10, -1
	s_mov_b32 s27, exec_lo
                                        ; implicit-def: $sgpr25
	v_cmpx_eq_u16_e32 0x80, v113
; %bb.2821:                             ;   in Loop: Header=BB2_2190 Depth=2
	s_mov_b32 s25, 0x7f800001
	s_xor_b32 s10, exec_lo, -1
; %bb.2822:                             ;   in Loop: Header=BB2_2190 Depth=2
	s_or_b32 exec_lo, exec_lo, s27
	s_delay_alu instid0(SALU_CYCLE_1)
	s_and_b32 s10, s10, exec_lo
                                        ; implicit-def: $vgpr113
	s_or_saveexec_b32 s26, s26
	v_mov_b32_e32 v112, s25
	s_xor_b32 exec_lo, exec_lo, s26
	s_cbranch_execz .LBB2_2494
.LBB2_2823:                             ;   in Loop: Header=BB2_2190 Depth=2
	v_cmp_ne_u16_e32 vcc_lo, 0, v113
	v_mov_b32_e32 v112, 0
	s_and_not1_b32 s10, s10, exec_lo
	s_and_b32 s25, vcc_lo, exec_lo
	s_delay_alu instid0(SALU_CYCLE_1)
	s_or_b32 s10, s10, s25
	s_or_b32 exec_lo, exec_lo, s26
	s_and_saveexec_b32 s25, s10
	s_cbranch_execnz .LBB2_2495
	s_branch .LBB2_2496
.LBB2_2824:                             ;   in Loop: Header=BB2_2190 Depth=2
	s_mov_b32 s10, -1
	s_mov_b32 s27, exec_lo
                                        ; implicit-def: $sgpr25
	v_cmpx_eq_u16_e32 0x80, v113
; %bb.2825:                             ;   in Loop: Header=BB2_2190 Depth=2
	s_mov_b32 s25, 0x7f800001
	s_xor_b32 s10, exec_lo, -1
; %bb.2826:                             ;   in Loop: Header=BB2_2190 Depth=2
	s_or_b32 exec_lo, exec_lo, s27
	s_delay_alu instid0(SALU_CYCLE_1)
	s_and_b32 s10, s10, exec_lo
                                        ; implicit-def: $vgpr113
	s_or_saveexec_b32 s26, s26
	v_mov_b32_e32 v103, s25
	s_xor_b32 exec_lo, exec_lo, s26
	s_cbranch_execz .LBB2_2498
.LBB2_2827:                             ;   in Loop: Header=BB2_2190 Depth=2
	v_cmp_ne_u16_e32 vcc_lo, 0, v113
	v_mov_b32_e32 v103, 0
	s_and_not1_b32 s10, s10, exec_lo
	s_and_b32 s25, vcc_lo, exec_lo
	s_delay_alu instid0(SALU_CYCLE_1)
	s_or_b32 s10, s10, s25
	s_or_b32 exec_lo, exec_lo, s26
	s_and_saveexec_b32 s25, s10
	s_cbranch_execnz .LBB2_2499
	s_branch .LBB2_2500
.LBB2_2828:                             ;   in Loop: Header=BB2_2190 Depth=2
	s_mov_b32 s10, -1
	s_mov_b32 s27, exec_lo
                                        ; implicit-def: $sgpr25
	v_cmpx_eq_u16_e32 0x80, v112
; %bb.2829:                             ;   in Loop: Header=BB2_2190 Depth=2
	s_mov_b32 s25, 0x7f800001
	s_xor_b32 s10, exec_lo, -1
; %bb.2830:                             ;   in Loop: Header=BB2_2190 Depth=2
	s_or_b32 exec_lo, exec_lo, s27
	s_delay_alu instid0(SALU_CYCLE_1)
	s_and_b32 s10, s10, exec_lo
	s_or_saveexec_b32 s26, s26
	v_mov_b32_e32 v113, s25
	s_xor_b32 exec_lo, exec_lo, s26
	s_cbranch_execz .LBB2_2512
.LBB2_2831:                             ;   in Loop: Header=BB2_2190 Depth=2
	v_cmp_ne_u16_e32 vcc_lo, 0, v112
	v_mov_b32_e32 v113, 0
	s_and_not1_b32 s10, s10, exec_lo
	s_and_b32 s25, vcc_lo, exec_lo
	s_delay_alu instid0(SALU_CYCLE_1)
	s_or_b32 s10, s10, s25
	s_or_b32 exec_lo, exec_lo, s26
	s_and_saveexec_b32 s25, s10
	s_cbranch_execnz .LBB2_2513
	s_branch .LBB2_2514
.LBB2_2832:                             ;   in Loop: Header=BB2_2190 Depth=2
	s_mov_b32 s10, -1
	s_mov_b32 s27, exec_lo
                                        ; implicit-def: $sgpr25
	v_cmpx_eq_u16_e32 0x80, v103
; %bb.2833:                             ;   in Loop: Header=BB2_2190 Depth=2
	s_mov_b32 s25, 0x7f800001
	s_xor_b32 s10, exec_lo, -1
; %bb.2834:                             ;   in Loop: Header=BB2_2190 Depth=2
	s_or_b32 exec_lo, exec_lo, s27
	s_delay_alu instid0(SALU_CYCLE_1)
	s_and_b32 s10, s10, exec_lo
	s_or_saveexec_b32 s26, s26
	v_mov_b32_e32 v114, s25
	s_xor_b32 exec_lo, exec_lo, s26
	s_cbranch_execz .LBB2_2516
.LBB2_2835:                             ;   in Loop: Header=BB2_2190 Depth=2
	v_cmp_ne_u16_e32 vcc_lo, 0, v103
	v_mov_b32_e32 v114, 0
	s_and_not1_b32 s10, s10, exec_lo
	s_and_b32 s25, vcc_lo, exec_lo
	s_delay_alu instid0(SALU_CYCLE_1)
	s_or_b32 s10, s10, s25
	s_or_b32 exec_lo, exec_lo, s26
	s_and_saveexec_b32 s25, s10
	s_cbranch_execnz .LBB2_2517
	s_branch .LBB2_2518
.LBB2_2836:                             ;   in Loop: Header=BB2_2190 Depth=2
	s_mov_b32 s10, -1
	s_mov_b32 s27, exec_lo
                                        ; implicit-def: $sgpr25
	v_cmpx_eq_u16_e32 0x80, v112
; %bb.2837:                             ;   in Loop: Header=BB2_2190 Depth=2
	s_mov_b32 s25, 0x7f800001
	s_xor_b32 s10, exec_lo, -1
; %bb.2838:                             ;   in Loop: Header=BB2_2190 Depth=2
	s_or_b32 exec_lo, exec_lo, s27
	s_delay_alu instid0(SALU_CYCLE_1)
	s_and_b32 s10, s10, exec_lo
	s_or_saveexec_b32 s26, s26
	v_mov_b32_e32 v113, s25
	s_xor_b32 exec_lo, exec_lo, s26
	s_cbranch_execz .LBB2_2523
.LBB2_2839:                             ;   in Loop: Header=BB2_2190 Depth=2
	v_cmp_ne_u16_e32 vcc_lo, 0, v112
	v_mov_b32_e32 v113, 0
	s_and_not1_b32 s10, s10, exec_lo
	s_and_b32 s25, vcc_lo, exec_lo
	s_delay_alu instid0(SALU_CYCLE_1)
	s_or_b32 s10, s10, s25
	s_or_b32 exec_lo, exec_lo, s26
	s_and_saveexec_b32 s25, s10
	s_cbranch_execnz .LBB2_2524
	s_branch .LBB2_2525
.LBB2_2840:                             ;   in Loop: Header=BB2_2190 Depth=2
	s_mov_b32 s10, -1
	s_mov_b32 s27, exec_lo
                                        ; implicit-def: $sgpr25
	v_cmpx_eq_u16_e32 0x80, v103
; %bb.2841:                             ;   in Loop: Header=BB2_2190 Depth=2
	s_mov_b32 s25, 0x7f800001
	s_xor_b32 s10, exec_lo, -1
; %bb.2842:                             ;   in Loop: Header=BB2_2190 Depth=2
	s_or_b32 exec_lo, exec_lo, s27
	s_delay_alu instid0(SALU_CYCLE_1)
	s_and_b32 s10, s10, exec_lo
	s_or_saveexec_b32 s26, s26
	v_mov_b32_e32 v16, s25
	s_xor_b32 exec_lo, exec_lo, s26
	s_cbranch_execz .LBB2_2527
.LBB2_2843:                             ;   in Loop: Header=BB2_2190 Depth=2
	v_cmp_ne_u16_e32 vcc_lo, 0, v103
	v_mov_b32_e32 v16, 0
	s_and_not1_b32 s10, s10, exec_lo
	s_and_b32 s25, vcc_lo, exec_lo
	s_delay_alu instid0(SALU_CYCLE_1)
	s_or_b32 s10, s10, s25
	s_or_b32 exec_lo, exec_lo, s26
	s_and_saveexec_b32 s25, s10
	s_cbranch_execnz .LBB2_2528
	s_branch .LBB2_2529
.LBB2_2844:                             ;   in Loop: Header=BB2_2190 Depth=2
	s_mov_b32 s10, -1
	s_mov_b32 s27, exec_lo
                                        ; implicit-def: $sgpr25
	v_cmpx_eq_u16_e32 0x80, v103
; %bb.2845:                             ;   in Loop: Header=BB2_2190 Depth=2
	s_mov_b32 s25, 0x7f800001
	s_xor_b32 s10, exec_lo, -1
; %bb.2846:                             ;   in Loop: Header=BB2_2190 Depth=2
	s_or_b32 exec_lo, exec_lo, s27
	s_delay_alu instid0(SALU_CYCLE_1)
	s_and_b32 s10, s10, exec_lo
                                        ; implicit-def: $vgpr103
	s_or_saveexec_b32 s26, s26
	v_mov_b32_e32 v16, s25
	s_xor_b32 exec_lo, exec_lo, s26
	s_cbranch_execz .LBB2_2541
.LBB2_2847:                             ;   in Loop: Header=BB2_2190 Depth=2
	v_cmp_ne_u16_e32 vcc_lo, 0, v103
	v_mov_b32_e32 v16, 0
	s_and_not1_b32 s10, s10, exec_lo
	s_and_b32 s25, vcc_lo, exec_lo
	s_delay_alu instid0(SALU_CYCLE_1)
	s_or_b32 s10, s10, s25
	s_or_b32 exec_lo, exec_lo, s26
	s_and_saveexec_b32 s25, s10
	s_cbranch_execnz .LBB2_2542
	s_branch .LBB2_2543
.LBB2_2848:                             ;   in Loop: Header=BB2_2190 Depth=2
	s_mov_b32 s10, -1
	s_mov_b32 s27, exec_lo
                                        ; implicit-def: $sgpr25
	v_cmpx_eq_u16_e32 0x80, v112
; %bb.2849:                             ;   in Loop: Header=BB2_2190 Depth=2
	s_mov_b32 s25, 0x7f800001
	s_xor_b32 s10, exec_lo, -1
; %bb.2850:                             ;   in Loop: Header=BB2_2190 Depth=2
	s_or_b32 exec_lo, exec_lo, s27
	s_delay_alu instid0(SALU_CYCLE_1)
	s_and_b32 s10, s10, exec_lo
                                        ; implicit-def: $vgpr112
	s_or_saveexec_b32 s26, s26
	v_mov_b32_e32 v103, s25
	s_xor_b32 exec_lo, exec_lo, s26
	s_cbranch_execz .LBB2_2545
.LBB2_2851:                             ;   in Loop: Header=BB2_2190 Depth=2
	v_cmp_ne_u16_e32 vcc_lo, 0, v112
	v_mov_b32_e32 v103, 0
	s_and_not1_b32 s10, s10, exec_lo
	s_and_b32 s25, vcc_lo, exec_lo
	s_delay_alu instid0(SALU_CYCLE_1)
	s_or_b32 s10, s10, s25
	s_or_b32 exec_lo, exec_lo, s26
	s_and_saveexec_b32 s25, s10
	s_cbranch_execnz .LBB2_2546
	s_branch .LBB2_2547
.LBB2_2852:                             ;   in Loop: Header=BB2_2190 Depth=2
	s_mov_b32 s10, -1
	s_mov_b32 s27, exec_lo
                                        ; implicit-def: $sgpr25
	v_cmpx_eq_u16_e32 0x80, v103
; %bb.2853:                             ;   in Loop: Header=BB2_2190 Depth=2
	s_mov_b32 s25, 0x7f800001
	s_xor_b32 s10, exec_lo, -1
; %bb.2854:                             ;   in Loop: Header=BB2_2190 Depth=2
	s_or_b32 exec_lo, exec_lo, s27
	s_delay_alu instid0(SALU_CYCLE_1)
	s_and_b32 s10, s10, exec_lo
                                        ; implicit-def: $vgpr103
	s_or_saveexec_b32 s26, s26
	v_mov_b32_e32 v16, s25
	s_xor_b32 exec_lo, exec_lo, s26
	s_cbranch_execz .LBB2_2552
.LBB2_2855:                             ;   in Loop: Header=BB2_2190 Depth=2
	v_cmp_ne_u16_e32 vcc_lo, 0, v103
	v_mov_b32_e32 v16, 0
	s_and_not1_b32 s10, s10, exec_lo
	s_and_b32 s25, vcc_lo, exec_lo
	s_delay_alu instid0(SALU_CYCLE_1)
	s_or_b32 s10, s10, s25
	s_or_b32 exec_lo, exec_lo, s26
	s_and_saveexec_b32 s25, s10
	s_cbranch_execnz .LBB2_2553
	s_branch .LBB2_2554
.LBB2_2856:                             ;   in Loop: Header=BB2_2190 Depth=2
	s_mov_b32 s10, -1
	s_mov_b32 s27, exec_lo
                                        ; implicit-def: $sgpr25
	v_cmpx_eq_u16_e32 0x80, v112
; %bb.2857:                             ;   in Loop: Header=BB2_2190 Depth=2
	s_mov_b32 s25, 0x7f800001
	s_xor_b32 s10, exec_lo, -1
; %bb.2858:                             ;   in Loop: Header=BB2_2190 Depth=2
	s_or_b32 exec_lo, exec_lo, s27
	s_delay_alu instid0(SALU_CYCLE_1)
	s_and_b32 s10, s10, exec_lo
                                        ; implicit-def: $vgpr112
	s_or_saveexec_b32 s26, s26
	v_mov_b32_e32 v103, s25
	s_xor_b32 exec_lo, exec_lo, s26
	s_cbranch_execz .LBB2_2556
.LBB2_2859:                             ;   in Loop: Header=BB2_2190 Depth=2
	v_cmp_ne_u16_e32 vcc_lo, 0, v112
	v_mov_b32_e32 v103, 0
	s_and_not1_b32 s10, s10, exec_lo
	s_and_b32 s25, vcc_lo, exec_lo
	s_delay_alu instid0(SALU_CYCLE_1)
	s_or_b32 s10, s10, s25
	s_or_b32 exec_lo, exec_lo, s26
	s_and_saveexec_b32 s25, s10
	s_cbranch_execnz .LBB2_2557
	s_branch .LBB2_2558
.LBB2_2860:                             ;   in Loop: Header=BB2_2190 Depth=2
	s_mov_b32 s10, -1
	s_mov_b32 s27, exec_lo
                                        ; implicit-def: $sgpr25
	v_cmpx_eq_u16_e32 0x80, v112
; %bb.2861:                             ;   in Loop: Header=BB2_2190 Depth=2
	s_mov_b32 s25, 0x7f800001
	s_xor_b32 s10, exec_lo, -1
; %bb.2862:                             ;   in Loop: Header=BB2_2190 Depth=2
	s_or_b32 exec_lo, exec_lo, s27
	s_delay_alu instid0(SALU_CYCLE_1)
	s_and_b32 s10, s10, exec_lo
	s_or_saveexec_b32 s26, s26
	v_mov_b32_e32 v113, s25
	s_xor_b32 exec_lo, exec_lo, s26
	s_cbranch_execz .LBB2_2570
.LBB2_2863:                             ;   in Loop: Header=BB2_2190 Depth=2
	v_cmp_ne_u16_e32 vcc_lo, 0, v112
	v_mov_b32_e32 v113, 0
	s_and_not1_b32 s10, s10, exec_lo
	s_and_b32 s25, vcc_lo, exec_lo
	s_delay_alu instid0(SALU_CYCLE_1)
	s_or_b32 s10, s10, s25
	s_or_b32 exec_lo, exec_lo, s26
	s_and_saveexec_b32 s25, s10
	s_cbranch_execnz .LBB2_2571
	s_branch .LBB2_2572
.LBB2_2864:                             ;   in Loop: Header=BB2_2190 Depth=2
	s_mov_b32 s10, -1
	s_mov_b32 s27, exec_lo
                                        ; implicit-def: $sgpr25
	v_cmpx_eq_u16_e32 0x80, v103
; %bb.2865:                             ;   in Loop: Header=BB2_2190 Depth=2
	s_mov_b32 s25, 0x7f800001
	s_xor_b32 s10, exec_lo, -1
; %bb.2866:                             ;   in Loop: Header=BB2_2190 Depth=2
	s_or_b32 exec_lo, exec_lo, s27
	s_delay_alu instid0(SALU_CYCLE_1)
	s_and_b32 s10, s10, exec_lo
	s_or_saveexec_b32 s26, s26
	v_mov_b32_e32 v114, s25
	s_xor_b32 exec_lo, exec_lo, s26
	s_cbranch_execz .LBB2_2574
.LBB2_2867:                             ;   in Loop: Header=BB2_2190 Depth=2
	v_cmp_ne_u16_e32 vcc_lo, 0, v103
	v_mov_b32_e32 v114, 0
	s_and_not1_b32 s10, s10, exec_lo
	s_and_b32 s25, vcc_lo, exec_lo
	s_delay_alu instid0(SALU_CYCLE_1)
	s_or_b32 s10, s10, s25
	s_or_b32 exec_lo, exec_lo, s26
	s_and_saveexec_b32 s25, s10
	s_cbranch_execnz .LBB2_2575
	s_branch .LBB2_2576
.LBB2_2868:                             ;   in Loop: Header=BB2_2190 Depth=2
	s_mov_b32 s10, -1
	s_mov_b32 s27, exec_lo
                                        ; implicit-def: $sgpr25
	v_cmpx_eq_u16_e32 0x80, v112
; %bb.2869:                             ;   in Loop: Header=BB2_2190 Depth=2
	s_mov_b32 s25, 0x7f800001
	s_xor_b32 s10, exec_lo, -1
; %bb.2870:                             ;   in Loop: Header=BB2_2190 Depth=2
	s_or_b32 exec_lo, exec_lo, s27
	s_delay_alu instid0(SALU_CYCLE_1)
	s_and_b32 s10, s10, exec_lo
	s_or_saveexec_b32 s26, s26
	v_mov_b32_e32 v113, s25
	s_xor_b32 exec_lo, exec_lo, s26
	s_cbranch_execz .LBB2_2581
.LBB2_2871:                             ;   in Loop: Header=BB2_2190 Depth=2
	v_cmp_ne_u16_e32 vcc_lo, 0, v112
	v_mov_b32_e32 v113, 0
	s_and_not1_b32 s10, s10, exec_lo
	s_and_b32 s25, vcc_lo, exec_lo
	s_delay_alu instid0(SALU_CYCLE_1)
	s_or_b32 s10, s10, s25
	s_or_b32 exec_lo, exec_lo, s26
	s_and_saveexec_b32 s25, s10
	s_cbranch_execnz .LBB2_2582
	s_branch .LBB2_2583
.LBB2_2872:                             ;   in Loop: Header=BB2_2190 Depth=2
	s_mov_b32 s10, -1
	s_mov_b32 s27, exec_lo
                                        ; implicit-def: $sgpr25
	v_cmpx_eq_u16_e32 0x80, v103
; %bb.2873:                             ;   in Loop: Header=BB2_2190 Depth=2
	s_mov_b32 s25, 0x7f800001
	s_xor_b32 s10, exec_lo, -1
; %bb.2874:                             ;   in Loop: Header=BB2_2190 Depth=2
	s_or_b32 exec_lo, exec_lo, s27
	s_delay_alu instid0(SALU_CYCLE_1)
	s_and_b32 s10, s10, exec_lo
	s_or_saveexec_b32 s26, s26
	v_mov_b32_e32 v112, s25
	s_xor_b32 exec_lo, exec_lo, s26
	s_cbranch_execz .LBB2_2585
.LBB2_2875:                             ;   in Loop: Header=BB2_2190 Depth=2
	v_cmp_ne_u16_e32 vcc_lo, 0, v103
	v_mov_b32_e32 v112, 0
	s_and_not1_b32 s10, s10, exec_lo
	s_and_b32 s25, vcc_lo, exec_lo
	s_delay_alu instid0(SALU_CYCLE_1)
	s_or_b32 s10, s10, s25
	s_or_b32 exec_lo, exec_lo, s26
	s_and_saveexec_b32 s25, s10
	s_cbranch_execnz .LBB2_2586
	s_branch .LBB2_2587
.LBB2_2876:                             ;   in Loop: Header=BB2_2190 Depth=2
	s_mov_b32 s10, -1
	s_mov_b32 s27, exec_lo
                                        ; implicit-def: $sgpr25
	v_cmpx_eq_u16_e32 0x80, v115
; %bb.2877:                             ;   in Loop: Header=BB2_2190 Depth=2
	s_mov_b32 s25, 0x7f800001
	s_xor_b32 s10, exec_lo, -1
; %bb.2878:                             ;   in Loop: Header=BB2_2190 Depth=2
	s_or_b32 exec_lo, exec_lo, s27
	s_delay_alu instid0(SALU_CYCLE_1)
	s_and_b32 s10, s10, exec_lo
                                        ; implicit-def: $vgpr115
	s_or_saveexec_b32 s26, s26
	v_mov_b32_e32 v114, s25
	s_xor_b32 exec_lo, exec_lo, s26
	s_cbranch_execz .LBB2_2599
.LBB2_2879:                             ;   in Loop: Header=BB2_2190 Depth=2
	v_cmp_ne_u16_e32 vcc_lo, 0, v115
	v_mov_b32_e32 v114, 0
	s_and_not1_b32 s10, s10, exec_lo
	s_and_b32 s25, vcc_lo, exec_lo
	s_delay_alu instid0(SALU_CYCLE_1)
	s_or_b32 s10, s10, s25
	s_or_b32 exec_lo, exec_lo, s26
	s_and_saveexec_b32 s25, s10
	s_cbranch_execnz .LBB2_2600
	s_branch .LBB2_2601
.LBB2_2880:                             ;   in Loop: Header=BB2_2190 Depth=2
	s_mov_b32 s10, -1
	s_mov_b32 s27, exec_lo
                                        ; implicit-def: $sgpr25
	v_cmpx_eq_u16_e32 0x80, v116
; %bb.2881:                             ;   in Loop: Header=BB2_2190 Depth=2
	s_mov_b32 s25, 0x7f800001
	s_xor_b32 s10, exec_lo, -1
; %bb.2882:                             ;   in Loop: Header=BB2_2190 Depth=2
	s_or_b32 exec_lo, exec_lo, s27
	s_delay_alu instid0(SALU_CYCLE_1)
	s_and_b32 s10, s10, exec_lo
                                        ; implicit-def: $vgpr116
	s_or_saveexec_b32 s26, s26
	v_mov_b32_e32 v115, s25
	s_xor_b32 exec_lo, exec_lo, s26
	s_cbranch_execz .LBB2_2603
.LBB2_2883:                             ;   in Loop: Header=BB2_2190 Depth=2
	v_cmp_ne_u16_e32 vcc_lo, 0, v116
	v_mov_b32_e32 v115, 0
	s_and_not1_b32 s10, s10, exec_lo
	s_and_b32 s25, vcc_lo, exec_lo
	s_delay_alu instid0(SALU_CYCLE_1)
	s_or_b32 s10, s10, s25
	s_or_b32 exec_lo, exec_lo, s26
	s_and_saveexec_b32 s25, s10
	s_cbranch_execnz .LBB2_2604
	s_branch .LBB2_2605
.LBB2_2884:                             ;   in Loop: Header=BB2_2190 Depth=2
	s_mov_b32 s10, -1
	s_mov_b32 s27, exec_lo
                                        ; implicit-def: $sgpr25
	v_cmpx_eq_u16_e32 0x80, v115
; %bb.2885:                             ;   in Loop: Header=BB2_2190 Depth=2
	s_mov_b32 s25, 0x7f800001
	s_xor_b32 s10, exec_lo, -1
; %bb.2886:                             ;   in Loop: Header=BB2_2190 Depth=2
	s_or_b32 exec_lo, exec_lo, s27
	s_delay_alu instid0(SALU_CYCLE_1)
	s_and_b32 s10, s10, exec_lo
                                        ; implicit-def: $vgpr115
	s_or_saveexec_b32 s26, s26
	v_mov_b32_e32 v114, s25
	s_xor_b32 exec_lo, exec_lo, s26
	s_cbranch_execz .LBB2_2610
.LBB2_2887:                             ;   in Loop: Header=BB2_2190 Depth=2
	v_cmp_ne_u16_e32 vcc_lo, 0, v115
	v_mov_b32_e32 v114, 0
	s_and_not1_b32 s10, s10, exec_lo
	s_and_b32 s25, vcc_lo, exec_lo
	s_delay_alu instid0(SALU_CYCLE_1)
	s_or_b32 s10, s10, s25
	s_or_b32 exec_lo, exec_lo, s26
	s_and_saveexec_b32 s25, s10
	s_cbranch_execnz .LBB2_2611
	s_branch .LBB2_2612
.LBB2_2888:                             ;   in Loop: Header=BB2_2190 Depth=2
	s_mov_b32 s10, -1
	s_mov_b32 s27, exec_lo
                                        ; implicit-def: $sgpr25
	v_cmpx_eq_u16_e32 0x80, v115
; %bb.2889:                             ;   in Loop: Header=BB2_2190 Depth=2
	s_mov_b32 s25, 0x7f800001
	s_xor_b32 s10, exec_lo, -1
; %bb.2890:                             ;   in Loop: Header=BB2_2190 Depth=2
	s_or_b32 exec_lo, exec_lo, s27
	s_delay_alu instid0(SALU_CYCLE_1)
	s_and_b32 s10, s10, exec_lo
                                        ; implicit-def: $vgpr115
	s_or_saveexec_b32 s26, s26
	v_mov_b32_e32 v113, s25
	s_xor_b32 exec_lo, exec_lo, s26
	s_cbranch_execz .LBB2_2614
.LBB2_2891:                             ;   in Loop: Header=BB2_2190 Depth=2
	v_cmp_ne_u16_e32 vcc_lo, 0, v115
	v_mov_b32_e32 v113, 0
	s_and_not1_b32 s10, s10, exec_lo
	s_and_b32 s25, vcc_lo, exec_lo
	s_delay_alu instid0(SALU_CYCLE_1)
	s_or_b32 s10, s10, s25
	s_or_b32 exec_lo, exec_lo, s26
	s_and_saveexec_b32 s25, s10
	s_cbranch_execnz .LBB2_2615
	s_branch .LBB2_2616
.LBB2_2892:                             ;   in Loop: Header=BB2_2190 Depth=2
	s_mov_b32 s10, -1
	s_mov_b32 s27, exec_lo
                                        ; implicit-def: $sgpr25
	v_cmpx_eq_u16_e32 0x80, v114
; %bb.2893:                             ;   in Loop: Header=BB2_2190 Depth=2
	s_mov_b32 s25, 0x7f800001
	s_xor_b32 s10, exec_lo, -1
; %bb.2894:                             ;   in Loop: Header=BB2_2190 Depth=2
	s_or_b32 exec_lo, exec_lo, s27
	s_delay_alu instid0(SALU_CYCLE_1)
	s_and_b32 s10, s10, exec_lo
	s_or_saveexec_b32 s26, s26
	v_mov_b32_e32 v115, s25
	s_xor_b32 exec_lo, exec_lo, s26
	s_cbranch_execz .LBB2_2628
.LBB2_2895:                             ;   in Loop: Header=BB2_2190 Depth=2
	v_cmp_ne_u16_e32 vcc_lo, 0, v114
	v_mov_b32_e32 v115, 0
	s_and_not1_b32 s10, s10, exec_lo
	s_and_b32 s25, vcc_lo, exec_lo
	s_delay_alu instid0(SALU_CYCLE_1)
	s_or_b32 s10, s10, s25
	s_or_b32 exec_lo, exec_lo, s26
	s_and_saveexec_b32 s25, s10
	s_cbranch_execnz .LBB2_2629
	s_branch .LBB2_2630
.LBB2_2896:                             ;   in Loop: Header=BB2_2190 Depth=2
	s_mov_b32 s10, -1
	s_mov_b32 s27, exec_lo
                                        ; implicit-def: $sgpr25
	v_cmpx_eq_u16_e32 0x80, v113
; %bb.2897:                             ;   in Loop: Header=BB2_2190 Depth=2
	s_mov_b32 s25, 0x7f800001
	s_xor_b32 s10, exec_lo, -1
; %bb.2898:                             ;   in Loop: Header=BB2_2190 Depth=2
	s_or_b32 exec_lo, exec_lo, s27
	s_delay_alu instid0(SALU_CYCLE_1)
	s_and_b32 s10, s10, exec_lo
	s_or_saveexec_b32 s26, s26
	v_mov_b32_e32 v116, s25
	s_xor_b32 exec_lo, exec_lo, s26
	s_cbranch_execz .LBB2_2632
.LBB2_2899:                             ;   in Loop: Header=BB2_2190 Depth=2
	v_cmp_ne_u16_e32 vcc_lo, 0, v113
	v_mov_b32_e32 v116, 0
	s_and_not1_b32 s10, s10, exec_lo
	s_and_b32 s25, vcc_lo, exec_lo
	s_delay_alu instid0(SALU_CYCLE_1)
	s_or_b32 s10, s10, s25
	s_or_b32 exec_lo, exec_lo, s26
	s_and_saveexec_b32 s25, s10
	s_cbranch_execnz .LBB2_2633
	s_branch .LBB2_2634
.LBB2_2900:                             ;   in Loop: Header=BB2_2190 Depth=2
	s_mov_b32 s10, -1
	s_mov_b32 s27, exec_lo
                                        ; implicit-def: $sgpr25
	v_cmpx_eq_u16_e32 0x80, v114
; %bb.2901:                             ;   in Loop: Header=BB2_2190 Depth=2
	s_mov_b32 s25, 0x7f800001
	s_xor_b32 s10, exec_lo, -1
; %bb.2902:                             ;   in Loop: Header=BB2_2190 Depth=2
	s_or_b32 exec_lo, exec_lo, s27
	s_delay_alu instid0(SALU_CYCLE_1)
	s_and_b32 s10, s10, exec_lo
	s_or_saveexec_b32 s26, s26
	v_mov_b32_e32 v115, s25
	s_xor_b32 exec_lo, exec_lo, s26
	s_cbranch_execz .LBB2_2639
.LBB2_2903:                             ;   in Loop: Header=BB2_2190 Depth=2
	v_cmp_ne_u16_e32 vcc_lo, 0, v114
	v_mov_b32_e32 v115, 0
	s_and_not1_b32 s10, s10, exec_lo
	s_and_b32 s25, vcc_lo, exec_lo
	s_delay_alu instid0(SALU_CYCLE_1)
	s_or_b32 s10, s10, s25
	s_or_b32 exec_lo, exec_lo, s26
	s_and_saveexec_b32 s25, s10
	s_cbranch_execnz .LBB2_2640
	s_branch .LBB2_2641
.LBB2_2904:                             ;   in Loop: Header=BB2_2190 Depth=2
	s_mov_b32 s10, -1
	s_mov_b32 s27, exec_lo
                                        ; implicit-def: $sgpr25
	v_cmpx_eq_u16_e32 0x80, v113
; %bb.2905:                             ;   in Loop: Header=BB2_2190 Depth=2
	s_mov_b32 s25, 0x7f800001
	s_xor_b32 s10, exec_lo, -1
; %bb.2906:                             ;   in Loop: Header=BB2_2190 Depth=2
	s_or_b32 exec_lo, exec_lo, s27
	s_delay_alu instid0(SALU_CYCLE_1)
	s_and_b32 s10, s10, exec_lo
	s_or_saveexec_b32 s26, s26
	v_mov_b32_e32 v17, s25
	s_xor_b32 exec_lo, exec_lo, s26
	s_cbranch_execz .LBB2_2643
.LBB2_2907:                             ;   in Loop: Header=BB2_2190 Depth=2
	v_cmp_ne_u16_e32 vcc_lo, 0, v113
	v_mov_b32_e32 v17, 0
	s_and_not1_b32 s10, s10, exec_lo
	s_and_b32 s25, vcc_lo, exec_lo
	s_delay_alu instid0(SALU_CYCLE_1)
	s_or_b32 s10, s10, s25
	s_or_b32 exec_lo, exec_lo, s26
	s_and_saveexec_b32 s25, s10
	s_cbranch_execnz .LBB2_2644
	s_branch .LBB2_2645
.LBB2_2908:                             ;   in Loop: Header=BB2_2103 Depth=1
	s_or_b32 exec_lo, exec_lo, s23
.LBB2_2909:                             ;   in Loop: Header=BB2_2103 Depth=1
	s_delay_alu instid0(SALU_CYCLE_1) | instskip(SKIP_3) | instid1(VALU_DEP_1)
	s_or_b32 exec_lo, exec_lo, s22
	v_dual_mov_b32 v85, 0 :: v_dual_and_b32 v10, 15, v34
	s_mov_b32 s22, 0
	s_mov_b32 s10, exec_lo
                                        ; implicit-def: $vgpr16
	v_cndmask_b32_e64 v86, v87, v10, s7
	s_delay_alu instid0(VALU_DEP_1)
	v_cmpx_ne_u32_e32 0, v86
	s_cbranch_execz .LBB2_3636
; %bb.2910:                             ;   in Loop: Header=BB2_2103 Depth=1
	v_cmp_lt_i32_e32 vcc_lo, 0, v96
	s_mov_b32 s22, exec_lo
	v_cndmask_b32_e32 v11, 0, v54, vcc_lo
	s_delay_alu instid0(VALU_DEP_1) | instskip(NEXT) | instid1(VALU_DEP_1)
	v_sub_nc_u32_e32 v11, v11, v96
	v_lshl_add_u32 v11, v11, 5, v67
	s_delay_alu instid0(VALU_DEP_1) | instskip(NEXT) | instid1(VALU_DEP_1)
	v_ashrrev_i32_e32 v12, 31, v11
	v_lshrrev_b32_e32 v12, 27, v12
	s_delay_alu instid0(VALU_DEP_1) | instskip(NEXT) | instid1(VALU_DEP_1)
	v_add_nc_u32_e32 v12, v11, v12
	v_and_b32_e32 v13, 0xffffffe0, v12
	s_delay_alu instid0(VALU_DEP_1) | instskip(SKIP_2) | instid1(VALU_DEP_3)
	v_sub_nc_u32_e32 v96, v11, v13
	v_ashrrev_i32_e32 v11, 5, v12
	v_sub_nc_u32_e32 v13, v87, v10
	v_lshlrev_b32_e32 v12, 4, v96
	s_delay_alu instid0(VALU_DEP_3) | instskip(NEXT) | instid1(VALU_DEP_2)
	v_sub_nc_u32_e32 v87, 0, v11
	v_lshl_add_u32 v10, v11, 9, v12
	s_delay_alu instid0(VALU_DEP_4) | instskip(NEXT) | instid1(VALU_DEP_2)
	v_cndmask_b32_e64 v12, 0, v13, s7
	v_sub_nc_u32_e32 v97, v86, v10
	s_delay_alu instid0(VALU_DEP_2) | instskip(NEXT) | instid1(VALU_DEP_2)
	v_and_or_b32 v85, 0x3ffffe00, v34, v12
	v_cmpx_lt_i32_e32 15, v97
	s_cbranch_execz .LBB2_3635
; %bb.2911:                             ;   in Loop: Header=BB2_2103 Depth=1
	s_cbranch_execnz .LBB2_4595
; %bb.2912:                             ;   in Loop: Header=BB2_2103 Depth=1
	ds_load_b128 v[11:14], v0
	ds_load_b64 v[15:16], v0
	v_add_nc_u32_e32 v10, v10, v85
	s_bitcmp1_b32 s21, 0
	s_mov_b32 s23, 0
	s_cselect_b32 s24, -1, 0
	s_delay_alu instid0(VALU_DEP_1) | instskip(SKIP_3) | instid1(VALU_DEP_2)
	v_ashrrev_i32_e32 v17, 31, v10
	s_waitcnt lgkmcnt(1)
	v_add_co_u32 v48, vcc_lo, v11, v10
	s_waitcnt vmcnt(0)
	v_add_co_ci_u32_e32 v49, vcc_lo, v12, v17, vcc_lo
	v_add_co_u32 v50, vcc_lo, v13, v10
	s_waitcnt vmcnt(0)
	v_add_co_ci_u32_e32 v51, vcc_lo, v14, v17, vcc_lo
	s_waitcnt lgkmcnt(0)
	v_add_co_u32 v52, vcc_lo, v15, v10
	v_add_co_ci_u32_e32 v53, vcc_lo, v16, v17, vcc_lo
	s_branch .LBB2_2916
.LBB2_2913:                             ;   in Loop: Header=BB2_2916 Depth=2
	s_or_b32 exec_lo, exec_lo, s7
	s_delay_alu instid0(VALU_DEP_1) | instskip(NEXT) | instid1(VALU_DEP_2)
	v_lshrrev_b32_e32 v17, 20, v17
	v_min_i32_e32 v115, 15, v13
	v_cmp_gt_i32_e32 vcc_lo, 16, v13
	v_lshrrev_b32_e32 v116, 24, v117
	s_delay_alu instid0(VALU_DEP_3) | instskip(NEXT) | instid1(VALU_DEP_2)
	v_lshlrev_b32_e32 v115, 3, v115
	v_dual_cndmask_b32 v17, 7, v17 :: v_dual_and_b32 v116, 0x80, v116
	s_delay_alu instid0(VALU_DEP_2) | instskip(NEXT) | instid1(VALU_DEP_2)
	v_and_b32_e32 v115, 0xf8, v115
	v_and_b32_e32 v117, 7, v17
	v_or_b32_e32 v13, v13, v17
	s_delay_alu instid0(VALU_DEP_2) | instskip(NEXT) | instid1(VALU_DEP_2)
	v_or3_b32 v115, v116, v115, v117
	v_cmp_ne_u32_e32 vcc_lo, 0, v13
	s_delay_alu instid0(VALU_DEP_2) | instskip(NEXT) | instid1(VALU_DEP_1)
	v_lshlrev_b32_e32 v17, 8, v115
	v_cndmask_b32_e32 v13, 0, v17, vcc_lo
.LBB2_2914:                             ;   in Loop: Header=BB2_2916 Depth=2
	s_or_b32 exec_lo, exec_lo, s26
.LBB2_2915:                             ;   in Loop: Header=BB2_2916 Depth=2
	s_delay_alu instid0(SALU_CYCLE_1)
	s_or_b32 exec_lo, exec_lo, s25
	v_lshlrev_b32_e32 v17, 8, v101
	v_and_b32_e32 v100, 0xff, v100
	v_or_b32_e32 v11, v11, v102
	v_lshlrev_b32_e32 v99, 8, v99
	v_lshlrev_b32_e32 v101, 8, v103
	v_perm_b32 v14, v17, v14, 0xc0c0500
	v_lshlrev_b32_e32 v17, 16, v100
	v_and_b32_e32 v100, 0xff, v112
	v_lshlrev_b32_e32 v102, 8, v113
	v_lshlrev_b32_e32 v10, 24, v10
	v_perm_b32 v98, v99, v98, 0xc0c0500
	v_lshlrev_b32_e32 v12, 24, v12
	v_lshlrev_b32_e32 v99, 16, v100
	v_perm_b32 v15, v101, v15, 0xc0c0500
	v_perm_b32 v16, v102, v16, 0xc0c0500
	v_or_b32_e32 v13, v13, v114
	v_add_co_u32 v48, vcc_lo, v48, v70
	v_lshl_or_b32 v11, v11, 16, v14
	v_or3_b32 v10, v10, v17, v98
	v_or3_b32 v12, v12, v99, v15
	v_lshl_or_b32 v13, v13, 16, v16
	v_sub_nc_u32_e32 v97, v97, v66
	v_add_co_ci_u32_e32 v49, vcc_lo, v49, v71, vcc_lo
	v_add_co_u32 v50, vcc_lo, v50, v70
	v_add_co_ci_u32_e32 v51, vcc_lo, v51, v71, vcc_lo
	global_store_b128 v[52:53], v[10:13], off glc slc dlc
	v_cmp_gt_i32_e32 vcc_lo, 16, v97
	v_add_co_u32 v52, s7, v52, v70
	s_delay_alu instid0(VALU_DEP_1) | instskip(SKIP_2) | instid1(SALU_CYCLE_1)
	v_add_co_ci_u32_e64 v53, s7, v53, v71, s7
	v_sub_nc_u32_e32 v87, v87, v54
	s_or_b32 s23, vcc_lo, s23
	s_and_not1_b32 exec_lo, exec_lo, s23
	s_cbranch_execz .LBB2_3634
.LBB2_2916:                             ;   Parent Loop BB2_2103 Depth=1
                                        ; =>  This Inner Loop Header: Depth=2
	global_load_b128 v[14:17], v[48:49], off slc dlc
	global_load_b128 v[10:13], v[50:51], off slc dlc
	s_and_b32 vcc_lo, exec_lo, s24
	s_cbranch_vccz .LBB2_2926
; %bb.2917:                             ;   in Loop: Header=BB2_2916 Depth=2
	s_waitcnt vmcnt(1)
	v_and_b32_e32 v99, 0xff, v14
	s_mov_b32 s7, 0
	s_mov_b32 s26, exec_lo
                                        ; implicit-def: $sgpr25
	s_delay_alu instid0(VALU_DEP_1)
	v_cmpx_lt_i16_e32 0x7f, v99
	s_xor_b32 s26, exec_lo, s26
	s_cbranch_execnz .LBB2_3378
; %bb.2918:                             ;   in Loop: Header=BB2_2916 Depth=2
	s_or_saveexec_b32 s26, s26
	v_mov_b32_e32 v98, s25
	s_xor_b32 exec_lo, exec_lo, s26
	s_cbranch_execnz .LBB2_3381
.LBB2_2919:                             ;   in Loop: Header=BB2_2916 Depth=2
	s_or_b32 exec_lo, exec_lo, s26
	s_and_saveexec_b32 s25, s7
	s_cbranch_execz .LBB2_2921
.LBB2_2920:                             ;   in Loop: Header=BB2_2916 Depth=2
	v_bfe_u32 v101, v14, 3, 4
	v_lshlrev_b32_e32 v102, 24, v14
	s_delay_alu instid0(VALU_DEP_2) | instskip(SKIP_1) | instid1(VALU_DEP_1)
	v_cmp_eq_u32_e32 vcc_lo, 0, v101
	v_and_b32_e32 v98, 7, v14
	v_clz_i32_u32_e32 v99, v98
	s_delay_alu instid0(VALU_DEP_1) | instskip(NEXT) | instid1(VALU_DEP_1)
	v_min_u32_e32 v99, 32, v99
	v_subrev_nc_u32_e32 v100, 28, v99
	v_sub_nc_u32_e32 v99, 29, v99
	s_delay_alu instid0(VALU_DEP_1) | instskip(NEXT) | instid1(VALU_DEP_1)
	v_dual_cndmask_b32 v99, v101, v99 :: v_dual_lshlrev_b32 v100, v100, v14
	v_and_b32_e32 v100, 7, v100
	s_delay_alu instid0(VALU_DEP_2) | instskip(NEXT) | instid1(VALU_DEP_2)
	v_lshl_add_u32 v99, v99, 23, 0x3b800000
	v_cndmask_b32_e32 v98, v98, v100, vcc_lo
	v_and_b32_e32 v100, 0x80000000, v102
	s_delay_alu instid0(VALU_DEP_2) | instskip(NEXT) | instid1(VALU_DEP_1)
	v_lshlrev_b32_e32 v98, 20, v98
	v_or3_b32 v98, v100, v99, v98
.LBB2_2921:                             ;   in Loop: Header=BB2_2916 Depth=2
	s_or_b32 exec_lo, exec_lo, s25
	s_waitcnt vmcnt(0)
	v_and_b32_e32 v100, 0xff, v10
	s_mov_b32 s7, 0
	s_mov_b32 s26, exec_lo
                                        ; implicit-def: $sgpr25
	s_delay_alu instid0(VALU_DEP_1)
	v_cmpx_lt_i16_e32 0x7f, v100
	s_xor_b32 s26, exec_lo, s26
	s_cbranch_execnz .LBB2_3382
; %bb.2922:                             ;   in Loop: Header=BB2_2916 Depth=2
	s_or_saveexec_b32 s26, s26
	v_mov_b32_e32 v99, s25
	s_xor_b32 exec_lo, exec_lo, s26
	s_cbranch_execnz .LBB2_3385
.LBB2_2923:                             ;   in Loop: Header=BB2_2916 Depth=2
	s_or_b32 exec_lo, exec_lo, s26
	s_and_saveexec_b32 s25, s7
	s_cbranch_execz .LBB2_2925
.LBB2_2924:                             ;   in Loop: Header=BB2_2916 Depth=2
	v_bfe_u32 v102, v10, 3, 4
	v_lshlrev_b32_e32 v103, 24, v10
	s_delay_alu instid0(VALU_DEP_2) | instskip(SKIP_1) | instid1(VALU_DEP_1)
	v_cmp_eq_u32_e32 vcc_lo, 0, v102
	v_and_b32_e32 v99, 7, v10
	v_clz_i32_u32_e32 v100, v99
	s_delay_alu instid0(VALU_DEP_1) | instskip(NEXT) | instid1(VALU_DEP_1)
	v_min_u32_e32 v100, 32, v100
	v_subrev_nc_u32_e32 v101, 28, v100
	v_sub_nc_u32_e32 v100, 29, v100
	s_delay_alu instid0(VALU_DEP_1) | instskip(NEXT) | instid1(VALU_DEP_1)
	v_dual_cndmask_b32 v100, v102, v100 :: v_dual_lshlrev_b32 v101, v101, v10
	v_and_b32_e32 v101, 7, v101
	s_delay_alu instid0(VALU_DEP_2) | instskip(NEXT) | instid1(VALU_DEP_2)
	v_lshl_add_u32 v100, v100, 23, 0x3b800000
	v_cndmask_b32_e32 v99, v99, v101, vcc_lo
	v_and_b32_e32 v101, 0x80000000, v103
	s_delay_alu instid0(VALU_DEP_2) | instskip(NEXT) | instid1(VALU_DEP_1)
	v_lshlrev_b32_e32 v99, 20, v99
	v_or3_b32 v99, v101, v100, v99
.LBB2_2925:                             ;   in Loop: Header=BB2_2916 Depth=2
	s_or_b32 exec_lo, exec_lo, s25
	s_delay_alu instid0(VALU_DEP_1) | instskip(SKIP_1) | instid1(VALU_DEP_1)
	v_dual_max_f32 v99, v99, v99 :: v_dual_max_f32 v98, v98, v98
	s_mov_b32 s7, 0
	v_max_f32_e32 v99, v98, v99
	s_branch .LBB2_2927
.LBB2_2926:                             ;   in Loop: Header=BB2_2916 Depth=2
	s_mov_b32 s7, -1
                                        ; implicit-def: $vgpr99
.LBB2_2927:                             ;   in Loop: Header=BB2_2916 Depth=2
	s_delay_alu instid0(SALU_CYCLE_1)
	s_and_b32 vcc_lo, exec_lo, s7
	s_cbranch_vccz .LBB2_2937
; %bb.2928:                             ;   in Loop: Header=BB2_2916 Depth=2
	s_waitcnt vmcnt(1)
	v_and_b32_e32 v99, 0xff, v14
	s_mov_b32 s7, 0
	s_mov_b32 s26, exec_lo
                                        ; implicit-def: $sgpr25
	s_delay_alu instid0(VALU_DEP_1)
	v_cmpx_lt_i16_e32 0x7f, v99
	s_xor_b32 s26, exec_lo, s26
	s_cbranch_execnz .LBB2_3386
; %bb.2929:                             ;   in Loop: Header=BB2_2916 Depth=2
	s_or_saveexec_b32 s26, s26
	v_mov_b32_e32 v98, s25
	s_xor_b32 exec_lo, exec_lo, s26
	s_cbranch_execnz .LBB2_3389
.LBB2_2930:                             ;   in Loop: Header=BB2_2916 Depth=2
	s_or_b32 exec_lo, exec_lo, s26
	s_and_saveexec_b32 s25, s7
	s_cbranch_execz .LBB2_2932
.LBB2_2931:                             ;   in Loop: Header=BB2_2916 Depth=2
	v_bfe_u32 v101, v14, 3, 4
	v_lshlrev_b32_e32 v102, 24, v14
	s_delay_alu instid0(VALU_DEP_2) | instskip(SKIP_1) | instid1(VALU_DEP_1)
	v_cmp_eq_u32_e32 vcc_lo, 0, v101
	v_and_b32_e32 v98, 7, v14
	v_clz_i32_u32_e32 v99, v98
	s_delay_alu instid0(VALU_DEP_1) | instskip(NEXT) | instid1(VALU_DEP_1)
	v_min_u32_e32 v99, 32, v99
	v_subrev_nc_u32_e32 v100, 28, v99
	v_sub_nc_u32_e32 v99, 29, v99
	s_delay_alu instid0(VALU_DEP_1) | instskip(NEXT) | instid1(VALU_DEP_1)
	v_dual_cndmask_b32 v99, v101, v99 :: v_dual_lshlrev_b32 v100, v100, v14
	v_and_b32_e32 v100, 7, v100
	s_delay_alu instid0(VALU_DEP_2) | instskip(NEXT) | instid1(VALU_DEP_2)
	v_lshl_add_u32 v99, v99, 23, 0x3b800000
	v_cndmask_b32_e32 v98, v98, v100, vcc_lo
	v_and_b32_e32 v100, 0x80000000, v102
	s_delay_alu instid0(VALU_DEP_2) | instskip(NEXT) | instid1(VALU_DEP_1)
	v_lshlrev_b32_e32 v98, 20, v98
	v_or3_b32 v98, v100, v99, v98
.LBB2_2932:                             ;   in Loop: Header=BB2_2916 Depth=2
	s_or_b32 exec_lo, exec_lo, s25
	s_waitcnt vmcnt(0)
	v_and_b32_e32 v100, 0xff, v10
	s_mov_b32 s7, 0
	s_mov_b32 s26, exec_lo
                                        ; implicit-def: $sgpr25
	s_delay_alu instid0(VALU_DEP_1)
	v_cmpx_lt_i16_e32 0x7f, v100
	s_xor_b32 s26, exec_lo, s26
	s_cbranch_execnz .LBB2_3390
; %bb.2933:                             ;   in Loop: Header=BB2_2916 Depth=2
	s_or_saveexec_b32 s26, s26
	v_mov_b32_e32 v99, s25
	s_xor_b32 exec_lo, exec_lo, s26
	s_cbranch_execnz .LBB2_3393
.LBB2_2934:                             ;   in Loop: Header=BB2_2916 Depth=2
	s_or_b32 exec_lo, exec_lo, s26
	s_and_saveexec_b32 s25, s7
	s_cbranch_execz .LBB2_2936
.LBB2_2935:                             ;   in Loop: Header=BB2_2916 Depth=2
	v_bfe_u32 v102, v10, 3, 4
	v_lshlrev_b32_e32 v103, 24, v10
	s_delay_alu instid0(VALU_DEP_2) | instskip(SKIP_1) | instid1(VALU_DEP_1)
	v_cmp_eq_u32_e32 vcc_lo, 0, v102
	v_and_b32_e32 v99, 7, v10
	v_clz_i32_u32_e32 v100, v99
	s_delay_alu instid0(VALU_DEP_1) | instskip(NEXT) | instid1(VALU_DEP_1)
	v_min_u32_e32 v100, 32, v100
	v_subrev_nc_u32_e32 v101, 28, v100
	v_sub_nc_u32_e32 v100, 29, v100
	s_delay_alu instid0(VALU_DEP_1) | instskip(NEXT) | instid1(VALU_DEP_1)
	v_dual_cndmask_b32 v100, v102, v100 :: v_dual_lshlrev_b32 v101, v101, v10
	v_and_b32_e32 v101, 7, v101
	s_delay_alu instid0(VALU_DEP_2) | instskip(NEXT) | instid1(VALU_DEP_2)
	v_lshl_add_u32 v100, v100, 23, 0x3b800000
	v_cndmask_b32_e32 v99, v99, v101, vcc_lo
	v_and_b32_e32 v101, 0x80000000, v103
	s_delay_alu instid0(VALU_DEP_2) | instskip(NEXT) | instid1(VALU_DEP_1)
	v_lshlrev_b32_e32 v99, 20, v99
	v_or3_b32 v99, v101, v100, v99
.LBB2_2936:                             ;   in Loop: Header=BB2_2916 Depth=2
	s_or_b32 exec_lo, exec_lo, s25
	s_delay_alu instid0(VALU_DEP_1) | instskip(NEXT) | instid1(VALU_DEP_1)
	v_dual_max_f32 v99, v99, v99 :: v_dual_max_f32 v98, v98, v98
	v_min_f32_e32 v99, v98, v99
.LBB2_2937:                             ;   in Loop: Header=BB2_2916 Depth=2
	s_delay_alu instid0(VALU_DEP_1) | instskip(NEXT) | instid1(VALU_DEP_1)
	v_and_b32_e32 v98, 0x7f800000, v99
	v_cmp_ne_u32_e32 vcc_lo, 0x7f800000, v98
	v_mov_b32_e32 v98, 0x80
	s_and_saveexec_b32 s25, vcc_lo
	s_cbranch_execz .LBB2_2945
; %bb.2938:                             ;   in Loop: Header=BB2_2916 Depth=2
	v_mov_b32_e32 v98, 0
	s_mov_b32 s26, exec_lo
	v_cmpx_ne_u32_e32 0, v99
	s_cbranch_execz .LBB2_2944
; %bb.2939:                             ;   in Loop: Header=BB2_2916 Depth=2
	v_bfe_u32 v98, v99, 23, 8
	s_delay_alu instid0(VALU_DEP_1) | instskip(SKIP_1) | instid1(VALU_DEP_2)
	v_sub_nc_u32_e32 v101, 0x78, v98
	v_cmp_gt_u32_e32 vcc_lo, 0x79, v98
	v_dual_cndmask_b32 v101, 0, v101 :: v_dual_and_b32 v100, 0x7fffff, v99
	s_delay_alu instid0(VALU_DEP_1) | instskip(SKIP_2) | instid1(VALU_DEP_4)
	v_or_b32_e32 v102, 0x800000, v100
	v_cmp_eq_u32_e32 vcc_lo, 0, v98
	v_add_nc_u32_e32 v98, 0xffffff89, v98
	v_cndmask_b32_e64 v101, v101, 0x77, vcc_lo
	s_delay_alu instid0(VALU_DEP_2) | instskip(SKIP_1) | instid1(VALU_DEP_3)
	v_cndmask_b32_e64 v98, v98, 0xffffff8a, vcc_lo
	v_cndmask_b32_e32 v100, v102, v100, vcc_lo
	v_lshl_add_u32 v102, 0x100000, v101, -1
	v_lshlrev_b32_e64 v113, v101, 0x80000
	s_delay_alu instid0(VALU_DEP_3) | instskip(SKIP_1) | instid1(VALU_DEP_4)
	v_lshrrev_b32_e32 v103, v101, v100
	v_add_nc_u32_e32 v101, v101, v98
	v_and_b32_e32 v100, v102, v100
	s_delay_alu instid0(VALU_DEP_3) | instskip(NEXT) | instid1(VALU_DEP_2)
	v_bfe_u32 v112, v103, 20, 1
	v_cmp_eq_u32_e64 s7, v100, v113
	s_delay_alu instid0(VALU_DEP_2) | instskip(NEXT) | instid1(VALU_DEP_1)
	v_add_nc_u32_e32 v102, -1, v112
	v_cndmask_b32_e64 v100, 0, v102, s7
	v_lshrrev_b32_e32 v102, 23, v103
	s_mov_b32 s7, exec_lo
	s_delay_alu instid0(VALU_DEP_2) | instskip(NEXT) | instid1(VALU_DEP_2)
	v_add_nc_u32_e32 v100, v100, v103
	v_xor_b32_e32 v102, 1, v102
	s_delay_alu instid0(VALU_DEP_2) | instskip(NEXT) | instid1(VALU_DEP_1)
	v_and_b32_e32 v98, 0xfffff, v100
	v_add_nc_u32_e32 v100, v98, v103
                                        ; implicit-def: $vgpr98
	s_delay_alu instid0(VALU_DEP_3)
	v_cmpx_ne_u32_e64 v101, v102
	s_xor_b32 s7, exec_lo, s7
; %bb.2940:                             ;   in Loop: Header=BB2_2916 Depth=2
	s_delay_alu instid0(VALU_DEP_2) | instskip(SKIP_2) | instid1(VALU_DEP_2)
	v_cmp_lt_u32_e32 vcc_lo, 0xffffff, v100
	v_sub_nc_u32_e32 v98, v101, v102
	v_cndmask_b32_e64 v101, 0, 1, vcc_lo
	v_add_co_ci_u32_e32 v98, vcc_lo, 0, v98, vcc_lo
	s_delay_alu instid0(VALU_DEP_2)
	v_lshrrev_b32_e32 v100, v101, v100
; %bb.2941:                             ;   in Loop: Header=BB2_2916 Depth=2
	s_and_not1_saveexec_b32 s7, s7
; %bb.2942:                             ;   in Loop: Header=BB2_2916 Depth=2
	s_delay_alu instid0(VALU_DEP_1)
	v_bfe_u32 v98, v100, 23, 1
; %bb.2943:                             ;   in Loop: Header=BB2_2916 Depth=2
	s_or_b32 exec_lo, exec_lo, s7
	v_lshrrev_b32_e32 v100, 20, v100
	s_delay_alu instid0(VALU_DEP_2) | instskip(SKIP_2) | instid1(VALU_DEP_2)
	v_cmp_gt_i32_e32 vcc_lo, 16, v98
	v_lshrrev_b32_e32 v99, 24, v99
	v_min_i32_e32 v101, 15, v98
	v_dual_cndmask_b32 v100, 7, v100 :: v_dual_and_b32 v99, 0x80, v99
	s_delay_alu instid0(VALU_DEP_1) | instskip(SKIP_1) | instid1(VALU_DEP_2)
	v_or_b32_e32 v98, v98, v100
	v_and_b32_e32 v102, 7, v100
	v_cmp_ne_u32_e32 vcc_lo, 0, v98
	v_lshlrev_b32_e32 v101, 3, v101
	s_delay_alu instid0(VALU_DEP_1) | instskip(NEXT) | instid1(VALU_DEP_1)
	v_or3_b32 v99, v101, v99, v102
	v_cndmask_b32_e32 v98, 0, v99, vcc_lo
.LBB2_2944:                             ;   in Loop: Header=BB2_2916 Depth=2
	s_or_b32 exec_lo, exec_lo, s26
.LBB2_2945:                             ;   in Loop: Header=BB2_2916 Depth=2
	s_delay_alu instid0(SALU_CYCLE_1)
	s_or_b32 exec_lo, exec_lo, s25
	s_waitcnt vmcnt(1)
	v_lshrrev_b16 v100, 8, v14
	s_waitcnt vmcnt(0)
	v_lshrrev_b16 v99, 8, v10
	s_and_b32 vcc_lo, exec_lo, s24
	s_cbranch_vccz .LBB2_2955
; %bb.2946:                             ;   in Loop: Header=BB2_2916 Depth=2
	s_mov_b32 s7, 0
	s_mov_b32 s26, exec_lo
                                        ; implicit-def: $sgpr25
	v_cmpx_lt_i16_e32 0x7f, v100
	s_xor_b32 s26, exec_lo, s26
	s_cbranch_execnz .LBB2_3394
; %bb.2947:                             ;   in Loop: Header=BB2_2916 Depth=2
	s_or_saveexec_b32 s26, s26
	v_mov_b32_e32 v101, s25
	s_xor_b32 exec_lo, exec_lo, s26
	s_cbranch_execnz .LBB2_3397
.LBB2_2948:                             ;   in Loop: Header=BB2_2916 Depth=2
	s_or_b32 exec_lo, exec_lo, s26
	s_and_saveexec_b32 s25, s7
	s_cbranch_execz .LBB2_2950
.LBB2_2949:                             ;   in Loop: Header=BB2_2916 Depth=2
	v_and_b32_e32 v101, 0xffff, v100
	s_delay_alu instid0(VALU_DEP_1) | instskip(NEXT) | instid1(VALU_DEP_1)
	v_and_b32_e32 v102, 7, v101
	v_clz_i32_u32_e32 v103, v102
	s_delay_alu instid0(VALU_DEP_1) | instskip(NEXT) | instid1(VALU_DEP_1)
	v_min_u32_e32 v103, 32, v103
	v_subrev_nc_u32_e32 v112, 28, v103
	v_sub_nc_u32_e32 v103, 29, v103
	s_delay_alu instid0(VALU_DEP_2) | instskip(SKIP_1) | instid1(VALU_DEP_2)
	v_lshlrev_b32_e32 v112, v112, v101
	v_bfe_u32 v101, v101, 3, 4
	v_and_b32_e32 v112, 7, v112
	s_delay_alu instid0(VALU_DEP_2) | instskip(SKIP_1) | instid1(VALU_DEP_3)
	v_cmp_eq_u32_e32 vcc_lo, 0, v101
	v_cndmask_b32_e32 v101, v101, v103, vcc_lo
	v_dual_cndmask_b32 v102, v102, v112 :: v_dual_lshlrev_b32 v113, 16, v14
	s_delay_alu instid0(VALU_DEP_2) | instskip(NEXT) | instid1(VALU_DEP_2)
	v_lshl_add_u32 v101, v101, 23, 0x3b800000
	v_and_b32_e32 v103, 0x80000000, v113
	s_delay_alu instid0(VALU_DEP_3) | instskip(NEXT) | instid1(VALU_DEP_1)
	v_lshlrev_b32_e32 v102, 20, v102
	v_or3_b32 v101, v103, v101, v102
.LBB2_2950:                             ;   in Loop: Header=BB2_2916 Depth=2
	s_or_b32 exec_lo, exec_lo, s25
	s_mov_b32 s7, 0
	s_mov_b32 s26, exec_lo
                                        ; implicit-def: $sgpr25
	v_cmpx_lt_i16_e32 0x7f, v99
	s_xor_b32 s26, exec_lo, s26
	s_cbranch_execnz .LBB2_3398
; %bb.2951:                             ;   in Loop: Header=BB2_2916 Depth=2
	s_or_saveexec_b32 s26, s26
	v_mov_b32_e32 v102, s25
	s_xor_b32 exec_lo, exec_lo, s26
	s_cbranch_execnz .LBB2_3401
.LBB2_2952:                             ;   in Loop: Header=BB2_2916 Depth=2
	s_or_b32 exec_lo, exec_lo, s26
	s_and_saveexec_b32 s25, s7
	s_cbranch_execz .LBB2_2954
.LBB2_2953:                             ;   in Loop: Header=BB2_2916 Depth=2
	v_and_b32_e32 v102, 0xffff, v99
	v_lshlrev_b32_e32 v114, 16, v10
	s_delay_alu instid0(VALU_DEP_2) | instskip(NEXT) | instid1(VALU_DEP_1)
	v_and_b32_e32 v103, 7, v102
	v_clz_i32_u32_e32 v112, v103
	s_delay_alu instid0(VALU_DEP_1) | instskip(NEXT) | instid1(VALU_DEP_1)
	v_min_u32_e32 v112, 32, v112
	v_subrev_nc_u32_e32 v113, 28, v112
	v_sub_nc_u32_e32 v112, 29, v112
	s_delay_alu instid0(VALU_DEP_2) | instskip(SKIP_1) | instid1(VALU_DEP_2)
	v_lshlrev_b32_e32 v113, v113, v102
	v_bfe_u32 v102, v102, 3, 4
	v_and_b32_e32 v113, 7, v113
	s_delay_alu instid0(VALU_DEP_2) | instskip(NEXT) | instid1(VALU_DEP_2)
	v_cmp_eq_u32_e32 vcc_lo, 0, v102
	v_dual_cndmask_b32 v102, v102, v112 :: v_dual_cndmask_b32 v103, v103, v113
	v_and_b32_e32 v112, 0x80000000, v114
	s_delay_alu instid0(VALU_DEP_2) | instskip(NEXT) | instid1(VALU_DEP_3)
	v_lshl_add_u32 v102, v102, 23, 0x3b800000
	v_lshlrev_b32_e32 v103, 20, v103
	s_delay_alu instid0(VALU_DEP_1)
	v_or3_b32 v102, v112, v102, v103
.LBB2_2954:                             ;   in Loop: Header=BB2_2916 Depth=2
	s_or_b32 exec_lo, exec_lo, s25
	s_delay_alu instid0(VALU_DEP_1) | instskip(SKIP_1) | instid1(VALU_DEP_1)
	v_dual_max_f32 v102, v102, v102 :: v_dual_max_f32 v101, v101, v101
	s_mov_b32 s7, 0
	v_max_f32_e32 v101, v101, v102
	s_branch .LBB2_2956
.LBB2_2955:                             ;   in Loop: Header=BB2_2916 Depth=2
	s_mov_b32 s7, -1
                                        ; implicit-def: $vgpr101
.LBB2_2956:                             ;   in Loop: Header=BB2_2916 Depth=2
	s_delay_alu instid0(SALU_CYCLE_1)
	s_and_b32 vcc_lo, exec_lo, s7
	s_cbranch_vccz .LBB2_2966
; %bb.2957:                             ;   in Loop: Header=BB2_2916 Depth=2
	s_mov_b32 s7, 0
	s_mov_b32 s26, exec_lo
                                        ; implicit-def: $sgpr25
	v_cmpx_lt_i16_e32 0x7f, v100
	s_xor_b32 s26, exec_lo, s26
	s_cbranch_execnz .LBB2_3402
; %bb.2958:                             ;   in Loop: Header=BB2_2916 Depth=2
	s_or_saveexec_b32 s26, s26
	v_mov_b32_e32 v101, s25
	s_xor_b32 exec_lo, exec_lo, s26
	s_cbranch_execnz .LBB2_3405
.LBB2_2959:                             ;   in Loop: Header=BB2_2916 Depth=2
	s_or_b32 exec_lo, exec_lo, s26
	s_and_saveexec_b32 s25, s7
	s_cbranch_execz .LBB2_2961
.LBB2_2960:                             ;   in Loop: Header=BB2_2916 Depth=2
	v_and_b32_e32 v100, 0xffff, v100
	v_lshlrev_b32_e32 v112, 16, v14
	s_delay_alu instid0(VALU_DEP_2) | instskip(NEXT) | instid1(VALU_DEP_1)
	v_and_b32_e32 v101, 7, v100
	v_clz_i32_u32_e32 v102, v101
	s_delay_alu instid0(VALU_DEP_1) | instskip(NEXT) | instid1(VALU_DEP_1)
	v_min_u32_e32 v102, 32, v102
	v_subrev_nc_u32_e32 v103, 28, v102
	v_sub_nc_u32_e32 v102, 29, v102
	s_delay_alu instid0(VALU_DEP_2) | instskip(SKIP_1) | instid1(VALU_DEP_2)
	v_lshlrev_b32_e32 v103, v103, v100
	v_bfe_u32 v100, v100, 3, 4
	v_and_b32_e32 v103, 7, v103
	s_delay_alu instid0(VALU_DEP_2) | instskip(NEXT) | instid1(VALU_DEP_2)
	v_cmp_eq_u32_e32 vcc_lo, 0, v100
	v_dual_cndmask_b32 v100, v100, v102 :: v_dual_cndmask_b32 v101, v101, v103
	v_and_b32_e32 v102, 0x80000000, v112
	s_delay_alu instid0(VALU_DEP_2) | instskip(NEXT) | instid1(VALU_DEP_3)
	v_lshl_add_u32 v100, v100, 23, 0x3b800000
	v_lshlrev_b32_e32 v101, 20, v101
	s_delay_alu instid0(VALU_DEP_1)
	v_or3_b32 v101, v102, v100, v101
.LBB2_2961:                             ;   in Loop: Header=BB2_2916 Depth=2
	s_or_b32 exec_lo, exec_lo, s25
	s_mov_b32 s7, 0
	s_mov_b32 s26, exec_lo
                                        ; implicit-def: $sgpr25
	v_cmpx_lt_i16_e32 0x7f, v99
	s_xor_b32 s26, exec_lo, s26
	s_cbranch_execnz .LBB2_3406
; %bb.2962:                             ;   in Loop: Header=BB2_2916 Depth=2
	s_or_saveexec_b32 s26, s26
	v_mov_b32_e32 v100, s25
	s_xor_b32 exec_lo, exec_lo, s26
	s_cbranch_execnz .LBB2_3409
.LBB2_2963:                             ;   in Loop: Header=BB2_2916 Depth=2
	s_or_b32 exec_lo, exec_lo, s26
	s_and_saveexec_b32 s25, s7
	s_cbranch_execz .LBB2_2965
.LBB2_2964:                             ;   in Loop: Header=BB2_2916 Depth=2
	v_and_b32_e32 v99, 0xffff, v99
	v_lshlrev_b32_e32 v112, 16, v10
	s_delay_alu instid0(VALU_DEP_2) | instskip(NEXT) | instid1(VALU_DEP_1)
	v_and_b32_e32 v100, 7, v99
	v_clz_i32_u32_e32 v102, v100
	s_delay_alu instid0(VALU_DEP_1) | instskip(NEXT) | instid1(VALU_DEP_1)
	v_min_u32_e32 v102, 32, v102
	v_subrev_nc_u32_e32 v103, 28, v102
	v_sub_nc_u32_e32 v102, 29, v102
	s_delay_alu instid0(VALU_DEP_2) | instskip(SKIP_1) | instid1(VALU_DEP_2)
	v_lshlrev_b32_e32 v103, v103, v99
	v_bfe_u32 v99, v99, 3, 4
	v_and_b32_e32 v103, 7, v103
	s_delay_alu instid0(VALU_DEP_2) | instskip(NEXT) | instid1(VALU_DEP_2)
	v_cmp_eq_u32_e32 vcc_lo, 0, v99
	v_dual_cndmask_b32 v99, v99, v102 :: v_dual_cndmask_b32 v100, v100, v103
	v_and_b32_e32 v102, 0x80000000, v112
	s_delay_alu instid0(VALU_DEP_2) | instskip(NEXT) | instid1(VALU_DEP_3)
	v_lshl_add_u32 v99, v99, 23, 0x3b800000
	v_lshlrev_b32_e32 v100, 20, v100
	s_delay_alu instid0(VALU_DEP_1)
	v_or3_b32 v100, v102, v99, v100
.LBB2_2965:                             ;   in Loop: Header=BB2_2916 Depth=2
	s_or_b32 exec_lo, exec_lo, s25
	s_delay_alu instid0(VALU_DEP_1) | instskip(NEXT) | instid1(VALU_DEP_1)
	v_dual_max_f32 v99, v100, v100 :: v_dual_max_f32 v100, v101, v101
	v_min_f32_e32 v101, v100, v99
.LBB2_2966:                             ;   in Loop: Header=BB2_2916 Depth=2
	s_delay_alu instid0(VALU_DEP_1) | instskip(NEXT) | instid1(VALU_DEP_1)
	v_and_b32_e32 v99, 0x7f800000, v101
	v_cmp_ne_u32_e32 vcc_lo, 0x7f800000, v99
	v_mov_b32_e32 v99, 0x80
	s_and_saveexec_b32 s25, vcc_lo
	s_cbranch_execz .LBB2_2974
; %bb.2967:                             ;   in Loop: Header=BB2_2916 Depth=2
	v_mov_b32_e32 v99, 0
	s_mov_b32 s26, exec_lo
	v_cmpx_ne_u32_e32 0, v101
	s_cbranch_execz .LBB2_2973
; %bb.2968:                             ;   in Loop: Header=BB2_2916 Depth=2
	v_bfe_u32 v99, v101, 23, 8
	v_and_b32_e32 v100, 0x7fffff, v101
	s_delay_alu instid0(VALU_DEP_2) | instskip(SKIP_1) | instid1(VALU_DEP_3)
	v_sub_nc_u32_e32 v102, 0x78, v99
	v_cmp_gt_u32_e32 vcc_lo, 0x79, v99
	v_or_b32_e32 v103, 0x800000, v100
	s_delay_alu instid0(VALU_DEP_3) | instskip(SKIP_2) | instid1(VALU_DEP_3)
	v_cndmask_b32_e32 v102, 0, v102, vcc_lo
	v_cmp_eq_u32_e32 vcc_lo, 0, v99
	v_add_nc_u32_e32 v99, 0xffffff89, v99
	v_cndmask_b32_e64 v102, v102, 0x77, vcc_lo
	v_cndmask_b32_e32 v100, v103, v100, vcc_lo
	s_delay_alu instid0(VALU_DEP_3) | instskip(NEXT) | instid1(VALU_DEP_3)
	v_cndmask_b32_e64 v99, v99, 0xffffff8a, vcc_lo
	v_lshl_add_u32 v103, 0x100000, v102, -1
	s_delay_alu instid0(VALU_DEP_3) | instskip(SKIP_1) | instid1(VALU_DEP_4)
	v_lshrrev_b32_e32 v112, v102, v100
	v_lshlrev_b32_e64 v114, v102, 0x80000
	v_add_nc_u32_e32 v102, v102, v99
	s_delay_alu instid0(VALU_DEP_4) | instskip(NEXT) | instid1(VALU_DEP_4)
	v_and_b32_e32 v100, v103, v100
	v_bfe_u32 v113, v112, 20, 1
	s_delay_alu instid0(VALU_DEP_2) | instskip(NEXT) | instid1(VALU_DEP_2)
	v_cmp_eq_u32_e64 s7, v100, v114
	v_add_nc_u32_e32 v103, -1, v113
	s_delay_alu instid0(VALU_DEP_1) | instskip(SKIP_2) | instid1(VALU_DEP_2)
	v_cndmask_b32_e64 v100, 0, v103, s7
	v_lshrrev_b32_e32 v103, 23, v112
	s_mov_b32 s7, exec_lo
	v_add_nc_u32_e32 v100, v100, v112
	s_delay_alu instid0(VALU_DEP_2) | instskip(NEXT) | instid1(VALU_DEP_2)
	v_xor_b32_e32 v103, 1, v103
	v_and_b32_e32 v99, 0xfffff, v100
	s_delay_alu instid0(VALU_DEP_1) | instskip(NEXT) | instid1(VALU_DEP_3)
	v_add_nc_u32_e32 v100, v99, v112
                                        ; implicit-def: $vgpr99
	v_cmpx_ne_u32_e64 v102, v103
	s_xor_b32 s7, exec_lo, s7
; %bb.2969:                             ;   in Loop: Header=BB2_2916 Depth=2
	s_delay_alu instid0(VALU_DEP_2) | instskip(SKIP_2) | instid1(VALU_DEP_2)
	v_cmp_lt_u32_e32 vcc_lo, 0xffffff, v100
	v_sub_nc_u32_e32 v99, v102, v103
	v_cndmask_b32_e64 v102, 0, 1, vcc_lo
	v_add_co_ci_u32_e32 v99, vcc_lo, 0, v99, vcc_lo
	s_delay_alu instid0(VALU_DEP_2)
	v_lshrrev_b32_e32 v100, v102, v100
; %bb.2970:                             ;   in Loop: Header=BB2_2916 Depth=2
	s_and_not1_saveexec_b32 s7, s7
; %bb.2971:                             ;   in Loop: Header=BB2_2916 Depth=2
	s_delay_alu instid0(VALU_DEP_1)
	v_bfe_u32 v99, v100, 23, 1
; %bb.2972:                             ;   in Loop: Header=BB2_2916 Depth=2
	s_or_b32 exec_lo, exec_lo, s7
	v_lshrrev_b32_e32 v100, 20, v100
	s_delay_alu instid0(VALU_DEP_2) | instskip(SKIP_2) | instid1(VALU_DEP_2)
	v_cmp_gt_i32_e32 vcc_lo, 16, v99
	v_lshrrev_b32_e32 v101, 24, v101
	v_min_i32_e32 v102, 15, v99
	v_dual_cndmask_b32 v100, 7, v100 :: v_dual_and_b32 v101, 0x80, v101
	s_delay_alu instid0(VALU_DEP_1) | instskip(SKIP_1) | instid1(VALU_DEP_2)
	v_or_b32_e32 v99, v99, v100
	v_and_b32_e32 v103, 7, v100
	v_cmp_ne_u32_e32 vcc_lo, 0, v99
	v_lshlrev_b32_e32 v102, 3, v102
	s_delay_alu instid0(VALU_DEP_1) | instskip(NEXT) | instid1(VALU_DEP_1)
	v_or3_b32 v100, v102, v101, v103
	v_cndmask_b32_e32 v99, 0, v100, vcc_lo
.LBB2_2973:                             ;   in Loop: Header=BB2_2916 Depth=2
	s_or_b32 exec_lo, exec_lo, s26
.LBB2_2974:                             ;   in Loop: Header=BB2_2916 Depth=2
	s_delay_alu instid0(SALU_CYCLE_1)
	s_or_b32 exec_lo, exec_lo, s25
	v_lshrrev_b32_e32 v101, 16, v14
	v_lshrrev_b32_e32 v100, 16, v10
	s_and_b32 vcc_lo, exec_lo, s24
	s_cbranch_vccz .LBB2_2984
; %bb.2975:                             ;   in Loop: Header=BB2_2916 Depth=2
	s_delay_alu instid0(VALU_DEP_2) | instskip(SKIP_2) | instid1(VALU_DEP_1)
	v_and_b32_e32 v103, 0xff, v101
	s_mov_b32 s7, 0
	s_mov_b32 s26, exec_lo
                                        ; implicit-def: $sgpr25
	v_cmpx_lt_i16_e32 0x7f, v103
	s_xor_b32 s26, exec_lo, s26
	s_cbranch_execnz .LBB2_3410
; %bb.2976:                             ;   in Loop: Header=BB2_2916 Depth=2
	s_or_saveexec_b32 s26, s26
	v_mov_b32_e32 v102, s25
	s_xor_b32 exec_lo, exec_lo, s26
	s_cbranch_execnz .LBB2_3413
.LBB2_2977:                             ;   in Loop: Header=BB2_2916 Depth=2
	s_or_b32 exec_lo, exec_lo, s26
	s_and_saveexec_b32 s25, s7
	s_cbranch_execz .LBB2_2979
.LBB2_2978:                             ;   in Loop: Header=BB2_2916 Depth=2
	v_bfe_u32 v102, v14, 16, 3
	v_bfe_u32 v113, v14, 19, 4
	v_lshlrev_b32_e32 v114, 24, v101
	s_delay_alu instid0(VALU_DEP_3) | instskip(NEXT) | instid1(VALU_DEP_3)
	v_clz_i32_u32_e32 v103, v102
	v_cmp_eq_u32_e32 vcc_lo, 0, v113
	s_delay_alu instid0(VALU_DEP_2) | instskip(NEXT) | instid1(VALU_DEP_1)
	v_min_u32_e32 v103, 32, v103
	v_subrev_nc_u32_e32 v112, 28, v103
	v_sub_nc_u32_e32 v103, 29, v103
	s_delay_alu instid0(VALU_DEP_1) | instskip(NEXT) | instid1(VALU_DEP_1)
	v_dual_cndmask_b32 v103, v113, v103 :: v_dual_lshlrev_b32 v112, v112, v101
	v_and_b32_e32 v112, 7, v112
	s_delay_alu instid0(VALU_DEP_2) | instskip(NEXT) | instid1(VALU_DEP_2)
	v_lshl_add_u32 v103, v103, 23, 0x3b800000
	v_cndmask_b32_e32 v102, v102, v112, vcc_lo
	v_and_b32_e32 v112, 0x80000000, v114
	s_delay_alu instid0(VALU_DEP_2) | instskip(NEXT) | instid1(VALU_DEP_1)
	v_lshlrev_b32_e32 v102, 20, v102
	v_or3_b32 v102, v112, v103, v102
.LBB2_2979:                             ;   in Loop: Header=BB2_2916 Depth=2
	s_or_b32 exec_lo, exec_lo, s25
	v_and_b32_e32 v112, 0xff, v100
	s_mov_b32 s7, 0
	s_mov_b32 s26, exec_lo
                                        ; implicit-def: $sgpr25
	s_delay_alu instid0(VALU_DEP_1)
	v_cmpx_lt_i16_e32 0x7f, v112
	s_xor_b32 s26, exec_lo, s26
	s_cbranch_execnz .LBB2_3414
; %bb.2980:                             ;   in Loop: Header=BB2_2916 Depth=2
	s_or_saveexec_b32 s26, s26
	v_mov_b32_e32 v103, s25
	s_xor_b32 exec_lo, exec_lo, s26
	s_cbranch_execnz .LBB2_3417
.LBB2_2981:                             ;   in Loop: Header=BB2_2916 Depth=2
	s_or_b32 exec_lo, exec_lo, s26
	s_and_saveexec_b32 s25, s7
	s_cbranch_execz .LBB2_2983
.LBB2_2982:                             ;   in Loop: Header=BB2_2916 Depth=2
	v_bfe_u32 v103, v10, 16, 3
	v_bfe_u32 v114, v10, 19, 4
	v_lshlrev_b32_e32 v115, 24, v100
	s_delay_alu instid0(VALU_DEP_3) | instskip(NEXT) | instid1(VALU_DEP_3)
	v_clz_i32_u32_e32 v112, v103
	v_cmp_eq_u32_e32 vcc_lo, 0, v114
	s_delay_alu instid0(VALU_DEP_2) | instskip(NEXT) | instid1(VALU_DEP_1)
	v_min_u32_e32 v112, 32, v112
	v_subrev_nc_u32_e32 v113, 28, v112
	v_sub_nc_u32_e32 v112, 29, v112
	s_delay_alu instid0(VALU_DEP_2) | instskip(NEXT) | instid1(VALU_DEP_1)
	v_lshlrev_b32_e32 v113, v113, v100
	v_dual_cndmask_b32 v112, v114, v112 :: v_dual_and_b32 v113, 7, v113
	s_delay_alu instid0(VALU_DEP_1) | instskip(NEXT) | instid1(VALU_DEP_2)
	v_lshl_add_u32 v112, v112, 23, 0x3b800000
	v_cndmask_b32_e32 v103, v103, v113, vcc_lo
	v_and_b32_e32 v113, 0x80000000, v115
	s_delay_alu instid0(VALU_DEP_2) | instskip(NEXT) | instid1(VALU_DEP_1)
	v_lshlrev_b32_e32 v103, 20, v103
	v_or3_b32 v103, v113, v112, v103
.LBB2_2983:                             ;   in Loop: Header=BB2_2916 Depth=2
	s_or_b32 exec_lo, exec_lo, s25
	s_delay_alu instid0(VALU_DEP_1) | instskip(SKIP_1) | instid1(VALU_DEP_1)
	v_dual_max_f32 v103, v103, v103 :: v_dual_max_f32 v102, v102, v102
	s_mov_b32 s7, 0
	v_max_f32_e32 v102, v102, v103
	s_branch .LBB2_2985
.LBB2_2984:                             ;   in Loop: Header=BB2_2916 Depth=2
	s_mov_b32 s7, -1
                                        ; implicit-def: $vgpr102
.LBB2_2985:                             ;   in Loop: Header=BB2_2916 Depth=2
	s_delay_alu instid0(SALU_CYCLE_1)
	s_and_b32 vcc_lo, exec_lo, s7
	s_cbranch_vccz .LBB2_2995
; %bb.2986:                             ;   in Loop: Header=BB2_2916 Depth=2
	v_and_b32_e32 v103, 0xff, v101
	s_mov_b32 s7, 0
	s_mov_b32 s26, exec_lo
                                        ; implicit-def: $sgpr25
	s_delay_alu instid0(VALU_DEP_1)
	v_cmpx_lt_i16_e32 0x7f, v103
	s_xor_b32 s26, exec_lo, s26
	s_cbranch_execnz .LBB2_3418
; %bb.2987:                             ;   in Loop: Header=BB2_2916 Depth=2
	s_or_saveexec_b32 s26, s26
	v_mov_b32_e32 v102, s25
	s_xor_b32 exec_lo, exec_lo, s26
	s_cbranch_execnz .LBB2_3421
.LBB2_2988:                             ;   in Loop: Header=BB2_2916 Depth=2
	s_or_b32 exec_lo, exec_lo, s26
	s_and_saveexec_b32 s25, s7
	s_cbranch_execz .LBB2_2990
.LBB2_2989:                             ;   in Loop: Header=BB2_2916 Depth=2
	v_bfe_u32 v102, v14, 16, 3
	v_bfe_u32 v113, v14, 19, 4
	s_delay_alu instid0(VALU_DEP_2) | instskip(NEXT) | instid1(VALU_DEP_2)
	v_clz_i32_u32_e32 v103, v102
	v_cmp_eq_u32_e32 vcc_lo, 0, v113
	s_delay_alu instid0(VALU_DEP_2) | instskip(NEXT) | instid1(VALU_DEP_1)
	v_min_u32_e32 v103, 32, v103
	v_subrev_nc_u32_e32 v112, 28, v103
	v_sub_nc_u32_e32 v103, 29, v103
	s_delay_alu instid0(VALU_DEP_1) | instskip(NEXT) | instid1(VALU_DEP_1)
	v_dual_cndmask_b32 v103, v113, v103 :: v_dual_lshlrev_b32 v112, v112, v101
	v_and_b32_e32 v112, 7, v112
	v_lshlrev_b32_e32 v101, 24, v101
	s_delay_alu instid0(VALU_DEP_3) | instskip(NEXT) | instid1(VALU_DEP_2)
	v_lshl_add_u32 v103, v103, 23, 0x3b800000
	v_dual_cndmask_b32 v102, v102, v112 :: v_dual_and_b32 v101, 0x80000000, v101
	s_delay_alu instid0(VALU_DEP_1) | instskip(NEXT) | instid1(VALU_DEP_1)
	v_lshlrev_b32_e32 v102, 20, v102
	v_or3_b32 v102, v101, v103, v102
.LBB2_2990:                             ;   in Loop: Header=BB2_2916 Depth=2
	s_or_b32 exec_lo, exec_lo, s25
	v_and_b32_e32 v103, 0xff, v100
	s_mov_b32 s7, 0
	s_mov_b32 s26, exec_lo
                                        ; implicit-def: $sgpr25
	s_delay_alu instid0(VALU_DEP_1)
	v_cmpx_lt_i16_e32 0x7f, v103
	s_xor_b32 s26, exec_lo, s26
	s_cbranch_execnz .LBB2_3422
; %bb.2991:                             ;   in Loop: Header=BB2_2916 Depth=2
	s_or_saveexec_b32 s26, s26
	v_mov_b32_e32 v101, s25
	s_xor_b32 exec_lo, exec_lo, s26
	s_cbranch_execnz .LBB2_3425
.LBB2_2992:                             ;   in Loop: Header=BB2_2916 Depth=2
	s_or_b32 exec_lo, exec_lo, s26
	s_and_saveexec_b32 s25, s7
	s_cbranch_execz .LBB2_2994
.LBB2_2993:                             ;   in Loop: Header=BB2_2916 Depth=2
	v_bfe_u32 v101, v10, 16, 3
	v_bfe_u32 v113, v10, 19, 4
	s_delay_alu instid0(VALU_DEP_2) | instskip(NEXT) | instid1(VALU_DEP_2)
	v_clz_i32_u32_e32 v103, v101
	v_cmp_eq_u32_e32 vcc_lo, 0, v113
	s_delay_alu instid0(VALU_DEP_2) | instskip(NEXT) | instid1(VALU_DEP_1)
	v_min_u32_e32 v103, 32, v103
	v_subrev_nc_u32_e32 v112, 28, v103
	v_sub_nc_u32_e32 v103, 29, v103
	s_delay_alu instid0(VALU_DEP_1) | instskip(SKIP_1) | instid1(VALU_DEP_2)
	v_dual_cndmask_b32 v103, v113, v103 :: v_dual_lshlrev_b32 v112, v112, v100
	v_lshlrev_b32_e32 v100, 24, v100
	v_and_b32_e32 v112, 7, v112
	s_delay_alu instid0(VALU_DEP_3) | instskip(NEXT) | instid1(VALU_DEP_3)
	v_lshl_add_u32 v103, v103, 23, 0x3b800000
	v_and_b32_e32 v100, 0x80000000, v100
	s_delay_alu instid0(VALU_DEP_3) | instskip(NEXT) | instid1(VALU_DEP_1)
	v_cndmask_b32_e32 v101, v101, v112, vcc_lo
	v_lshlrev_b32_e32 v101, 20, v101
	s_delay_alu instid0(VALU_DEP_1)
	v_or3_b32 v101, v100, v103, v101
.LBB2_2994:                             ;   in Loop: Header=BB2_2916 Depth=2
	s_or_b32 exec_lo, exec_lo, s25
	s_delay_alu instid0(VALU_DEP_1) | instskip(NEXT) | instid1(VALU_DEP_1)
	v_dual_max_f32 v100, v101, v101 :: v_dual_max_f32 v101, v102, v102
	v_min_f32_e32 v102, v101, v100
.LBB2_2995:                             ;   in Loop: Header=BB2_2916 Depth=2
	s_delay_alu instid0(VALU_DEP_1) | instskip(NEXT) | instid1(VALU_DEP_1)
	v_and_b32_e32 v100, 0x7f800000, v102
	v_cmp_ne_u32_e32 vcc_lo, 0x7f800000, v100
	v_mov_b32_e32 v100, 0x80
	s_and_saveexec_b32 s25, vcc_lo
	s_cbranch_execz .LBB2_3003
; %bb.2996:                             ;   in Loop: Header=BB2_2916 Depth=2
	v_mov_b32_e32 v100, 0
	s_mov_b32 s26, exec_lo
	v_cmpx_ne_u32_e32 0, v102
	s_cbranch_execz .LBB2_3002
; %bb.2997:                             ;   in Loop: Header=BB2_2916 Depth=2
	v_bfe_u32 v100, v102, 23, 8
	v_and_b32_e32 v101, 0x7fffff, v102
	s_delay_alu instid0(VALU_DEP_2) | instskip(SKIP_1) | instid1(VALU_DEP_3)
	v_sub_nc_u32_e32 v103, 0x78, v100
	v_cmp_gt_u32_e32 vcc_lo, 0x79, v100
	v_or_b32_e32 v112, 0x800000, v101
	s_delay_alu instid0(VALU_DEP_3) | instskip(SKIP_2) | instid1(VALU_DEP_3)
	v_cndmask_b32_e32 v103, 0, v103, vcc_lo
	v_cmp_eq_u32_e32 vcc_lo, 0, v100
	v_add_nc_u32_e32 v100, 0xffffff89, v100
	v_cndmask_b32_e64 v103, v103, 0x77, vcc_lo
	v_cndmask_b32_e32 v101, v112, v101, vcc_lo
	s_delay_alu instid0(VALU_DEP_3) | instskip(NEXT) | instid1(VALU_DEP_3)
	v_cndmask_b32_e64 v100, v100, 0xffffff8a, vcc_lo
	v_lshl_add_u32 v112, 0x100000, v103, -1
	s_delay_alu instid0(VALU_DEP_3) | instskip(SKIP_1) | instid1(VALU_DEP_4)
	v_lshrrev_b32_e32 v113, v103, v101
	v_lshlrev_b32_e64 v115, v103, 0x80000
	v_add_nc_u32_e32 v103, v103, v100
	s_delay_alu instid0(VALU_DEP_4) | instskip(NEXT) | instid1(VALU_DEP_4)
	v_and_b32_e32 v101, v112, v101
	v_bfe_u32 v114, v113, 20, 1
	s_delay_alu instid0(VALU_DEP_2) | instskip(NEXT) | instid1(VALU_DEP_2)
	v_cmp_eq_u32_e64 s7, v101, v115
	v_add_nc_u32_e32 v112, -1, v114
	s_delay_alu instid0(VALU_DEP_1) | instskip(SKIP_2) | instid1(VALU_DEP_2)
	v_cndmask_b32_e64 v101, 0, v112, s7
	v_lshrrev_b32_e32 v112, 23, v113
	s_mov_b32 s7, exec_lo
	v_add_nc_u32_e32 v101, v101, v113
	s_delay_alu instid0(VALU_DEP_2) | instskip(NEXT) | instid1(VALU_DEP_2)
	v_xor_b32_e32 v112, 1, v112
	v_and_b32_e32 v100, 0xfffff, v101
	s_delay_alu instid0(VALU_DEP_1) | instskip(NEXT) | instid1(VALU_DEP_3)
	v_add_nc_u32_e32 v101, v100, v113
                                        ; implicit-def: $vgpr100
	v_cmpx_ne_u32_e64 v103, v112
	s_xor_b32 s7, exec_lo, s7
; %bb.2998:                             ;   in Loop: Header=BB2_2916 Depth=2
	s_delay_alu instid0(VALU_DEP_2) | instskip(SKIP_2) | instid1(VALU_DEP_2)
	v_cmp_lt_u32_e32 vcc_lo, 0xffffff, v101
	v_sub_nc_u32_e32 v100, v103, v112
	v_cndmask_b32_e64 v103, 0, 1, vcc_lo
	v_add_co_ci_u32_e32 v100, vcc_lo, 0, v100, vcc_lo
	s_delay_alu instid0(VALU_DEP_2)
	v_lshrrev_b32_e32 v101, v103, v101
; %bb.2999:                             ;   in Loop: Header=BB2_2916 Depth=2
	s_and_not1_saveexec_b32 s7, s7
; %bb.3000:                             ;   in Loop: Header=BB2_2916 Depth=2
	s_delay_alu instid0(VALU_DEP_1)
	v_bfe_u32 v100, v101, 23, 1
; %bb.3001:                             ;   in Loop: Header=BB2_2916 Depth=2
	s_or_b32 exec_lo, exec_lo, s7
	v_lshrrev_b32_e32 v101, 20, v101
	s_delay_alu instid0(VALU_DEP_2) | instskip(SKIP_2) | instid1(VALU_DEP_2)
	v_cmp_gt_i32_e32 vcc_lo, 16, v100
	v_lshrrev_b32_e32 v102, 24, v102
	v_min_i32_e32 v103, 15, v100
	v_dual_cndmask_b32 v101, 7, v101 :: v_dual_and_b32 v102, 0x80, v102
	s_delay_alu instid0(VALU_DEP_1) | instskip(SKIP_1) | instid1(VALU_DEP_2)
	v_or_b32_e32 v100, v100, v101
	v_and_b32_e32 v112, 7, v101
	v_cmp_ne_u32_e32 vcc_lo, 0, v100
	v_lshlrev_b32_e32 v103, 3, v103
	s_delay_alu instid0(VALU_DEP_1) | instskip(NEXT) | instid1(VALU_DEP_1)
	v_or3_b32 v101, v103, v102, v112
	v_cndmask_b32_e32 v100, 0, v101, vcc_lo
.LBB2_3002:                             ;   in Loop: Header=BB2_2916 Depth=2
	s_or_b32 exec_lo, exec_lo, s26
.LBB2_3003:                             ;   in Loop: Header=BB2_2916 Depth=2
	s_delay_alu instid0(SALU_CYCLE_1)
	s_or_b32 exec_lo, exec_lo, s25
	v_lshrrev_b32_e32 v102, 24, v14
	v_lshrrev_b32_e32 v101, 24, v10
	s_and_b32 vcc_lo, exec_lo, s24
	s_cbranch_vccz .LBB2_3013
; %bb.3004:                             ;   in Loop: Header=BB2_2916 Depth=2
	s_mov_b32 s7, 0
	s_mov_b32 s26, exec_lo
                                        ; implicit-def: $sgpr25
	v_cmpx_lt_i16_e32 0x7f, v102
	s_xor_b32 s26, exec_lo, s26
	s_cbranch_execnz .LBB2_3426
; %bb.3005:                             ;   in Loop: Header=BB2_2916 Depth=2
	s_or_saveexec_b32 s26, s26
	v_mov_b32_e32 v103, s25
	s_xor_b32 exec_lo, exec_lo, s26
	s_cbranch_execnz .LBB2_3429
.LBB2_3006:                             ;   in Loop: Header=BB2_2916 Depth=2
	s_or_b32 exec_lo, exec_lo, s26
	s_and_saveexec_b32 s25, s7
	s_cbranch_execz .LBB2_3008
.LBB2_3007:                             ;   in Loop: Header=BB2_2916 Depth=2
	v_bfe_u32 v103, v14, 24, 3
	v_bfe_u32 v114, v14, 27, 4
	s_delay_alu instid0(VALU_DEP_2) | instskip(NEXT) | instid1(VALU_DEP_2)
	v_clz_i32_u32_e32 v112, v103
	v_cmp_eq_u32_e32 vcc_lo, 0, v114
	s_delay_alu instid0(VALU_DEP_2) | instskip(NEXT) | instid1(VALU_DEP_1)
	v_min_u32_e32 v112, 32, v112
	v_subrev_nc_u32_e32 v113, 28, v112
	v_sub_nc_u32_e32 v112, 29, v112
	s_delay_alu instid0(VALU_DEP_1) | instskip(NEXT) | instid1(VALU_DEP_1)
	v_dual_cndmask_b32 v112, v114, v112 :: v_dual_lshlrev_b32 v113, v113, v102
	v_and_b32_e32 v113, 7, v113
	s_delay_alu instid0(VALU_DEP_2) | instskip(NEXT) | instid1(VALU_DEP_2)
	v_lshl_add_u32 v112, v112, 23, 0x3b800000
	v_cndmask_b32_e32 v103, v103, v113, vcc_lo
	v_and_b32_e32 v113, 0x80000000, v14
	s_delay_alu instid0(VALU_DEP_2) | instskip(NEXT) | instid1(VALU_DEP_1)
	v_lshlrev_b32_e32 v103, 20, v103
	v_or3_b32 v103, v113, v112, v103
.LBB2_3008:                             ;   in Loop: Header=BB2_2916 Depth=2
	s_or_b32 exec_lo, exec_lo, s25
	s_mov_b32 s7, 0
	s_mov_b32 s26, exec_lo
                                        ; implicit-def: $sgpr25
	v_cmpx_lt_i16_e32 0x7f, v101
	s_xor_b32 s26, exec_lo, s26
	s_cbranch_execnz .LBB2_3430
; %bb.3009:                             ;   in Loop: Header=BB2_2916 Depth=2
	s_or_saveexec_b32 s26, s26
	v_mov_b32_e32 v112, s25
	s_xor_b32 exec_lo, exec_lo, s26
	s_cbranch_execnz .LBB2_3433
.LBB2_3010:                             ;   in Loop: Header=BB2_2916 Depth=2
	s_or_b32 exec_lo, exec_lo, s26
	s_and_saveexec_b32 s25, s7
	s_cbranch_execz .LBB2_3012
.LBB2_3011:                             ;   in Loop: Header=BB2_2916 Depth=2
	v_bfe_u32 v112, v10, 24, 3
	v_bfe_u32 v115, v10, 27, 4
	s_delay_alu instid0(VALU_DEP_2) | instskip(NEXT) | instid1(VALU_DEP_2)
	v_clz_i32_u32_e32 v113, v112
	v_cmp_eq_u32_e32 vcc_lo, 0, v115
	s_delay_alu instid0(VALU_DEP_2) | instskip(NEXT) | instid1(VALU_DEP_1)
	v_min_u32_e32 v113, 32, v113
	v_subrev_nc_u32_e32 v114, 28, v113
	v_sub_nc_u32_e32 v113, 29, v113
	s_delay_alu instid0(VALU_DEP_2) | instskip(NEXT) | instid1(VALU_DEP_1)
	v_lshlrev_b32_e32 v114, v114, v101
	v_dual_cndmask_b32 v113, v115, v113 :: v_dual_and_b32 v114, 7, v114
	s_delay_alu instid0(VALU_DEP_1) | instskip(NEXT) | instid1(VALU_DEP_2)
	v_lshl_add_u32 v113, v113, 23, 0x3b800000
	v_cndmask_b32_e32 v112, v112, v114, vcc_lo
	v_and_b32_e32 v114, 0x80000000, v10
	s_delay_alu instid0(VALU_DEP_2) | instskip(NEXT) | instid1(VALU_DEP_1)
	v_lshlrev_b32_e32 v112, 20, v112
	v_or3_b32 v112, v114, v113, v112
.LBB2_3012:                             ;   in Loop: Header=BB2_2916 Depth=2
	s_or_b32 exec_lo, exec_lo, s25
	s_delay_alu instid0(VALU_DEP_1) | instskip(SKIP_1) | instid1(VALU_DEP_1)
	v_dual_max_f32 v112, v112, v112 :: v_dual_max_f32 v103, v103, v103
	s_mov_b32 s7, 0
	v_max_f32_e32 v103, v103, v112
	s_branch .LBB2_3014
.LBB2_3013:                             ;   in Loop: Header=BB2_2916 Depth=2
	s_mov_b32 s7, -1
                                        ; implicit-def: $vgpr103
.LBB2_3014:                             ;   in Loop: Header=BB2_2916 Depth=2
	s_delay_alu instid0(SALU_CYCLE_1)
	s_and_b32 vcc_lo, exec_lo, s7
	s_cbranch_vccz .LBB2_3024
; %bb.3015:                             ;   in Loop: Header=BB2_2916 Depth=2
	s_mov_b32 s7, 0
	s_mov_b32 s26, exec_lo
                                        ; implicit-def: $sgpr25
	v_cmpx_lt_i16_e32 0x7f, v102
	s_xor_b32 s26, exec_lo, s26
	s_cbranch_execnz .LBB2_3434
; %bb.3016:                             ;   in Loop: Header=BB2_2916 Depth=2
	s_or_saveexec_b32 s26, s26
	v_mov_b32_e32 v103, s25
	s_xor_b32 exec_lo, exec_lo, s26
	s_cbranch_execnz .LBB2_3437
.LBB2_3017:                             ;   in Loop: Header=BB2_2916 Depth=2
	s_or_b32 exec_lo, exec_lo, s26
	s_and_saveexec_b32 s25, s7
	s_cbranch_execz .LBB2_3019
.LBB2_3018:                             ;   in Loop: Header=BB2_2916 Depth=2
	v_bfe_u32 v103, v14, 24, 3
	s_delay_alu instid0(VALU_DEP_1) | instskip(NEXT) | instid1(VALU_DEP_1)
	v_clz_i32_u32_e32 v112, v103
	v_min_u32_e32 v112, 32, v112
	s_delay_alu instid0(VALU_DEP_1) | instskip(SKIP_1) | instid1(VALU_DEP_2)
	v_subrev_nc_u32_e32 v113, 28, v112
	v_sub_nc_u32_e32 v112, 29, v112
	v_lshlrev_b32_e32 v102, v113, v102
	v_bfe_u32 v113, v14, 27, 4
	v_and_b32_e32 v14, 0x80000000, v14
	s_delay_alu instid0(VALU_DEP_3) | instskip(NEXT) | instid1(VALU_DEP_3)
	v_and_b32_e32 v102, 7, v102
	v_cmp_eq_u32_e32 vcc_lo, 0, v113
	v_cndmask_b32_e32 v112, v113, v112, vcc_lo
	s_delay_alu instid0(VALU_DEP_3) | instskip(NEXT) | instid1(VALU_DEP_2)
	v_cndmask_b32_e32 v102, v103, v102, vcc_lo
	v_lshl_add_u32 v103, v112, 23, 0x3b800000
	s_delay_alu instid0(VALU_DEP_2) | instskip(NEXT) | instid1(VALU_DEP_1)
	v_lshlrev_b32_e32 v102, 20, v102
	v_or3_b32 v103, v14, v103, v102
.LBB2_3019:                             ;   in Loop: Header=BB2_2916 Depth=2
	s_or_b32 exec_lo, exec_lo, s25
	s_mov_b32 s7, 0
	s_mov_b32 s26, exec_lo
                                        ; implicit-def: $sgpr25
	v_cmpx_lt_i16_e32 0x7f, v101
	s_xor_b32 s26, exec_lo, s26
	s_cbranch_execnz .LBB2_3438
; %bb.3020:                             ;   in Loop: Header=BB2_2916 Depth=2
	s_or_saveexec_b32 s26, s26
	v_mov_b32_e32 v14, s25
	s_xor_b32 exec_lo, exec_lo, s26
	s_cbranch_execnz .LBB2_3441
.LBB2_3021:                             ;   in Loop: Header=BB2_2916 Depth=2
	s_or_b32 exec_lo, exec_lo, s26
	s_and_saveexec_b32 s25, s7
	s_cbranch_execz .LBB2_3023
.LBB2_3022:                             ;   in Loop: Header=BB2_2916 Depth=2
	v_bfe_u32 v14, v10, 24, 3
	s_delay_alu instid0(VALU_DEP_1) | instskip(NEXT) | instid1(VALU_DEP_1)
	v_clz_i32_u32_e32 v102, v14
	v_min_u32_e32 v102, 32, v102
	s_delay_alu instid0(VALU_DEP_1) | instskip(SKIP_1) | instid1(VALU_DEP_2)
	v_subrev_nc_u32_e32 v112, 28, v102
	v_sub_nc_u32_e32 v102, 29, v102
	v_lshlrev_b32_e32 v101, v112, v101
	v_bfe_u32 v112, v10, 27, 4
	v_and_b32_e32 v10, 0x80000000, v10
	s_delay_alu instid0(VALU_DEP_2) | instskip(NEXT) | instid1(VALU_DEP_4)
	v_cmp_eq_u32_e32 vcc_lo, 0, v112
	v_dual_cndmask_b32 v102, v112, v102 :: v_dual_and_b32 v101, 7, v101
	s_delay_alu instid0(VALU_DEP_1) | instskip(NEXT) | instid1(VALU_DEP_2)
	v_cndmask_b32_e32 v14, v14, v101, vcc_lo
	v_lshl_add_u32 v101, v102, 23, 0x3b800000
	s_delay_alu instid0(VALU_DEP_2) | instskip(NEXT) | instid1(VALU_DEP_1)
	v_lshlrev_b32_e32 v14, 20, v14
	v_or3_b32 v14, v10, v101, v14
.LBB2_3023:                             ;   in Loop: Header=BB2_2916 Depth=2
	s_or_b32 exec_lo, exec_lo, s25
	s_delay_alu instid0(VALU_DEP_1) | instskip(SKIP_1) | instid1(VALU_DEP_1)
	v_max_f32_e32 v10, v14, v14
	v_max_f32_e32 v14, v103, v103
	v_min_f32_e32 v103, v14, v10
.LBB2_3024:                             ;   in Loop: Header=BB2_2916 Depth=2
	s_delay_alu instid0(VALU_DEP_1) | instskip(NEXT) | instid1(VALU_DEP_1)
	v_and_b32_e32 v10, 0x7f800000, v103
	v_cmp_ne_u32_e32 vcc_lo, 0x7f800000, v10
	v_mov_b32_e32 v10, 0x80
	s_and_saveexec_b32 s25, vcc_lo
	s_cbranch_execz .LBB2_3032
; %bb.3025:                             ;   in Loop: Header=BB2_2916 Depth=2
	v_mov_b32_e32 v10, 0
	s_mov_b32 s26, exec_lo
	v_cmpx_ne_u32_e32 0, v103
	s_cbranch_execz .LBB2_3031
; %bb.3026:                             ;   in Loop: Header=BB2_2916 Depth=2
	v_bfe_u32 v10, v103, 23, 8
	s_delay_alu instid0(VALU_DEP_1) | instskip(SKIP_1) | instid1(VALU_DEP_2)
	v_sub_nc_u32_e32 v101, 0x78, v10
	v_cmp_gt_u32_e32 vcc_lo, 0x79, v10
	v_dual_cndmask_b32 v101, 0, v101 :: v_dual_and_b32 v14, 0x7fffff, v103
	s_delay_alu instid0(VALU_DEP_1) | instskip(SKIP_2) | instid1(VALU_DEP_4)
	v_or_b32_e32 v102, 0x800000, v14
	v_cmp_eq_u32_e32 vcc_lo, 0, v10
	v_add_nc_u32_e32 v10, 0xffffff89, v10
	v_cndmask_b32_e64 v101, v101, 0x77, vcc_lo
	s_delay_alu instid0(VALU_DEP_4) | instskip(NEXT) | instid1(VALU_DEP_3)
	v_cndmask_b32_e32 v14, v102, v14, vcc_lo
	v_cndmask_b32_e64 v10, v10, 0xffffff8a, vcc_lo
	s_delay_alu instid0(VALU_DEP_3) | instskip(NEXT) | instid1(VALU_DEP_3)
	v_lshl_add_u32 v102, 0x100000, v101, -1
	v_lshrrev_b32_e32 v112, v101, v14
	v_lshlrev_b32_e64 v114, v101, 0x80000
	s_delay_alu instid0(VALU_DEP_4) | instskip(NEXT) | instid1(VALU_DEP_4)
	v_add_nc_u32_e32 v101, v101, v10
	v_and_b32_e32 v14, v102, v14
	s_delay_alu instid0(VALU_DEP_4) | instskip(NEXT) | instid1(VALU_DEP_2)
	v_bfe_u32 v113, v112, 20, 1
	v_cmp_eq_u32_e64 s7, v14, v114
	s_delay_alu instid0(VALU_DEP_2) | instskip(NEXT) | instid1(VALU_DEP_1)
	v_add_nc_u32_e32 v102, -1, v113
	v_cndmask_b32_e64 v14, 0, v102, s7
	v_lshrrev_b32_e32 v102, 23, v112
	s_mov_b32 s7, exec_lo
	s_delay_alu instid0(VALU_DEP_2) | instskip(NEXT) | instid1(VALU_DEP_2)
	v_add_nc_u32_e32 v14, v14, v112
	v_xor_b32_e32 v102, 1, v102
	s_delay_alu instid0(VALU_DEP_2) | instskip(NEXT) | instid1(VALU_DEP_1)
	v_and_b32_e32 v10, 0xfffff, v14
	v_add_nc_u32_e32 v14, v10, v112
                                        ; implicit-def: $vgpr10
	s_delay_alu instid0(VALU_DEP_3)
	v_cmpx_ne_u32_e64 v101, v102
	s_xor_b32 s7, exec_lo, s7
; %bb.3027:                             ;   in Loop: Header=BB2_2916 Depth=2
	s_delay_alu instid0(VALU_DEP_2) | instskip(SKIP_2) | instid1(VALU_DEP_2)
	v_cmp_lt_u32_e32 vcc_lo, 0xffffff, v14
	v_sub_nc_u32_e32 v10, v101, v102
	v_cndmask_b32_e64 v101, 0, 1, vcc_lo
	v_add_co_ci_u32_e32 v10, vcc_lo, 0, v10, vcc_lo
	s_delay_alu instid0(VALU_DEP_2)
	v_lshrrev_b32_e32 v14, v101, v14
; %bb.3028:                             ;   in Loop: Header=BB2_2916 Depth=2
	s_and_not1_saveexec_b32 s7, s7
; %bb.3029:                             ;   in Loop: Header=BB2_2916 Depth=2
	s_delay_alu instid0(VALU_DEP_1)
	v_bfe_u32 v10, v14, 23, 1
; %bb.3030:                             ;   in Loop: Header=BB2_2916 Depth=2
	s_or_b32 exec_lo, exec_lo, s7
	v_lshrrev_b32_e32 v14, 20, v14
	s_delay_alu instid0(VALU_DEP_2) | instskip(SKIP_2) | instid1(VALU_DEP_2)
	v_cmp_gt_i32_e32 vcc_lo, 16, v10
	v_lshrrev_b32_e32 v101, 24, v103
	v_min_i32_e32 v102, 15, v10
	v_dual_cndmask_b32 v14, 7, v14 :: v_dual_and_b32 v101, 0x80, v101
	s_delay_alu instid0(VALU_DEP_2) | instskip(NEXT) | instid1(VALU_DEP_2)
	v_lshlrev_b32_e32 v102, 3, v102
	v_and_b32_e32 v103, 7, v14
	v_or_b32_e32 v10, v10, v14
	s_delay_alu instid0(VALU_DEP_2) | instskip(NEXT) | instid1(VALU_DEP_2)
	v_or3_b32 v14, v102, v101, v103
	v_cmp_ne_u32_e32 vcc_lo, 0, v10
	s_delay_alu instid0(VALU_DEP_2)
	v_cndmask_b32_e32 v10, 0, v14, vcc_lo
.LBB2_3031:                             ;   in Loop: Header=BB2_2916 Depth=2
	s_or_b32 exec_lo, exec_lo, s26
.LBB2_3032:                             ;   in Loop: Header=BB2_2916 Depth=2
	s_delay_alu instid0(SALU_CYCLE_1) | instskip(NEXT) | instid1(SALU_CYCLE_1)
	s_or_b32 exec_lo, exec_lo, s25
	s_and_b32 vcc_lo, exec_lo, s24
	s_cbranch_vccz .LBB2_3042
; %bb.3033:                             ;   in Loop: Header=BB2_2916 Depth=2
	v_and_b32_e32 v101, 0xff, v15
	s_mov_b32 s7, 0
	s_mov_b32 s26, exec_lo
                                        ; implicit-def: $sgpr25
	s_delay_alu instid0(VALU_DEP_1)
	v_cmpx_lt_i16_e32 0x7f, v101
	s_xor_b32 s26, exec_lo, s26
	s_cbranch_execnz .LBB2_3442
; %bb.3034:                             ;   in Loop: Header=BB2_2916 Depth=2
	s_or_saveexec_b32 s26, s26
	v_mov_b32_e32 v14, s25
	s_xor_b32 exec_lo, exec_lo, s26
	s_cbranch_execnz .LBB2_3445
.LBB2_3035:                             ;   in Loop: Header=BB2_2916 Depth=2
	s_or_b32 exec_lo, exec_lo, s26
	s_and_saveexec_b32 s25, s7
	s_cbranch_execz .LBB2_3037
.LBB2_3036:                             ;   in Loop: Header=BB2_2916 Depth=2
	v_bfe_u32 v103, v15, 3, 4
	v_lshlrev_b32_e32 v112, 24, v15
	s_delay_alu instid0(VALU_DEP_2) | instskip(SKIP_1) | instid1(VALU_DEP_1)
	v_cmp_eq_u32_e32 vcc_lo, 0, v103
	v_and_b32_e32 v14, 7, v15
	v_clz_i32_u32_e32 v101, v14
	s_delay_alu instid0(VALU_DEP_1) | instskip(NEXT) | instid1(VALU_DEP_1)
	v_min_u32_e32 v101, 32, v101
	v_subrev_nc_u32_e32 v102, 28, v101
	v_sub_nc_u32_e32 v101, 29, v101
	s_delay_alu instid0(VALU_DEP_1) | instskip(NEXT) | instid1(VALU_DEP_1)
	v_dual_cndmask_b32 v101, v103, v101 :: v_dual_lshlrev_b32 v102, v102, v15
	v_and_b32_e32 v102, 7, v102
	s_delay_alu instid0(VALU_DEP_2) | instskip(NEXT) | instid1(VALU_DEP_2)
	v_lshl_add_u32 v101, v101, 23, 0x3b800000
	v_cndmask_b32_e32 v14, v14, v102, vcc_lo
	v_and_b32_e32 v102, 0x80000000, v112
	s_delay_alu instid0(VALU_DEP_2) | instskip(NEXT) | instid1(VALU_DEP_1)
	v_lshlrev_b32_e32 v14, 20, v14
	v_or3_b32 v14, v102, v101, v14
.LBB2_3037:                             ;   in Loop: Header=BB2_2916 Depth=2
	s_or_b32 exec_lo, exec_lo, s25
	v_and_b32_e32 v102, 0xff, v11
	s_mov_b32 s7, 0
	s_mov_b32 s26, exec_lo
                                        ; implicit-def: $sgpr25
	s_delay_alu instid0(VALU_DEP_1)
	v_cmpx_lt_i16_e32 0x7f, v102
	s_xor_b32 s26, exec_lo, s26
	s_cbranch_execnz .LBB2_3446
; %bb.3038:                             ;   in Loop: Header=BB2_2916 Depth=2
	s_or_saveexec_b32 s26, s26
	v_mov_b32_e32 v101, s25
	s_xor_b32 exec_lo, exec_lo, s26
	s_cbranch_execnz .LBB2_3449
.LBB2_3039:                             ;   in Loop: Header=BB2_2916 Depth=2
	s_or_b32 exec_lo, exec_lo, s26
	s_and_saveexec_b32 s25, s7
	s_cbranch_execz .LBB2_3041
.LBB2_3040:                             ;   in Loop: Header=BB2_2916 Depth=2
	v_bfe_u32 v112, v11, 3, 4
	v_lshlrev_b32_e32 v113, 24, v11
	s_delay_alu instid0(VALU_DEP_2) | instskip(SKIP_1) | instid1(VALU_DEP_1)
	v_cmp_eq_u32_e32 vcc_lo, 0, v112
	v_and_b32_e32 v101, 7, v11
	v_clz_i32_u32_e32 v102, v101
	s_delay_alu instid0(VALU_DEP_1) | instskip(NEXT) | instid1(VALU_DEP_1)
	v_min_u32_e32 v102, 32, v102
	v_subrev_nc_u32_e32 v103, 28, v102
	v_sub_nc_u32_e32 v102, 29, v102
	s_delay_alu instid0(VALU_DEP_1) | instskip(NEXT) | instid1(VALU_DEP_1)
	v_dual_cndmask_b32 v102, v112, v102 :: v_dual_lshlrev_b32 v103, v103, v11
	v_and_b32_e32 v103, 7, v103
	s_delay_alu instid0(VALU_DEP_2) | instskip(NEXT) | instid1(VALU_DEP_2)
	v_lshl_add_u32 v102, v102, 23, 0x3b800000
	v_cndmask_b32_e32 v101, v101, v103, vcc_lo
	v_and_b32_e32 v103, 0x80000000, v113
	s_delay_alu instid0(VALU_DEP_2) | instskip(NEXT) | instid1(VALU_DEP_1)
	v_lshlrev_b32_e32 v101, 20, v101
	v_or3_b32 v101, v103, v102, v101
.LBB2_3041:                             ;   in Loop: Header=BB2_2916 Depth=2
	s_or_b32 exec_lo, exec_lo, s25
	s_delay_alu instid0(VALU_DEP_1) | instskip(SKIP_1) | instid1(VALU_DEP_1)
	v_dual_max_f32 v101, v101, v101 :: v_dual_max_f32 v14, v14, v14
	s_mov_b32 s7, 0
	v_max_f32_e32 v101, v14, v101
	s_branch .LBB2_3043
.LBB2_3042:                             ;   in Loop: Header=BB2_2916 Depth=2
	s_mov_b32 s7, -1
                                        ; implicit-def: $vgpr101
.LBB2_3043:                             ;   in Loop: Header=BB2_2916 Depth=2
	s_delay_alu instid0(SALU_CYCLE_1)
	s_and_b32 vcc_lo, exec_lo, s7
	s_cbranch_vccz .LBB2_3053
; %bb.3044:                             ;   in Loop: Header=BB2_2916 Depth=2
	v_and_b32_e32 v101, 0xff, v15
	s_mov_b32 s7, 0
	s_mov_b32 s26, exec_lo
                                        ; implicit-def: $sgpr25
	s_delay_alu instid0(VALU_DEP_1)
	v_cmpx_lt_i16_e32 0x7f, v101
	s_xor_b32 s26, exec_lo, s26
	s_cbranch_execnz .LBB2_3450
; %bb.3045:                             ;   in Loop: Header=BB2_2916 Depth=2
	s_or_saveexec_b32 s26, s26
	v_mov_b32_e32 v14, s25
	s_xor_b32 exec_lo, exec_lo, s26
	s_cbranch_execnz .LBB2_3453
.LBB2_3046:                             ;   in Loop: Header=BB2_2916 Depth=2
	s_or_b32 exec_lo, exec_lo, s26
	s_and_saveexec_b32 s25, s7
	s_cbranch_execz .LBB2_3048
.LBB2_3047:                             ;   in Loop: Header=BB2_2916 Depth=2
	v_bfe_u32 v103, v15, 3, 4
	v_lshlrev_b32_e32 v112, 24, v15
	s_delay_alu instid0(VALU_DEP_2) | instskip(SKIP_1) | instid1(VALU_DEP_1)
	v_cmp_eq_u32_e32 vcc_lo, 0, v103
	v_and_b32_e32 v14, 7, v15
	v_clz_i32_u32_e32 v101, v14
	s_delay_alu instid0(VALU_DEP_1) | instskip(NEXT) | instid1(VALU_DEP_1)
	v_min_u32_e32 v101, 32, v101
	v_subrev_nc_u32_e32 v102, 28, v101
	v_sub_nc_u32_e32 v101, 29, v101
	s_delay_alu instid0(VALU_DEP_1) | instskip(NEXT) | instid1(VALU_DEP_1)
	v_dual_cndmask_b32 v101, v103, v101 :: v_dual_lshlrev_b32 v102, v102, v15
	v_and_b32_e32 v102, 7, v102
	s_delay_alu instid0(VALU_DEP_2) | instskip(NEXT) | instid1(VALU_DEP_2)
	v_lshl_add_u32 v101, v101, 23, 0x3b800000
	v_cndmask_b32_e32 v14, v14, v102, vcc_lo
	v_and_b32_e32 v102, 0x80000000, v112
	s_delay_alu instid0(VALU_DEP_2) | instskip(NEXT) | instid1(VALU_DEP_1)
	v_lshlrev_b32_e32 v14, 20, v14
	v_or3_b32 v14, v102, v101, v14
.LBB2_3048:                             ;   in Loop: Header=BB2_2916 Depth=2
	s_or_b32 exec_lo, exec_lo, s25
	v_and_b32_e32 v102, 0xff, v11
	s_mov_b32 s7, 0
	s_mov_b32 s26, exec_lo
                                        ; implicit-def: $sgpr25
	s_delay_alu instid0(VALU_DEP_1)
	v_cmpx_lt_i16_e32 0x7f, v102
	s_xor_b32 s26, exec_lo, s26
	s_cbranch_execnz .LBB2_3454
; %bb.3049:                             ;   in Loop: Header=BB2_2916 Depth=2
	s_or_saveexec_b32 s26, s26
	v_mov_b32_e32 v101, s25
	s_xor_b32 exec_lo, exec_lo, s26
	s_cbranch_execnz .LBB2_3457
.LBB2_3050:                             ;   in Loop: Header=BB2_2916 Depth=2
	s_or_b32 exec_lo, exec_lo, s26
	s_and_saveexec_b32 s25, s7
	s_cbranch_execz .LBB2_3052
.LBB2_3051:                             ;   in Loop: Header=BB2_2916 Depth=2
	v_bfe_u32 v112, v11, 3, 4
	v_lshlrev_b32_e32 v113, 24, v11
	s_delay_alu instid0(VALU_DEP_2) | instskip(SKIP_1) | instid1(VALU_DEP_1)
	v_cmp_eq_u32_e32 vcc_lo, 0, v112
	v_and_b32_e32 v101, 7, v11
	v_clz_i32_u32_e32 v102, v101
	s_delay_alu instid0(VALU_DEP_1) | instskip(NEXT) | instid1(VALU_DEP_1)
	v_min_u32_e32 v102, 32, v102
	v_subrev_nc_u32_e32 v103, 28, v102
	v_sub_nc_u32_e32 v102, 29, v102
	s_delay_alu instid0(VALU_DEP_1) | instskip(NEXT) | instid1(VALU_DEP_1)
	v_dual_cndmask_b32 v102, v112, v102 :: v_dual_lshlrev_b32 v103, v103, v11
	v_and_b32_e32 v103, 7, v103
	s_delay_alu instid0(VALU_DEP_2) | instskip(NEXT) | instid1(VALU_DEP_2)
	v_lshl_add_u32 v102, v102, 23, 0x3b800000
	v_cndmask_b32_e32 v101, v101, v103, vcc_lo
	v_and_b32_e32 v103, 0x80000000, v113
	s_delay_alu instid0(VALU_DEP_2) | instskip(NEXT) | instid1(VALU_DEP_1)
	v_lshlrev_b32_e32 v101, 20, v101
	v_or3_b32 v101, v103, v102, v101
.LBB2_3052:                             ;   in Loop: Header=BB2_2916 Depth=2
	s_or_b32 exec_lo, exec_lo, s25
	s_delay_alu instid0(VALU_DEP_1) | instskip(NEXT) | instid1(VALU_DEP_1)
	v_dual_max_f32 v101, v101, v101 :: v_dual_max_f32 v14, v14, v14
	v_min_f32_e32 v101, v14, v101
.LBB2_3053:                             ;   in Loop: Header=BB2_2916 Depth=2
	s_delay_alu instid0(VALU_DEP_1) | instskip(NEXT) | instid1(VALU_DEP_1)
	v_and_b32_e32 v14, 0x7f800000, v101
	v_cmp_ne_u32_e32 vcc_lo, 0x7f800000, v14
	v_mov_b32_e32 v14, 0x80
	s_and_saveexec_b32 s25, vcc_lo
	s_cbranch_execz .LBB2_3061
; %bb.3054:                             ;   in Loop: Header=BB2_2916 Depth=2
	v_mov_b32_e32 v14, 0
	s_mov_b32 s26, exec_lo
	v_cmpx_ne_u32_e32 0, v101
	s_cbranch_execz .LBB2_3060
; %bb.3055:                             ;   in Loop: Header=BB2_2916 Depth=2
	v_bfe_u32 v14, v101, 23, 8
	s_delay_alu instid0(VALU_DEP_1) | instskip(SKIP_1) | instid1(VALU_DEP_2)
	v_sub_nc_u32_e32 v103, 0x78, v14
	v_cmp_gt_u32_e32 vcc_lo, 0x79, v14
	v_dual_cndmask_b32 v103, 0, v103 :: v_dual_and_b32 v102, 0x7fffff, v101
	s_delay_alu instid0(VALU_DEP_1) | instskip(SKIP_2) | instid1(VALU_DEP_4)
	v_or_b32_e32 v112, 0x800000, v102
	v_cmp_eq_u32_e32 vcc_lo, 0, v14
	v_add_nc_u32_e32 v14, 0xffffff89, v14
	v_cndmask_b32_e64 v103, v103, 0x77, vcc_lo
	s_delay_alu instid0(VALU_DEP_4) | instskip(NEXT) | instid1(VALU_DEP_3)
	v_cndmask_b32_e32 v102, v112, v102, vcc_lo
	v_cndmask_b32_e64 v14, v14, 0xffffff8a, vcc_lo
	s_delay_alu instid0(VALU_DEP_3) | instskip(NEXT) | instid1(VALU_DEP_3)
	v_lshl_add_u32 v112, 0x100000, v103, -1
	v_lshrrev_b32_e32 v113, v103, v102
	v_lshlrev_b32_e64 v115, v103, 0x80000
	s_delay_alu instid0(VALU_DEP_4) | instskip(NEXT) | instid1(VALU_DEP_4)
	v_add_nc_u32_e32 v103, v103, v14
	v_and_b32_e32 v102, v112, v102
	s_delay_alu instid0(VALU_DEP_4) | instskip(NEXT) | instid1(VALU_DEP_2)
	v_bfe_u32 v114, v113, 20, 1
	v_cmp_eq_u32_e64 s7, v102, v115
	s_delay_alu instid0(VALU_DEP_2) | instskip(NEXT) | instid1(VALU_DEP_1)
	v_add_nc_u32_e32 v112, -1, v114
	v_cndmask_b32_e64 v102, 0, v112, s7
	v_lshrrev_b32_e32 v112, 23, v113
	s_mov_b32 s7, exec_lo
	s_delay_alu instid0(VALU_DEP_2) | instskip(NEXT) | instid1(VALU_DEP_2)
	v_add_nc_u32_e32 v102, v102, v113
	v_xor_b32_e32 v112, 1, v112
	s_delay_alu instid0(VALU_DEP_2) | instskip(NEXT) | instid1(VALU_DEP_1)
	v_and_b32_e32 v14, 0xfffff, v102
	v_add_nc_u32_e32 v102, v14, v113
                                        ; implicit-def: $vgpr14
	s_delay_alu instid0(VALU_DEP_3)
	v_cmpx_ne_u32_e64 v103, v112
	s_xor_b32 s7, exec_lo, s7
; %bb.3056:                             ;   in Loop: Header=BB2_2916 Depth=2
	s_delay_alu instid0(VALU_DEP_2) | instskip(SKIP_2) | instid1(VALU_DEP_2)
	v_cmp_lt_u32_e32 vcc_lo, 0xffffff, v102
	v_sub_nc_u32_e32 v14, v103, v112
	v_cndmask_b32_e64 v103, 0, 1, vcc_lo
	v_add_co_ci_u32_e32 v14, vcc_lo, 0, v14, vcc_lo
	s_delay_alu instid0(VALU_DEP_2)
	v_lshrrev_b32_e32 v102, v103, v102
; %bb.3057:                             ;   in Loop: Header=BB2_2916 Depth=2
	s_and_not1_saveexec_b32 s7, s7
; %bb.3058:                             ;   in Loop: Header=BB2_2916 Depth=2
	s_delay_alu instid0(VALU_DEP_1)
	v_bfe_u32 v14, v102, 23, 1
; %bb.3059:                             ;   in Loop: Header=BB2_2916 Depth=2
	s_or_b32 exec_lo, exec_lo, s7
	v_lshrrev_b32_e32 v102, 20, v102
	s_delay_alu instid0(VALU_DEP_2) | instskip(SKIP_2) | instid1(VALU_DEP_2)
	v_cmp_gt_i32_e32 vcc_lo, 16, v14
	v_lshrrev_b32_e32 v101, 24, v101
	v_min_i32_e32 v103, 15, v14
	v_dual_cndmask_b32 v102, 7, v102 :: v_dual_and_b32 v101, 0x80, v101
	s_delay_alu instid0(VALU_DEP_1) | instskip(SKIP_1) | instid1(VALU_DEP_2)
	v_or_b32_e32 v14, v14, v102
	v_and_b32_e32 v112, 7, v102
	v_cmp_ne_u32_e32 vcc_lo, 0, v14
	v_lshlrev_b32_e32 v103, 3, v103
	s_delay_alu instid0(VALU_DEP_1) | instskip(NEXT) | instid1(VALU_DEP_1)
	v_or3_b32 v101, v103, v101, v112
	v_cndmask_b32_e32 v14, 0, v101, vcc_lo
.LBB2_3060:                             ;   in Loop: Header=BB2_2916 Depth=2
	s_or_b32 exec_lo, exec_lo, s26
.LBB2_3061:                             ;   in Loop: Header=BB2_2916 Depth=2
	s_delay_alu instid0(SALU_CYCLE_1)
	s_or_b32 exec_lo, exec_lo, s25
	v_lshrrev_b16 v102, 8, v15
	v_lshrrev_b16 v101, 8, v11
	s_and_b32 vcc_lo, exec_lo, s24
	s_cbranch_vccz .LBB2_3071
; %bb.3062:                             ;   in Loop: Header=BB2_2916 Depth=2
	s_mov_b32 s7, 0
	s_mov_b32 s26, exec_lo
                                        ; implicit-def: $sgpr25
	v_cmpx_lt_i16_e32 0x7f, v102
	s_xor_b32 s26, exec_lo, s26
	s_cbranch_execnz .LBB2_3458
; %bb.3063:                             ;   in Loop: Header=BB2_2916 Depth=2
	s_or_saveexec_b32 s26, s26
	v_mov_b32_e32 v103, s25
	s_xor_b32 exec_lo, exec_lo, s26
	s_cbranch_execnz .LBB2_3461
.LBB2_3064:                             ;   in Loop: Header=BB2_2916 Depth=2
	s_or_b32 exec_lo, exec_lo, s26
	s_and_saveexec_b32 s25, s7
	s_cbranch_execz .LBB2_3066
.LBB2_3065:                             ;   in Loop: Header=BB2_2916 Depth=2
	v_and_b32_e32 v103, 0xffff, v102
	s_delay_alu instid0(VALU_DEP_1) | instskip(NEXT) | instid1(VALU_DEP_1)
	v_and_b32_e32 v112, 7, v103
	v_clz_i32_u32_e32 v113, v112
	s_delay_alu instid0(VALU_DEP_1) | instskip(NEXT) | instid1(VALU_DEP_1)
	v_min_u32_e32 v113, 32, v113
	v_subrev_nc_u32_e32 v114, 28, v113
	v_sub_nc_u32_e32 v113, 29, v113
	s_delay_alu instid0(VALU_DEP_2) | instskip(SKIP_1) | instid1(VALU_DEP_2)
	v_lshlrev_b32_e32 v114, v114, v103
	v_bfe_u32 v103, v103, 3, 4
	v_and_b32_e32 v114, 7, v114
	s_delay_alu instid0(VALU_DEP_2) | instskip(SKIP_1) | instid1(VALU_DEP_3)
	v_cmp_eq_u32_e32 vcc_lo, 0, v103
	v_cndmask_b32_e32 v103, v103, v113, vcc_lo
	v_dual_cndmask_b32 v112, v112, v114 :: v_dual_lshlrev_b32 v115, 16, v15
	s_delay_alu instid0(VALU_DEP_2) | instskip(NEXT) | instid1(VALU_DEP_2)
	v_lshl_add_u32 v103, v103, 23, 0x3b800000
	v_and_b32_e32 v113, 0x80000000, v115
	s_delay_alu instid0(VALU_DEP_3) | instskip(NEXT) | instid1(VALU_DEP_1)
	v_lshlrev_b32_e32 v112, 20, v112
	v_or3_b32 v103, v113, v103, v112
.LBB2_3066:                             ;   in Loop: Header=BB2_2916 Depth=2
	s_or_b32 exec_lo, exec_lo, s25
	s_mov_b32 s7, 0
	s_mov_b32 s26, exec_lo
                                        ; implicit-def: $sgpr25
	v_cmpx_lt_i16_e32 0x7f, v101
	s_xor_b32 s26, exec_lo, s26
	s_cbranch_execnz .LBB2_3462
; %bb.3067:                             ;   in Loop: Header=BB2_2916 Depth=2
	s_or_saveexec_b32 s26, s26
	v_mov_b32_e32 v112, s25
	s_xor_b32 exec_lo, exec_lo, s26
	s_cbranch_execnz .LBB2_3465
.LBB2_3068:                             ;   in Loop: Header=BB2_2916 Depth=2
	s_or_b32 exec_lo, exec_lo, s26
	s_and_saveexec_b32 s25, s7
	s_cbranch_execz .LBB2_3070
.LBB2_3069:                             ;   in Loop: Header=BB2_2916 Depth=2
	v_and_b32_e32 v112, 0xffff, v101
	v_lshlrev_b32_e32 v116, 16, v11
	s_delay_alu instid0(VALU_DEP_2) | instskip(NEXT) | instid1(VALU_DEP_1)
	v_and_b32_e32 v113, 7, v112
	v_clz_i32_u32_e32 v114, v113
	s_delay_alu instid0(VALU_DEP_1) | instskip(NEXT) | instid1(VALU_DEP_1)
	v_min_u32_e32 v114, 32, v114
	v_subrev_nc_u32_e32 v115, 28, v114
	v_sub_nc_u32_e32 v114, 29, v114
	s_delay_alu instid0(VALU_DEP_2) | instskip(SKIP_1) | instid1(VALU_DEP_2)
	v_lshlrev_b32_e32 v115, v115, v112
	v_bfe_u32 v112, v112, 3, 4
	v_and_b32_e32 v115, 7, v115
	s_delay_alu instid0(VALU_DEP_2) | instskip(NEXT) | instid1(VALU_DEP_2)
	v_cmp_eq_u32_e32 vcc_lo, 0, v112
	v_dual_cndmask_b32 v112, v112, v114 :: v_dual_cndmask_b32 v113, v113, v115
	v_and_b32_e32 v114, 0x80000000, v116
	s_delay_alu instid0(VALU_DEP_2) | instskip(NEXT) | instid1(VALU_DEP_3)
	v_lshl_add_u32 v112, v112, 23, 0x3b800000
	v_lshlrev_b32_e32 v113, 20, v113
	s_delay_alu instid0(VALU_DEP_1)
	v_or3_b32 v112, v114, v112, v113
.LBB2_3070:                             ;   in Loop: Header=BB2_2916 Depth=2
	s_or_b32 exec_lo, exec_lo, s25
	s_delay_alu instid0(VALU_DEP_1) | instskip(SKIP_1) | instid1(VALU_DEP_1)
	v_dual_max_f32 v112, v112, v112 :: v_dual_max_f32 v103, v103, v103
	s_mov_b32 s7, 0
	v_max_f32_e32 v103, v103, v112
	s_branch .LBB2_3072
.LBB2_3071:                             ;   in Loop: Header=BB2_2916 Depth=2
	s_mov_b32 s7, -1
                                        ; implicit-def: $vgpr103
.LBB2_3072:                             ;   in Loop: Header=BB2_2916 Depth=2
	s_delay_alu instid0(SALU_CYCLE_1)
	s_and_b32 vcc_lo, exec_lo, s7
	s_cbranch_vccz .LBB2_3082
; %bb.3073:                             ;   in Loop: Header=BB2_2916 Depth=2
	s_mov_b32 s7, 0
	s_mov_b32 s26, exec_lo
                                        ; implicit-def: $sgpr25
	v_cmpx_lt_i16_e32 0x7f, v102
	s_xor_b32 s26, exec_lo, s26
	s_cbranch_execnz .LBB2_3466
; %bb.3074:                             ;   in Loop: Header=BB2_2916 Depth=2
	s_or_saveexec_b32 s26, s26
	v_mov_b32_e32 v103, s25
	s_xor_b32 exec_lo, exec_lo, s26
	s_cbranch_execnz .LBB2_3469
.LBB2_3075:                             ;   in Loop: Header=BB2_2916 Depth=2
	s_or_b32 exec_lo, exec_lo, s26
	s_and_saveexec_b32 s25, s7
	s_cbranch_execz .LBB2_3077
.LBB2_3076:                             ;   in Loop: Header=BB2_2916 Depth=2
	v_and_b32_e32 v102, 0xffff, v102
	v_lshlrev_b32_e32 v114, 16, v15
	s_delay_alu instid0(VALU_DEP_2) | instskip(NEXT) | instid1(VALU_DEP_1)
	v_and_b32_e32 v103, 7, v102
	v_clz_i32_u32_e32 v112, v103
	s_delay_alu instid0(VALU_DEP_1) | instskip(NEXT) | instid1(VALU_DEP_1)
	v_min_u32_e32 v112, 32, v112
	v_subrev_nc_u32_e32 v113, 28, v112
	v_sub_nc_u32_e32 v112, 29, v112
	s_delay_alu instid0(VALU_DEP_2) | instskip(SKIP_1) | instid1(VALU_DEP_2)
	v_lshlrev_b32_e32 v113, v113, v102
	v_bfe_u32 v102, v102, 3, 4
	v_and_b32_e32 v113, 7, v113
	s_delay_alu instid0(VALU_DEP_2) | instskip(NEXT) | instid1(VALU_DEP_2)
	v_cmp_eq_u32_e32 vcc_lo, 0, v102
	v_dual_cndmask_b32 v102, v102, v112 :: v_dual_cndmask_b32 v103, v103, v113
	v_and_b32_e32 v112, 0x80000000, v114
	s_delay_alu instid0(VALU_DEP_2) | instskip(NEXT) | instid1(VALU_DEP_3)
	v_lshl_add_u32 v102, v102, 23, 0x3b800000
	v_lshlrev_b32_e32 v103, 20, v103
	s_delay_alu instid0(VALU_DEP_1)
	v_or3_b32 v103, v112, v102, v103
.LBB2_3077:                             ;   in Loop: Header=BB2_2916 Depth=2
	s_or_b32 exec_lo, exec_lo, s25
	s_mov_b32 s7, 0
	s_mov_b32 s26, exec_lo
                                        ; implicit-def: $sgpr25
	v_cmpx_lt_i16_e32 0x7f, v101
	s_xor_b32 s26, exec_lo, s26
	s_cbranch_execnz .LBB2_3470
; %bb.3078:                             ;   in Loop: Header=BB2_2916 Depth=2
	s_or_saveexec_b32 s26, s26
	v_mov_b32_e32 v102, s25
	s_xor_b32 exec_lo, exec_lo, s26
	s_cbranch_execnz .LBB2_3473
.LBB2_3079:                             ;   in Loop: Header=BB2_2916 Depth=2
	s_or_b32 exec_lo, exec_lo, s26
	s_and_saveexec_b32 s25, s7
	s_cbranch_execz .LBB2_3081
.LBB2_3080:                             ;   in Loop: Header=BB2_2916 Depth=2
	v_and_b32_e32 v101, 0xffff, v101
	v_lshlrev_b32_e32 v114, 16, v11
	s_delay_alu instid0(VALU_DEP_2) | instskip(NEXT) | instid1(VALU_DEP_1)
	v_and_b32_e32 v102, 7, v101
	v_clz_i32_u32_e32 v112, v102
	s_delay_alu instid0(VALU_DEP_1) | instskip(NEXT) | instid1(VALU_DEP_1)
	v_min_u32_e32 v112, 32, v112
	v_subrev_nc_u32_e32 v113, 28, v112
	v_sub_nc_u32_e32 v112, 29, v112
	s_delay_alu instid0(VALU_DEP_2) | instskip(SKIP_1) | instid1(VALU_DEP_2)
	v_lshlrev_b32_e32 v113, v113, v101
	v_bfe_u32 v101, v101, 3, 4
	v_and_b32_e32 v113, 7, v113
	s_delay_alu instid0(VALU_DEP_2) | instskip(NEXT) | instid1(VALU_DEP_2)
	v_cmp_eq_u32_e32 vcc_lo, 0, v101
	v_dual_cndmask_b32 v101, v101, v112 :: v_dual_cndmask_b32 v102, v102, v113
	v_and_b32_e32 v112, 0x80000000, v114
	s_delay_alu instid0(VALU_DEP_2) | instskip(NEXT) | instid1(VALU_DEP_3)
	v_lshl_add_u32 v101, v101, 23, 0x3b800000
	v_lshlrev_b32_e32 v102, 20, v102
	s_delay_alu instid0(VALU_DEP_1)
	v_or3_b32 v102, v112, v101, v102
.LBB2_3081:                             ;   in Loop: Header=BB2_2916 Depth=2
	s_or_b32 exec_lo, exec_lo, s25
	s_delay_alu instid0(VALU_DEP_1) | instskip(NEXT) | instid1(VALU_DEP_1)
	v_dual_max_f32 v101, v102, v102 :: v_dual_max_f32 v102, v103, v103
	v_min_f32_e32 v103, v102, v101
.LBB2_3082:                             ;   in Loop: Header=BB2_2916 Depth=2
	s_delay_alu instid0(VALU_DEP_1) | instskip(NEXT) | instid1(VALU_DEP_1)
	v_and_b32_e32 v101, 0x7f800000, v103
	v_cmp_ne_u32_e32 vcc_lo, 0x7f800000, v101
	v_mov_b32_e32 v101, 0x80
	s_and_saveexec_b32 s25, vcc_lo
	s_cbranch_execz .LBB2_3090
; %bb.3083:                             ;   in Loop: Header=BB2_2916 Depth=2
	v_mov_b32_e32 v101, 0
	s_mov_b32 s26, exec_lo
	v_cmpx_ne_u32_e32 0, v103
	s_cbranch_execz .LBB2_3089
; %bb.3084:                             ;   in Loop: Header=BB2_2916 Depth=2
	v_bfe_u32 v101, v103, 23, 8
	v_and_b32_e32 v102, 0x7fffff, v103
	s_delay_alu instid0(VALU_DEP_2) | instskip(SKIP_1) | instid1(VALU_DEP_3)
	v_sub_nc_u32_e32 v112, 0x78, v101
	v_cmp_gt_u32_e32 vcc_lo, 0x79, v101
	v_or_b32_e32 v113, 0x800000, v102
	s_delay_alu instid0(VALU_DEP_3) | instskip(SKIP_2) | instid1(VALU_DEP_3)
	v_cndmask_b32_e32 v112, 0, v112, vcc_lo
	v_cmp_eq_u32_e32 vcc_lo, 0, v101
	v_add_nc_u32_e32 v101, 0xffffff89, v101
	v_cndmask_b32_e64 v112, v112, 0x77, vcc_lo
	v_cndmask_b32_e32 v102, v113, v102, vcc_lo
	s_delay_alu instid0(VALU_DEP_3) | instskip(NEXT) | instid1(VALU_DEP_3)
	v_cndmask_b32_e64 v101, v101, 0xffffff8a, vcc_lo
	v_lshl_add_u32 v113, 0x100000, v112, -1
	s_delay_alu instid0(VALU_DEP_3) | instskip(SKIP_1) | instid1(VALU_DEP_4)
	v_lshrrev_b32_e32 v114, v112, v102
	v_lshlrev_b32_e64 v116, v112, 0x80000
	v_add_nc_u32_e32 v112, v112, v101
	s_delay_alu instid0(VALU_DEP_4) | instskip(NEXT) | instid1(VALU_DEP_4)
	v_and_b32_e32 v102, v113, v102
	v_bfe_u32 v115, v114, 20, 1
	s_delay_alu instid0(VALU_DEP_2) | instskip(NEXT) | instid1(VALU_DEP_2)
	v_cmp_eq_u32_e64 s7, v102, v116
	v_add_nc_u32_e32 v113, -1, v115
	s_delay_alu instid0(VALU_DEP_1) | instskip(SKIP_2) | instid1(VALU_DEP_2)
	v_cndmask_b32_e64 v102, 0, v113, s7
	v_lshrrev_b32_e32 v113, 23, v114
	s_mov_b32 s7, exec_lo
	v_add_nc_u32_e32 v102, v102, v114
	s_delay_alu instid0(VALU_DEP_2) | instskip(NEXT) | instid1(VALU_DEP_2)
	v_xor_b32_e32 v113, 1, v113
	v_and_b32_e32 v101, 0xfffff, v102
	s_delay_alu instid0(VALU_DEP_1) | instskip(NEXT) | instid1(VALU_DEP_3)
	v_add_nc_u32_e32 v102, v101, v114
                                        ; implicit-def: $vgpr101
	v_cmpx_ne_u32_e64 v112, v113
	s_xor_b32 s7, exec_lo, s7
; %bb.3085:                             ;   in Loop: Header=BB2_2916 Depth=2
	s_delay_alu instid0(VALU_DEP_2) | instskip(SKIP_2) | instid1(VALU_DEP_2)
	v_cmp_lt_u32_e32 vcc_lo, 0xffffff, v102
	v_sub_nc_u32_e32 v101, v112, v113
	v_cndmask_b32_e64 v112, 0, 1, vcc_lo
	v_add_co_ci_u32_e32 v101, vcc_lo, 0, v101, vcc_lo
	s_delay_alu instid0(VALU_DEP_2)
	v_lshrrev_b32_e32 v102, v112, v102
; %bb.3086:                             ;   in Loop: Header=BB2_2916 Depth=2
	s_and_not1_saveexec_b32 s7, s7
; %bb.3087:                             ;   in Loop: Header=BB2_2916 Depth=2
	s_delay_alu instid0(VALU_DEP_1)
	v_bfe_u32 v101, v102, 23, 1
; %bb.3088:                             ;   in Loop: Header=BB2_2916 Depth=2
	s_or_b32 exec_lo, exec_lo, s7
	v_lshrrev_b32_e32 v102, 20, v102
	s_delay_alu instid0(VALU_DEP_2) | instskip(SKIP_2) | instid1(VALU_DEP_2)
	v_cmp_gt_i32_e32 vcc_lo, 16, v101
	v_lshrrev_b32_e32 v103, 24, v103
	v_min_i32_e32 v112, 15, v101
	v_dual_cndmask_b32 v102, 7, v102 :: v_dual_and_b32 v103, 0x80, v103
	s_delay_alu instid0(VALU_DEP_1) | instskip(SKIP_1) | instid1(VALU_DEP_2)
	v_or_b32_e32 v101, v101, v102
	v_and_b32_e32 v113, 7, v102
	v_cmp_ne_u32_e32 vcc_lo, 0, v101
	v_lshlrev_b32_e32 v112, 3, v112
	s_delay_alu instid0(VALU_DEP_1) | instskip(NEXT) | instid1(VALU_DEP_1)
	v_or3_b32 v102, v112, v103, v113
	v_cndmask_b32_e32 v101, 0, v102, vcc_lo
.LBB2_3089:                             ;   in Loop: Header=BB2_2916 Depth=2
	s_or_b32 exec_lo, exec_lo, s26
.LBB2_3090:                             ;   in Loop: Header=BB2_2916 Depth=2
	s_delay_alu instid0(SALU_CYCLE_1)
	s_or_b32 exec_lo, exec_lo, s25
	v_lshrrev_b32_e32 v103, 16, v15
	v_lshrrev_b32_e32 v102, 16, v11
	s_and_b32 vcc_lo, exec_lo, s24
	s_cbranch_vccz .LBB2_3100
; %bb.3091:                             ;   in Loop: Header=BB2_2916 Depth=2
	s_delay_alu instid0(VALU_DEP_2) | instskip(SKIP_2) | instid1(VALU_DEP_1)
	v_and_b32_e32 v113, 0xff, v103
	s_mov_b32 s7, 0
	s_mov_b32 s26, exec_lo
                                        ; implicit-def: $sgpr25
	v_cmpx_lt_i16_e32 0x7f, v113
	s_xor_b32 s26, exec_lo, s26
	s_cbranch_execnz .LBB2_3474
; %bb.3092:                             ;   in Loop: Header=BB2_2916 Depth=2
	s_or_saveexec_b32 s26, s26
	v_mov_b32_e32 v112, s25
	s_xor_b32 exec_lo, exec_lo, s26
	s_cbranch_execnz .LBB2_3477
.LBB2_3093:                             ;   in Loop: Header=BB2_2916 Depth=2
	s_or_b32 exec_lo, exec_lo, s26
	s_and_saveexec_b32 s25, s7
	s_cbranch_execz .LBB2_3095
.LBB2_3094:                             ;   in Loop: Header=BB2_2916 Depth=2
	v_bfe_u32 v112, v15, 16, 3
	v_bfe_u32 v115, v15, 19, 4
	v_lshlrev_b32_e32 v116, 24, v103
	s_delay_alu instid0(VALU_DEP_3) | instskip(NEXT) | instid1(VALU_DEP_3)
	v_clz_i32_u32_e32 v113, v112
	v_cmp_eq_u32_e32 vcc_lo, 0, v115
	s_delay_alu instid0(VALU_DEP_2) | instskip(NEXT) | instid1(VALU_DEP_1)
	v_min_u32_e32 v113, 32, v113
	v_subrev_nc_u32_e32 v114, 28, v113
	v_sub_nc_u32_e32 v113, 29, v113
	s_delay_alu instid0(VALU_DEP_1) | instskip(NEXT) | instid1(VALU_DEP_1)
	v_dual_cndmask_b32 v113, v115, v113 :: v_dual_lshlrev_b32 v114, v114, v103
	v_and_b32_e32 v114, 7, v114
	s_delay_alu instid0(VALU_DEP_2) | instskip(NEXT) | instid1(VALU_DEP_2)
	v_lshl_add_u32 v113, v113, 23, 0x3b800000
	v_cndmask_b32_e32 v112, v112, v114, vcc_lo
	v_and_b32_e32 v114, 0x80000000, v116
	s_delay_alu instid0(VALU_DEP_2) | instskip(NEXT) | instid1(VALU_DEP_1)
	v_lshlrev_b32_e32 v112, 20, v112
	v_or3_b32 v112, v114, v113, v112
.LBB2_3095:                             ;   in Loop: Header=BB2_2916 Depth=2
	s_or_b32 exec_lo, exec_lo, s25
	v_and_b32_e32 v114, 0xff, v102
	s_mov_b32 s7, 0
	s_mov_b32 s26, exec_lo
                                        ; implicit-def: $sgpr25
	s_delay_alu instid0(VALU_DEP_1)
	v_cmpx_lt_i16_e32 0x7f, v114
	s_xor_b32 s26, exec_lo, s26
	s_cbranch_execnz .LBB2_3478
; %bb.3096:                             ;   in Loop: Header=BB2_2916 Depth=2
	s_or_saveexec_b32 s26, s26
	v_mov_b32_e32 v113, s25
	s_xor_b32 exec_lo, exec_lo, s26
	s_cbranch_execnz .LBB2_3481
.LBB2_3097:                             ;   in Loop: Header=BB2_2916 Depth=2
	s_or_b32 exec_lo, exec_lo, s26
	s_and_saveexec_b32 s25, s7
	s_cbranch_execz .LBB2_3099
.LBB2_3098:                             ;   in Loop: Header=BB2_2916 Depth=2
	v_bfe_u32 v113, v11, 16, 3
	v_bfe_u32 v116, v11, 19, 4
	v_lshlrev_b32_e32 v117, 24, v102
	s_delay_alu instid0(VALU_DEP_3) | instskip(NEXT) | instid1(VALU_DEP_3)
	v_clz_i32_u32_e32 v114, v113
	v_cmp_eq_u32_e32 vcc_lo, 0, v116
	s_delay_alu instid0(VALU_DEP_2) | instskip(NEXT) | instid1(VALU_DEP_1)
	v_min_u32_e32 v114, 32, v114
	v_subrev_nc_u32_e32 v115, 28, v114
	v_sub_nc_u32_e32 v114, 29, v114
	s_delay_alu instid0(VALU_DEP_2) | instskip(NEXT) | instid1(VALU_DEP_1)
	v_lshlrev_b32_e32 v115, v115, v102
	v_dual_cndmask_b32 v114, v116, v114 :: v_dual_and_b32 v115, 7, v115
	s_delay_alu instid0(VALU_DEP_1) | instskip(NEXT) | instid1(VALU_DEP_2)
	v_lshl_add_u32 v114, v114, 23, 0x3b800000
	v_cndmask_b32_e32 v113, v113, v115, vcc_lo
	v_and_b32_e32 v115, 0x80000000, v117
	s_delay_alu instid0(VALU_DEP_2) | instskip(NEXT) | instid1(VALU_DEP_1)
	v_lshlrev_b32_e32 v113, 20, v113
	v_or3_b32 v113, v115, v114, v113
.LBB2_3099:                             ;   in Loop: Header=BB2_2916 Depth=2
	s_or_b32 exec_lo, exec_lo, s25
	s_delay_alu instid0(VALU_DEP_1) | instskip(SKIP_1) | instid1(VALU_DEP_1)
	v_dual_max_f32 v113, v113, v113 :: v_dual_max_f32 v112, v112, v112
	s_mov_b32 s7, 0
	v_max_f32_e32 v112, v112, v113
	s_branch .LBB2_3101
.LBB2_3100:                             ;   in Loop: Header=BB2_2916 Depth=2
	s_mov_b32 s7, -1
                                        ; implicit-def: $vgpr112
.LBB2_3101:                             ;   in Loop: Header=BB2_2916 Depth=2
	s_delay_alu instid0(SALU_CYCLE_1)
	s_and_b32 vcc_lo, exec_lo, s7
	s_cbranch_vccz .LBB2_3111
; %bb.3102:                             ;   in Loop: Header=BB2_2916 Depth=2
	v_and_b32_e32 v113, 0xff, v103
	s_mov_b32 s7, 0
	s_mov_b32 s26, exec_lo
                                        ; implicit-def: $sgpr25
	s_delay_alu instid0(VALU_DEP_1)
	v_cmpx_lt_i16_e32 0x7f, v113
	s_xor_b32 s26, exec_lo, s26
	s_cbranch_execnz .LBB2_3482
; %bb.3103:                             ;   in Loop: Header=BB2_2916 Depth=2
	s_or_saveexec_b32 s26, s26
	v_mov_b32_e32 v112, s25
	s_xor_b32 exec_lo, exec_lo, s26
	s_cbranch_execnz .LBB2_3485
.LBB2_3104:                             ;   in Loop: Header=BB2_2916 Depth=2
	s_or_b32 exec_lo, exec_lo, s26
	s_and_saveexec_b32 s25, s7
	s_cbranch_execz .LBB2_3106
.LBB2_3105:                             ;   in Loop: Header=BB2_2916 Depth=2
	v_bfe_u32 v112, v15, 16, 3
	v_bfe_u32 v115, v15, 19, 4
	s_delay_alu instid0(VALU_DEP_2) | instskip(NEXT) | instid1(VALU_DEP_2)
	v_clz_i32_u32_e32 v113, v112
	v_cmp_eq_u32_e32 vcc_lo, 0, v115
	s_delay_alu instid0(VALU_DEP_2) | instskip(NEXT) | instid1(VALU_DEP_1)
	v_min_u32_e32 v113, 32, v113
	v_subrev_nc_u32_e32 v114, 28, v113
	v_sub_nc_u32_e32 v113, 29, v113
	s_delay_alu instid0(VALU_DEP_1) | instskip(NEXT) | instid1(VALU_DEP_1)
	v_dual_cndmask_b32 v113, v115, v113 :: v_dual_lshlrev_b32 v114, v114, v103
	v_and_b32_e32 v114, 7, v114
	v_lshlrev_b32_e32 v103, 24, v103
	s_delay_alu instid0(VALU_DEP_3) | instskip(NEXT) | instid1(VALU_DEP_2)
	v_lshl_add_u32 v113, v113, 23, 0x3b800000
	v_dual_cndmask_b32 v112, v112, v114 :: v_dual_and_b32 v103, 0x80000000, v103
	s_delay_alu instid0(VALU_DEP_1) | instskip(NEXT) | instid1(VALU_DEP_1)
	v_lshlrev_b32_e32 v112, 20, v112
	v_or3_b32 v112, v103, v113, v112
.LBB2_3106:                             ;   in Loop: Header=BB2_2916 Depth=2
	s_or_b32 exec_lo, exec_lo, s25
	v_and_b32_e32 v113, 0xff, v102
	s_mov_b32 s7, 0
	s_mov_b32 s26, exec_lo
                                        ; implicit-def: $sgpr25
	s_delay_alu instid0(VALU_DEP_1)
	v_cmpx_lt_i16_e32 0x7f, v113
	s_xor_b32 s26, exec_lo, s26
	s_cbranch_execnz .LBB2_3486
; %bb.3107:                             ;   in Loop: Header=BB2_2916 Depth=2
	s_or_saveexec_b32 s26, s26
	v_mov_b32_e32 v103, s25
	s_xor_b32 exec_lo, exec_lo, s26
	s_cbranch_execnz .LBB2_3489
.LBB2_3108:                             ;   in Loop: Header=BB2_2916 Depth=2
	s_or_b32 exec_lo, exec_lo, s26
	s_and_saveexec_b32 s25, s7
	s_cbranch_execz .LBB2_3110
.LBB2_3109:                             ;   in Loop: Header=BB2_2916 Depth=2
	v_bfe_u32 v103, v11, 16, 3
	v_bfe_u32 v115, v11, 19, 4
	s_delay_alu instid0(VALU_DEP_2) | instskip(NEXT) | instid1(VALU_DEP_2)
	v_clz_i32_u32_e32 v113, v103
	v_cmp_eq_u32_e32 vcc_lo, 0, v115
	s_delay_alu instid0(VALU_DEP_2) | instskip(NEXT) | instid1(VALU_DEP_1)
	v_min_u32_e32 v113, 32, v113
	v_subrev_nc_u32_e32 v114, 28, v113
	v_sub_nc_u32_e32 v113, 29, v113
	s_delay_alu instid0(VALU_DEP_1) | instskip(SKIP_1) | instid1(VALU_DEP_2)
	v_dual_cndmask_b32 v113, v115, v113 :: v_dual_lshlrev_b32 v114, v114, v102
	v_lshlrev_b32_e32 v102, 24, v102
	v_and_b32_e32 v114, 7, v114
	s_delay_alu instid0(VALU_DEP_3) | instskip(NEXT) | instid1(VALU_DEP_3)
	v_lshl_add_u32 v113, v113, 23, 0x3b800000
	v_and_b32_e32 v102, 0x80000000, v102
	s_delay_alu instid0(VALU_DEP_3) | instskip(NEXT) | instid1(VALU_DEP_1)
	v_cndmask_b32_e32 v103, v103, v114, vcc_lo
	v_lshlrev_b32_e32 v103, 20, v103
	s_delay_alu instid0(VALU_DEP_1)
	v_or3_b32 v103, v102, v113, v103
.LBB2_3110:                             ;   in Loop: Header=BB2_2916 Depth=2
	s_or_b32 exec_lo, exec_lo, s25
	s_delay_alu instid0(VALU_DEP_1) | instskip(NEXT) | instid1(VALU_DEP_1)
	v_dual_max_f32 v102, v103, v103 :: v_dual_max_f32 v103, v112, v112
	v_min_f32_e32 v112, v103, v102
.LBB2_3111:                             ;   in Loop: Header=BB2_2916 Depth=2
	s_delay_alu instid0(VALU_DEP_1) | instskip(NEXT) | instid1(VALU_DEP_1)
	v_and_b32_e32 v102, 0x7f800000, v112
	v_cmp_ne_u32_e32 vcc_lo, 0x7f800000, v102
	v_mov_b32_e32 v102, 0x80
	s_and_saveexec_b32 s25, vcc_lo
	s_cbranch_execz .LBB2_3119
; %bb.3112:                             ;   in Loop: Header=BB2_2916 Depth=2
	v_mov_b32_e32 v102, 0
	s_mov_b32 s26, exec_lo
	v_cmpx_ne_u32_e32 0, v112
	s_cbranch_execz .LBB2_3118
; %bb.3113:                             ;   in Loop: Header=BB2_2916 Depth=2
	v_bfe_u32 v102, v112, 23, 8
	v_and_b32_e32 v103, 0x7fffff, v112
	s_delay_alu instid0(VALU_DEP_2) | instskip(SKIP_1) | instid1(VALU_DEP_3)
	v_sub_nc_u32_e32 v113, 0x78, v102
	v_cmp_gt_u32_e32 vcc_lo, 0x79, v102
	v_or_b32_e32 v114, 0x800000, v103
	s_delay_alu instid0(VALU_DEP_3) | instskip(SKIP_2) | instid1(VALU_DEP_3)
	v_cndmask_b32_e32 v113, 0, v113, vcc_lo
	v_cmp_eq_u32_e32 vcc_lo, 0, v102
	v_add_nc_u32_e32 v102, 0xffffff89, v102
	v_cndmask_b32_e64 v113, v113, 0x77, vcc_lo
	v_cndmask_b32_e32 v103, v114, v103, vcc_lo
	s_delay_alu instid0(VALU_DEP_3) | instskip(NEXT) | instid1(VALU_DEP_3)
	v_cndmask_b32_e64 v102, v102, 0xffffff8a, vcc_lo
	v_lshl_add_u32 v114, 0x100000, v113, -1
	s_delay_alu instid0(VALU_DEP_3) | instskip(SKIP_1) | instid1(VALU_DEP_4)
	v_lshrrev_b32_e32 v115, v113, v103
	v_lshlrev_b32_e64 v117, v113, 0x80000
	v_add_nc_u32_e32 v113, v113, v102
	s_delay_alu instid0(VALU_DEP_4) | instskip(NEXT) | instid1(VALU_DEP_4)
	v_and_b32_e32 v103, v114, v103
	v_bfe_u32 v116, v115, 20, 1
	s_delay_alu instid0(VALU_DEP_2) | instskip(NEXT) | instid1(VALU_DEP_2)
	v_cmp_eq_u32_e64 s7, v103, v117
	v_add_nc_u32_e32 v114, -1, v116
	s_delay_alu instid0(VALU_DEP_1) | instskip(SKIP_2) | instid1(VALU_DEP_2)
	v_cndmask_b32_e64 v103, 0, v114, s7
	v_lshrrev_b32_e32 v114, 23, v115
	s_mov_b32 s7, exec_lo
	v_add_nc_u32_e32 v103, v103, v115
	s_delay_alu instid0(VALU_DEP_2) | instskip(NEXT) | instid1(VALU_DEP_2)
	v_xor_b32_e32 v114, 1, v114
	v_and_b32_e32 v102, 0xfffff, v103
	s_delay_alu instid0(VALU_DEP_1) | instskip(NEXT) | instid1(VALU_DEP_3)
	v_add_nc_u32_e32 v103, v102, v115
                                        ; implicit-def: $vgpr102
	v_cmpx_ne_u32_e64 v113, v114
	s_xor_b32 s7, exec_lo, s7
; %bb.3114:                             ;   in Loop: Header=BB2_2916 Depth=2
	s_delay_alu instid0(VALU_DEP_2) | instskip(SKIP_2) | instid1(VALU_DEP_2)
	v_cmp_lt_u32_e32 vcc_lo, 0xffffff, v103
	v_sub_nc_u32_e32 v102, v113, v114
	v_cndmask_b32_e64 v113, 0, 1, vcc_lo
	v_add_co_ci_u32_e32 v102, vcc_lo, 0, v102, vcc_lo
	s_delay_alu instid0(VALU_DEP_2)
	v_lshrrev_b32_e32 v103, v113, v103
; %bb.3115:                             ;   in Loop: Header=BB2_2916 Depth=2
	s_and_not1_saveexec_b32 s7, s7
; %bb.3116:                             ;   in Loop: Header=BB2_2916 Depth=2
	s_delay_alu instid0(VALU_DEP_1)
	v_bfe_u32 v102, v103, 23, 1
; %bb.3117:                             ;   in Loop: Header=BB2_2916 Depth=2
	s_or_b32 exec_lo, exec_lo, s7
	v_lshrrev_b32_e32 v103, 20, v103
	s_delay_alu instid0(VALU_DEP_2) | instskip(SKIP_2) | instid1(VALU_DEP_2)
	v_cmp_gt_i32_e32 vcc_lo, 16, v102
	v_lshrrev_b32_e32 v112, 24, v112
	v_min_i32_e32 v113, 15, v102
	v_dual_cndmask_b32 v103, 7, v103 :: v_dual_and_b32 v112, 0x80, v112
	s_delay_alu instid0(VALU_DEP_1) | instskip(SKIP_1) | instid1(VALU_DEP_2)
	v_or_b32_e32 v102, v102, v103
	v_and_b32_e32 v114, 7, v103
	v_cmp_ne_u32_e32 vcc_lo, 0, v102
	v_lshlrev_b32_e32 v113, 3, v113
	s_delay_alu instid0(VALU_DEP_1) | instskip(NEXT) | instid1(VALU_DEP_1)
	v_and_b32_e32 v113, 0xf8, v113
	v_or3_b32 v103, v113, v112, v114
	s_delay_alu instid0(VALU_DEP_1)
	v_cndmask_b32_e32 v102, 0, v103, vcc_lo
.LBB2_3118:                             ;   in Loop: Header=BB2_2916 Depth=2
	s_or_b32 exec_lo, exec_lo, s26
.LBB2_3119:                             ;   in Loop: Header=BB2_2916 Depth=2
	s_delay_alu instid0(SALU_CYCLE_1)
	s_or_b32 exec_lo, exec_lo, s25
	v_lshrrev_b32_e32 v112, 24, v15
	v_lshrrev_b32_e32 v103, 24, v11
	s_and_b32 vcc_lo, exec_lo, s24
	s_cbranch_vccz .LBB2_3129
; %bb.3120:                             ;   in Loop: Header=BB2_2916 Depth=2
	s_mov_b32 s7, 0
	s_mov_b32 s26, exec_lo
                                        ; implicit-def: $sgpr25
	v_cmpx_lt_i16_e32 0x7f, v112
	s_xor_b32 s26, exec_lo, s26
	s_cbranch_execnz .LBB2_3490
; %bb.3121:                             ;   in Loop: Header=BB2_2916 Depth=2
	s_or_saveexec_b32 s26, s26
	v_mov_b32_e32 v113, s25
	s_xor_b32 exec_lo, exec_lo, s26
	s_cbranch_execnz .LBB2_3493
.LBB2_3122:                             ;   in Loop: Header=BB2_2916 Depth=2
	s_or_b32 exec_lo, exec_lo, s26
	s_and_saveexec_b32 s25, s7
	s_cbranch_execz .LBB2_3124
.LBB2_3123:                             ;   in Loop: Header=BB2_2916 Depth=2
	v_bfe_u32 v113, v15, 24, 3
	v_bfe_u32 v116, v15, 27, 4
	s_delay_alu instid0(VALU_DEP_2) | instskip(NEXT) | instid1(VALU_DEP_2)
	v_clz_i32_u32_e32 v114, v113
	v_cmp_eq_u32_e32 vcc_lo, 0, v116
	s_delay_alu instid0(VALU_DEP_2) | instskip(NEXT) | instid1(VALU_DEP_1)
	v_min_u32_e32 v114, 32, v114
	v_subrev_nc_u32_e32 v115, 28, v114
	v_sub_nc_u32_e32 v114, 29, v114
	s_delay_alu instid0(VALU_DEP_1) | instskip(NEXT) | instid1(VALU_DEP_1)
	v_dual_cndmask_b32 v114, v116, v114 :: v_dual_lshlrev_b32 v115, v115, v112
	v_and_b32_e32 v115, 7, v115
	s_delay_alu instid0(VALU_DEP_2) | instskip(NEXT) | instid1(VALU_DEP_2)
	v_lshl_add_u32 v114, v114, 23, 0x3b800000
	v_cndmask_b32_e32 v113, v113, v115, vcc_lo
	v_and_b32_e32 v115, 0x80000000, v15
	s_delay_alu instid0(VALU_DEP_2) | instskip(NEXT) | instid1(VALU_DEP_1)
	v_lshlrev_b32_e32 v113, 20, v113
	v_or3_b32 v113, v115, v114, v113
.LBB2_3124:                             ;   in Loop: Header=BB2_2916 Depth=2
	s_or_b32 exec_lo, exec_lo, s25
	s_mov_b32 s7, 0
	s_mov_b32 s26, exec_lo
                                        ; implicit-def: $sgpr25
	v_cmpx_lt_i16_e32 0x7f, v103
	s_xor_b32 s26, exec_lo, s26
	s_cbranch_execnz .LBB2_3494
; %bb.3125:                             ;   in Loop: Header=BB2_2916 Depth=2
	s_or_saveexec_b32 s26, s26
	v_mov_b32_e32 v114, s25
	s_xor_b32 exec_lo, exec_lo, s26
	s_cbranch_execnz .LBB2_3497
.LBB2_3126:                             ;   in Loop: Header=BB2_2916 Depth=2
	s_or_b32 exec_lo, exec_lo, s26
	s_and_saveexec_b32 s25, s7
	s_cbranch_execz .LBB2_3128
.LBB2_3127:                             ;   in Loop: Header=BB2_2916 Depth=2
	v_bfe_u32 v114, v11, 24, 3
	v_bfe_u32 v117, v11, 27, 4
	s_delay_alu instid0(VALU_DEP_2) | instskip(NEXT) | instid1(VALU_DEP_2)
	v_clz_i32_u32_e32 v115, v114
	v_cmp_eq_u32_e32 vcc_lo, 0, v117
	s_delay_alu instid0(VALU_DEP_2) | instskip(NEXT) | instid1(VALU_DEP_1)
	v_min_u32_e32 v115, 32, v115
	v_subrev_nc_u32_e32 v116, 28, v115
	v_sub_nc_u32_e32 v115, 29, v115
	s_delay_alu instid0(VALU_DEP_2) | instskip(NEXT) | instid1(VALU_DEP_1)
	v_lshlrev_b32_e32 v116, v116, v103
	v_dual_cndmask_b32 v115, v117, v115 :: v_dual_and_b32 v116, 7, v116
	s_delay_alu instid0(VALU_DEP_1) | instskip(NEXT) | instid1(VALU_DEP_2)
	v_lshl_add_u32 v115, v115, 23, 0x3b800000
	v_cndmask_b32_e32 v114, v114, v116, vcc_lo
	v_and_b32_e32 v116, 0x80000000, v11
	s_delay_alu instid0(VALU_DEP_2) | instskip(NEXT) | instid1(VALU_DEP_1)
	v_lshlrev_b32_e32 v114, 20, v114
	v_or3_b32 v114, v116, v115, v114
.LBB2_3128:                             ;   in Loop: Header=BB2_2916 Depth=2
	s_or_b32 exec_lo, exec_lo, s25
	s_delay_alu instid0(VALU_DEP_1) | instskip(SKIP_1) | instid1(VALU_DEP_1)
	v_dual_max_f32 v114, v114, v114 :: v_dual_max_f32 v113, v113, v113
	s_mov_b32 s7, 0
	v_max_f32_e32 v113, v113, v114
	s_branch .LBB2_3130
.LBB2_3129:                             ;   in Loop: Header=BB2_2916 Depth=2
	s_mov_b32 s7, -1
                                        ; implicit-def: $vgpr113
.LBB2_3130:                             ;   in Loop: Header=BB2_2916 Depth=2
	s_delay_alu instid0(SALU_CYCLE_1)
	s_and_b32 vcc_lo, exec_lo, s7
	s_cbranch_vccz .LBB2_3140
; %bb.3131:                             ;   in Loop: Header=BB2_2916 Depth=2
	s_mov_b32 s7, 0
	s_mov_b32 s26, exec_lo
                                        ; implicit-def: $sgpr25
	v_cmpx_lt_i16_e32 0x7f, v112
	s_xor_b32 s26, exec_lo, s26
	s_cbranch_execnz .LBB2_3498
; %bb.3132:                             ;   in Loop: Header=BB2_2916 Depth=2
	s_or_saveexec_b32 s26, s26
	v_mov_b32_e32 v113, s25
	s_xor_b32 exec_lo, exec_lo, s26
	s_cbranch_execnz .LBB2_3501
.LBB2_3133:                             ;   in Loop: Header=BB2_2916 Depth=2
	s_or_b32 exec_lo, exec_lo, s26
	s_and_saveexec_b32 s25, s7
	s_cbranch_execz .LBB2_3135
.LBB2_3134:                             ;   in Loop: Header=BB2_2916 Depth=2
	v_bfe_u32 v113, v15, 24, 3
	s_delay_alu instid0(VALU_DEP_1) | instskip(NEXT) | instid1(VALU_DEP_1)
	v_clz_i32_u32_e32 v114, v113
	v_min_u32_e32 v114, 32, v114
	s_delay_alu instid0(VALU_DEP_1) | instskip(SKIP_1) | instid1(VALU_DEP_2)
	v_subrev_nc_u32_e32 v115, 28, v114
	v_sub_nc_u32_e32 v114, 29, v114
	v_lshlrev_b32_e32 v112, v115, v112
	v_bfe_u32 v115, v15, 27, 4
	v_and_b32_e32 v15, 0x80000000, v15
	s_delay_alu instid0(VALU_DEP_3) | instskip(NEXT) | instid1(VALU_DEP_3)
	v_and_b32_e32 v112, 7, v112
	v_cmp_eq_u32_e32 vcc_lo, 0, v115
	v_cndmask_b32_e32 v114, v115, v114, vcc_lo
	s_delay_alu instid0(VALU_DEP_3) | instskip(NEXT) | instid1(VALU_DEP_2)
	v_cndmask_b32_e32 v112, v113, v112, vcc_lo
	v_lshl_add_u32 v113, v114, 23, 0x3b800000
	s_delay_alu instid0(VALU_DEP_2) | instskip(NEXT) | instid1(VALU_DEP_1)
	v_lshlrev_b32_e32 v112, 20, v112
	v_or3_b32 v113, v15, v113, v112
.LBB2_3135:                             ;   in Loop: Header=BB2_2916 Depth=2
	s_or_b32 exec_lo, exec_lo, s25
	s_mov_b32 s7, 0
	s_mov_b32 s26, exec_lo
                                        ; implicit-def: $sgpr25
	v_cmpx_lt_i16_e32 0x7f, v103
	s_xor_b32 s26, exec_lo, s26
	s_cbranch_execnz .LBB2_3502
; %bb.3136:                             ;   in Loop: Header=BB2_2916 Depth=2
	s_or_saveexec_b32 s26, s26
	v_mov_b32_e32 v15, s25
	s_xor_b32 exec_lo, exec_lo, s26
	s_cbranch_execnz .LBB2_3505
.LBB2_3137:                             ;   in Loop: Header=BB2_2916 Depth=2
	s_or_b32 exec_lo, exec_lo, s26
	s_and_saveexec_b32 s25, s7
	s_cbranch_execz .LBB2_3139
.LBB2_3138:                             ;   in Loop: Header=BB2_2916 Depth=2
	v_bfe_u32 v15, v11, 24, 3
	s_delay_alu instid0(VALU_DEP_1) | instskip(NEXT) | instid1(VALU_DEP_1)
	v_clz_i32_u32_e32 v112, v15
	v_min_u32_e32 v112, 32, v112
	s_delay_alu instid0(VALU_DEP_1) | instskip(SKIP_1) | instid1(VALU_DEP_2)
	v_subrev_nc_u32_e32 v114, 28, v112
	v_sub_nc_u32_e32 v112, 29, v112
	v_lshlrev_b32_e32 v103, v114, v103
	v_bfe_u32 v114, v11, 27, 4
	v_and_b32_e32 v11, 0x80000000, v11
	s_delay_alu instid0(VALU_DEP_2) | instskip(NEXT) | instid1(VALU_DEP_4)
	v_cmp_eq_u32_e32 vcc_lo, 0, v114
	v_dual_cndmask_b32 v112, v114, v112 :: v_dual_and_b32 v103, 7, v103
	s_delay_alu instid0(VALU_DEP_1) | instskip(NEXT) | instid1(VALU_DEP_2)
	v_cndmask_b32_e32 v15, v15, v103, vcc_lo
	v_lshl_add_u32 v103, v112, 23, 0x3b800000
	s_delay_alu instid0(VALU_DEP_2) | instskip(NEXT) | instid1(VALU_DEP_1)
	v_lshlrev_b32_e32 v15, 20, v15
	v_or3_b32 v15, v11, v103, v15
.LBB2_3139:                             ;   in Loop: Header=BB2_2916 Depth=2
	s_or_b32 exec_lo, exec_lo, s25
	s_delay_alu instid0(VALU_DEP_1) | instskip(SKIP_1) | instid1(VALU_DEP_1)
	v_max_f32_e32 v11, v15, v15
	v_max_f32_e32 v15, v113, v113
	v_min_f32_e32 v113, v15, v11
.LBB2_3140:                             ;   in Loop: Header=BB2_2916 Depth=2
	s_delay_alu instid0(VALU_DEP_1) | instskip(NEXT) | instid1(VALU_DEP_1)
	v_and_b32_e32 v11, 0x7f800000, v113
	v_cmp_ne_u32_e32 vcc_lo, 0x7f800000, v11
	v_mov_b32_e32 v11, 0x8000
	s_and_saveexec_b32 s25, vcc_lo
	s_cbranch_execz .LBB2_3148
; %bb.3141:                             ;   in Loop: Header=BB2_2916 Depth=2
	v_mov_b32_e32 v11, 0
	s_mov_b32 s26, exec_lo
	v_cmpx_ne_u32_e32 0, v113
	s_cbranch_execz .LBB2_3147
; %bb.3142:                             ;   in Loop: Header=BB2_2916 Depth=2
	v_bfe_u32 v11, v113, 23, 8
	v_and_b32_e32 v15, 0x7fffff, v113
	s_delay_alu instid0(VALU_DEP_2) | instskip(SKIP_1) | instid1(VALU_DEP_3)
	v_sub_nc_u32_e32 v103, 0x78, v11
	v_cmp_gt_u32_e32 vcc_lo, 0x79, v11
	v_or_b32_e32 v112, 0x800000, v15
	s_delay_alu instid0(VALU_DEP_3) | instskip(SKIP_2) | instid1(VALU_DEP_3)
	v_cndmask_b32_e32 v103, 0, v103, vcc_lo
	v_cmp_eq_u32_e32 vcc_lo, 0, v11
	v_add_nc_u32_e32 v11, 0xffffff89, v11
	v_cndmask_b32_e64 v103, v103, 0x77, vcc_lo
	v_cndmask_b32_e32 v15, v112, v15, vcc_lo
	s_delay_alu instid0(VALU_DEP_3) | instskip(NEXT) | instid1(VALU_DEP_3)
	v_cndmask_b32_e64 v11, v11, 0xffffff8a, vcc_lo
	v_lshl_add_u32 v112, 0x100000, v103, -1
	s_delay_alu instid0(VALU_DEP_3) | instskip(SKIP_1) | instid1(VALU_DEP_4)
	v_lshrrev_b32_e32 v114, v103, v15
	v_lshlrev_b32_e64 v116, v103, 0x80000
	v_add_nc_u32_e32 v103, v103, v11
	s_delay_alu instid0(VALU_DEP_4) | instskip(NEXT) | instid1(VALU_DEP_4)
	v_and_b32_e32 v15, v112, v15
	v_bfe_u32 v115, v114, 20, 1
	s_delay_alu instid0(VALU_DEP_2) | instskip(NEXT) | instid1(VALU_DEP_2)
	v_cmp_eq_u32_e64 s7, v15, v116
	v_add_nc_u32_e32 v112, -1, v115
	s_delay_alu instid0(VALU_DEP_1) | instskip(SKIP_2) | instid1(VALU_DEP_2)
	v_cndmask_b32_e64 v15, 0, v112, s7
	v_lshrrev_b32_e32 v112, 23, v114
	s_mov_b32 s7, exec_lo
	v_add_nc_u32_e32 v15, v15, v114
	s_delay_alu instid0(VALU_DEP_2) | instskip(NEXT) | instid1(VALU_DEP_2)
	v_xor_b32_e32 v112, 1, v112
	v_and_b32_e32 v11, 0xfffff, v15
	s_delay_alu instid0(VALU_DEP_1) | instskip(NEXT) | instid1(VALU_DEP_3)
	v_add_nc_u32_e32 v15, v11, v114
                                        ; implicit-def: $vgpr11
	v_cmpx_ne_u32_e64 v103, v112
	s_xor_b32 s7, exec_lo, s7
; %bb.3143:                             ;   in Loop: Header=BB2_2916 Depth=2
	s_delay_alu instid0(VALU_DEP_2) | instskip(SKIP_2) | instid1(VALU_DEP_2)
	v_cmp_lt_u32_e32 vcc_lo, 0xffffff, v15
	v_sub_nc_u32_e32 v11, v103, v112
	v_cndmask_b32_e64 v103, 0, 1, vcc_lo
	v_add_co_ci_u32_e32 v11, vcc_lo, 0, v11, vcc_lo
	s_delay_alu instid0(VALU_DEP_2)
	v_lshrrev_b32_e32 v15, v103, v15
; %bb.3144:                             ;   in Loop: Header=BB2_2916 Depth=2
	s_and_not1_saveexec_b32 s7, s7
; %bb.3145:                             ;   in Loop: Header=BB2_2916 Depth=2
	s_delay_alu instid0(VALU_DEP_1)
	v_bfe_u32 v11, v15, 23, 1
; %bb.3146:                             ;   in Loop: Header=BB2_2916 Depth=2
	s_or_b32 exec_lo, exec_lo, s7
	v_lshrrev_b32_e32 v15, 20, v15
	s_delay_alu instid0(VALU_DEP_2) | instskip(SKIP_2) | instid1(VALU_DEP_3)
	v_min_i32_e32 v103, 15, v11
	v_cmp_gt_i32_e32 vcc_lo, 16, v11
	v_lshrrev_b32_e32 v112, 24, v113
	v_lshlrev_b32_e32 v103, 3, v103
	s_delay_alu instid0(VALU_DEP_2) | instskip(NEXT) | instid1(VALU_DEP_2)
	v_dual_cndmask_b32 v15, 7, v15 :: v_dual_and_b32 v112, 0x80, v112
	v_and_b32_e32 v103, 0xf8, v103
	s_delay_alu instid0(VALU_DEP_2) | instskip(SKIP_1) | instid1(VALU_DEP_2)
	v_and_b32_e32 v113, 7, v15
	v_or_b32_e32 v11, v11, v15
	v_or3_b32 v103, v112, v103, v113
	s_delay_alu instid0(VALU_DEP_2) | instskip(NEXT) | instid1(VALU_DEP_2)
	v_cmp_ne_u32_e32 vcc_lo, 0, v11
	v_lshlrev_b32_e32 v15, 8, v103
	s_delay_alu instid0(VALU_DEP_1)
	v_cndmask_b32_e32 v11, 0, v15, vcc_lo
.LBB2_3147:                             ;   in Loop: Header=BB2_2916 Depth=2
	s_or_b32 exec_lo, exec_lo, s26
.LBB2_3148:                             ;   in Loop: Header=BB2_2916 Depth=2
	s_delay_alu instid0(SALU_CYCLE_1) | instskip(NEXT) | instid1(SALU_CYCLE_1)
	s_or_b32 exec_lo, exec_lo, s25
	s_and_b32 vcc_lo, exec_lo, s24
	s_cbranch_vccz .LBB2_3158
; %bb.3149:                             ;   in Loop: Header=BB2_2916 Depth=2
	v_and_b32_e32 v103, 0xff, v16
	s_mov_b32 s7, 0
	s_mov_b32 s26, exec_lo
                                        ; implicit-def: $sgpr25
	s_delay_alu instid0(VALU_DEP_1)
	v_cmpx_lt_i16_e32 0x7f, v103
	s_xor_b32 s26, exec_lo, s26
	s_cbranch_execnz .LBB2_3506
; %bb.3150:                             ;   in Loop: Header=BB2_2916 Depth=2
	s_or_saveexec_b32 s26, s26
	v_mov_b32_e32 v15, s25
	s_xor_b32 exec_lo, exec_lo, s26
	s_cbranch_execnz .LBB2_3509
.LBB2_3151:                             ;   in Loop: Header=BB2_2916 Depth=2
	s_or_b32 exec_lo, exec_lo, s26
	s_and_saveexec_b32 s25, s7
	s_cbranch_execz .LBB2_3153
.LBB2_3152:                             ;   in Loop: Header=BB2_2916 Depth=2
	v_and_b32_e32 v15, 7, v16
	v_bfe_u32 v113, v16, 3, 4
	v_lshlrev_b32_e32 v114, 24, v16
	s_delay_alu instid0(VALU_DEP_3) | instskip(NEXT) | instid1(VALU_DEP_3)
	v_clz_i32_u32_e32 v103, v15
	v_cmp_eq_u32_e32 vcc_lo, 0, v113
	s_delay_alu instid0(VALU_DEP_2) | instskip(NEXT) | instid1(VALU_DEP_1)
	v_min_u32_e32 v103, 32, v103
	v_subrev_nc_u32_e32 v112, 28, v103
	v_sub_nc_u32_e32 v103, 29, v103
	s_delay_alu instid0(VALU_DEP_1) | instskip(NEXT) | instid1(VALU_DEP_1)
	v_dual_cndmask_b32 v103, v113, v103 :: v_dual_lshlrev_b32 v112, v112, v16
	v_and_b32_e32 v112, 7, v112
	s_delay_alu instid0(VALU_DEP_2) | instskip(NEXT) | instid1(VALU_DEP_2)
	v_lshl_add_u32 v103, v103, 23, 0x3b800000
	v_dual_cndmask_b32 v15, v15, v112 :: v_dual_and_b32 v112, 0x80000000, v114
	s_delay_alu instid0(VALU_DEP_1) | instskip(NEXT) | instid1(VALU_DEP_1)
	v_lshlrev_b32_e32 v15, 20, v15
	v_or3_b32 v15, v112, v103, v15
.LBB2_3153:                             ;   in Loop: Header=BB2_2916 Depth=2
	s_or_b32 exec_lo, exec_lo, s25
	v_and_b32_e32 v112, 0xff, v12
	s_mov_b32 s7, 0
	s_mov_b32 s26, exec_lo
                                        ; implicit-def: $sgpr25
	s_delay_alu instid0(VALU_DEP_1)
	v_cmpx_lt_i16_e32 0x7f, v112
	s_xor_b32 s26, exec_lo, s26
	s_cbranch_execnz .LBB2_3510
; %bb.3154:                             ;   in Loop: Header=BB2_2916 Depth=2
	s_or_saveexec_b32 s26, s26
	v_mov_b32_e32 v103, s25
	s_xor_b32 exec_lo, exec_lo, s26
	s_cbranch_execnz .LBB2_3513
.LBB2_3155:                             ;   in Loop: Header=BB2_2916 Depth=2
	s_or_b32 exec_lo, exec_lo, s26
	s_and_saveexec_b32 s25, s7
	s_cbranch_execz .LBB2_3157
.LBB2_3156:                             ;   in Loop: Header=BB2_2916 Depth=2
	v_and_b32_e32 v103, 7, v12
	v_bfe_u32 v114, v12, 3, 4
	v_lshlrev_b32_e32 v115, 24, v12
	s_delay_alu instid0(VALU_DEP_3) | instskip(NEXT) | instid1(VALU_DEP_3)
	v_clz_i32_u32_e32 v112, v103
	v_cmp_eq_u32_e32 vcc_lo, 0, v114
	s_delay_alu instid0(VALU_DEP_2) | instskip(NEXT) | instid1(VALU_DEP_1)
	v_min_u32_e32 v112, 32, v112
	v_subrev_nc_u32_e32 v113, 28, v112
	v_sub_nc_u32_e32 v112, 29, v112
	s_delay_alu instid0(VALU_DEP_2) | instskip(NEXT) | instid1(VALU_DEP_1)
	v_lshlrev_b32_e32 v113, v113, v12
	v_dual_cndmask_b32 v112, v114, v112 :: v_dual_and_b32 v113, 7, v113
	s_delay_alu instid0(VALU_DEP_1) | instskip(NEXT) | instid1(VALU_DEP_2)
	v_lshl_add_u32 v112, v112, 23, 0x3b800000
	v_cndmask_b32_e32 v103, v103, v113, vcc_lo
	v_and_b32_e32 v113, 0x80000000, v115
	s_delay_alu instid0(VALU_DEP_2) | instskip(NEXT) | instid1(VALU_DEP_1)
	v_lshlrev_b32_e32 v103, 20, v103
	v_or3_b32 v103, v113, v112, v103
.LBB2_3157:                             ;   in Loop: Header=BB2_2916 Depth=2
	s_or_b32 exec_lo, exec_lo, s25
	s_delay_alu instid0(VALU_DEP_1) | instskip(SKIP_2) | instid1(VALU_DEP_1)
	v_max_f32_e32 v103, v103, v103
	v_max_f32_e32 v15, v15, v15
	s_mov_b32 s7, 0
	v_max_f32_e32 v103, v15, v103
	s_branch .LBB2_3159
.LBB2_3158:                             ;   in Loop: Header=BB2_2916 Depth=2
	s_mov_b32 s7, -1
                                        ; implicit-def: $vgpr103
.LBB2_3159:                             ;   in Loop: Header=BB2_2916 Depth=2
	s_delay_alu instid0(SALU_CYCLE_1)
	s_and_b32 vcc_lo, exec_lo, s7
	s_cbranch_vccz .LBB2_3169
; %bb.3160:                             ;   in Loop: Header=BB2_2916 Depth=2
	v_and_b32_e32 v103, 0xff, v16
	s_mov_b32 s7, 0
	s_mov_b32 s26, exec_lo
                                        ; implicit-def: $sgpr25
	s_delay_alu instid0(VALU_DEP_1)
	v_cmpx_lt_i16_e32 0x7f, v103
	s_xor_b32 s26, exec_lo, s26
	s_cbranch_execnz .LBB2_3514
; %bb.3161:                             ;   in Loop: Header=BB2_2916 Depth=2
	s_or_saveexec_b32 s26, s26
	v_mov_b32_e32 v15, s25
	s_xor_b32 exec_lo, exec_lo, s26
	s_cbranch_execnz .LBB2_3517
.LBB2_3162:                             ;   in Loop: Header=BB2_2916 Depth=2
	s_or_b32 exec_lo, exec_lo, s26
	s_and_saveexec_b32 s25, s7
	s_cbranch_execz .LBB2_3164
.LBB2_3163:                             ;   in Loop: Header=BB2_2916 Depth=2
	v_and_b32_e32 v15, 7, v16
	v_bfe_u32 v113, v16, 3, 4
	v_lshlrev_b32_e32 v114, 24, v16
	s_delay_alu instid0(VALU_DEP_3) | instskip(NEXT) | instid1(VALU_DEP_3)
	v_clz_i32_u32_e32 v103, v15
	v_cmp_eq_u32_e32 vcc_lo, 0, v113
	s_delay_alu instid0(VALU_DEP_2) | instskip(NEXT) | instid1(VALU_DEP_1)
	v_min_u32_e32 v103, 32, v103
	v_subrev_nc_u32_e32 v112, 28, v103
	v_sub_nc_u32_e32 v103, 29, v103
	s_delay_alu instid0(VALU_DEP_1) | instskip(NEXT) | instid1(VALU_DEP_1)
	v_dual_cndmask_b32 v103, v113, v103 :: v_dual_lshlrev_b32 v112, v112, v16
	v_and_b32_e32 v112, 7, v112
	s_delay_alu instid0(VALU_DEP_2) | instskip(NEXT) | instid1(VALU_DEP_2)
	v_lshl_add_u32 v103, v103, 23, 0x3b800000
	v_dual_cndmask_b32 v15, v15, v112 :: v_dual_and_b32 v112, 0x80000000, v114
	s_delay_alu instid0(VALU_DEP_1) | instskip(NEXT) | instid1(VALU_DEP_1)
	v_lshlrev_b32_e32 v15, 20, v15
	v_or3_b32 v15, v112, v103, v15
.LBB2_3164:                             ;   in Loop: Header=BB2_2916 Depth=2
	s_or_b32 exec_lo, exec_lo, s25
	v_and_b32_e32 v112, 0xff, v12
	s_mov_b32 s7, 0
	s_mov_b32 s26, exec_lo
                                        ; implicit-def: $sgpr25
	s_delay_alu instid0(VALU_DEP_1)
	v_cmpx_lt_i16_e32 0x7f, v112
	s_xor_b32 s26, exec_lo, s26
	s_cbranch_execnz .LBB2_3518
; %bb.3165:                             ;   in Loop: Header=BB2_2916 Depth=2
	s_or_saveexec_b32 s26, s26
	v_mov_b32_e32 v103, s25
	s_xor_b32 exec_lo, exec_lo, s26
	s_cbranch_execnz .LBB2_3521
.LBB2_3166:                             ;   in Loop: Header=BB2_2916 Depth=2
	s_or_b32 exec_lo, exec_lo, s26
	s_and_saveexec_b32 s25, s7
	s_cbranch_execz .LBB2_3168
.LBB2_3167:                             ;   in Loop: Header=BB2_2916 Depth=2
	v_and_b32_e32 v103, 7, v12
	v_bfe_u32 v114, v12, 3, 4
	v_lshlrev_b32_e32 v115, 24, v12
	s_delay_alu instid0(VALU_DEP_3) | instskip(NEXT) | instid1(VALU_DEP_3)
	v_clz_i32_u32_e32 v112, v103
	v_cmp_eq_u32_e32 vcc_lo, 0, v114
	s_delay_alu instid0(VALU_DEP_2) | instskip(NEXT) | instid1(VALU_DEP_1)
	v_min_u32_e32 v112, 32, v112
	v_subrev_nc_u32_e32 v113, 28, v112
	v_sub_nc_u32_e32 v112, 29, v112
	s_delay_alu instid0(VALU_DEP_2) | instskip(NEXT) | instid1(VALU_DEP_1)
	v_lshlrev_b32_e32 v113, v113, v12
	v_dual_cndmask_b32 v112, v114, v112 :: v_dual_and_b32 v113, 7, v113
	s_delay_alu instid0(VALU_DEP_1) | instskip(NEXT) | instid1(VALU_DEP_2)
	v_lshl_add_u32 v112, v112, 23, 0x3b800000
	v_cndmask_b32_e32 v103, v103, v113, vcc_lo
	v_and_b32_e32 v113, 0x80000000, v115
	s_delay_alu instid0(VALU_DEP_2) | instskip(NEXT) | instid1(VALU_DEP_1)
	v_lshlrev_b32_e32 v103, 20, v103
	v_or3_b32 v103, v113, v112, v103
.LBB2_3168:                             ;   in Loop: Header=BB2_2916 Depth=2
	s_or_b32 exec_lo, exec_lo, s25
	s_delay_alu instid0(VALU_DEP_1) | instskip(SKIP_1) | instid1(VALU_DEP_1)
	v_max_f32_e32 v103, v103, v103
	v_max_f32_e32 v15, v15, v15
	v_min_f32_e32 v103, v15, v103
.LBB2_3169:                             ;   in Loop: Header=BB2_2916 Depth=2
	s_delay_alu instid0(VALU_DEP_1) | instskip(NEXT) | instid1(VALU_DEP_1)
	v_and_b32_e32 v15, 0x7f800000, v103
	v_cmp_ne_u32_e32 vcc_lo, 0x7f800000, v15
	v_mov_b32_e32 v15, 0x80
	s_and_saveexec_b32 s25, vcc_lo
	s_cbranch_execz .LBB2_3177
; %bb.3170:                             ;   in Loop: Header=BB2_2916 Depth=2
	v_mov_b32_e32 v15, 0
	s_mov_b32 s26, exec_lo
	v_cmpx_ne_u32_e32 0, v103
	s_cbranch_execz .LBB2_3176
; %bb.3171:                             ;   in Loop: Header=BB2_2916 Depth=2
	v_bfe_u32 v15, v103, 23, 8
	s_delay_alu instid0(VALU_DEP_1) | instskip(SKIP_1) | instid1(VALU_DEP_2)
	v_sub_nc_u32_e32 v113, 0x78, v15
	v_cmp_gt_u32_e32 vcc_lo, 0x79, v15
	v_dual_cndmask_b32 v113, 0, v113 :: v_dual_and_b32 v112, 0x7fffff, v103
	s_delay_alu instid0(VALU_DEP_1) | instskip(SKIP_2) | instid1(VALU_DEP_4)
	v_or_b32_e32 v114, 0x800000, v112
	v_cmp_eq_u32_e32 vcc_lo, 0, v15
	v_add_nc_u32_e32 v15, 0xffffff89, v15
	v_cndmask_b32_e64 v113, v113, 0x77, vcc_lo
	s_delay_alu instid0(VALU_DEP_4) | instskip(NEXT) | instid1(VALU_DEP_3)
	v_cndmask_b32_e32 v112, v114, v112, vcc_lo
	v_cndmask_b32_e64 v15, v15, 0xffffff8a, vcc_lo
	s_delay_alu instid0(VALU_DEP_3) | instskip(NEXT) | instid1(VALU_DEP_3)
	v_lshl_add_u32 v114, 0x100000, v113, -1
	v_lshrrev_b32_e32 v115, v113, v112
	v_lshlrev_b32_e64 v117, v113, 0x80000
	s_delay_alu instid0(VALU_DEP_4) | instskip(NEXT) | instid1(VALU_DEP_4)
	v_add_nc_u32_e32 v113, v113, v15
	v_and_b32_e32 v112, v114, v112
	s_delay_alu instid0(VALU_DEP_4) | instskip(NEXT) | instid1(VALU_DEP_2)
	v_bfe_u32 v116, v115, 20, 1
	v_cmp_eq_u32_e64 s7, v112, v117
	s_delay_alu instid0(VALU_DEP_2) | instskip(NEXT) | instid1(VALU_DEP_1)
	v_add_nc_u32_e32 v114, -1, v116
	v_cndmask_b32_e64 v112, 0, v114, s7
	v_lshrrev_b32_e32 v114, 23, v115
	s_mov_b32 s7, exec_lo
	s_delay_alu instid0(VALU_DEP_2) | instskip(NEXT) | instid1(VALU_DEP_2)
	v_add_nc_u32_e32 v112, v112, v115
	v_xor_b32_e32 v114, 1, v114
	s_delay_alu instid0(VALU_DEP_2) | instskip(NEXT) | instid1(VALU_DEP_1)
	v_and_b32_e32 v15, 0xfffff, v112
	v_add_nc_u32_e32 v112, v15, v115
                                        ; implicit-def: $vgpr15
	s_delay_alu instid0(VALU_DEP_3)
	v_cmpx_ne_u32_e64 v113, v114
	s_xor_b32 s7, exec_lo, s7
; %bb.3172:                             ;   in Loop: Header=BB2_2916 Depth=2
	s_delay_alu instid0(VALU_DEP_2) | instskip(SKIP_2) | instid1(VALU_DEP_2)
	v_cmp_lt_u32_e32 vcc_lo, 0xffffff, v112
	v_sub_nc_u32_e32 v15, v113, v114
	v_cndmask_b32_e64 v113, 0, 1, vcc_lo
	v_add_co_ci_u32_e32 v15, vcc_lo, 0, v15, vcc_lo
	s_delay_alu instid0(VALU_DEP_2)
	v_lshrrev_b32_e32 v112, v113, v112
; %bb.3173:                             ;   in Loop: Header=BB2_2916 Depth=2
	s_and_not1_saveexec_b32 s7, s7
; %bb.3174:                             ;   in Loop: Header=BB2_2916 Depth=2
	s_delay_alu instid0(VALU_DEP_1)
	v_bfe_u32 v15, v112, 23, 1
; %bb.3175:                             ;   in Loop: Header=BB2_2916 Depth=2
	s_or_b32 exec_lo, exec_lo, s7
	v_lshrrev_b32_e32 v112, 20, v112
	s_delay_alu instid0(VALU_DEP_2) | instskip(SKIP_2) | instid1(VALU_DEP_2)
	v_cmp_gt_i32_e32 vcc_lo, 16, v15
	v_lshrrev_b32_e32 v103, 24, v103
	v_min_i32_e32 v113, 15, v15
	v_dual_cndmask_b32 v112, 7, v112 :: v_dual_and_b32 v103, 0x80, v103
	s_delay_alu instid0(VALU_DEP_2) | instskip(NEXT) | instid1(VALU_DEP_2)
	v_lshlrev_b32_e32 v113, 3, v113
	v_or_b32_e32 v15, v15, v112
	s_delay_alu instid0(VALU_DEP_1) | instskip(SKIP_1) | instid1(VALU_DEP_1)
	v_cmp_ne_u32_e32 vcc_lo, 0, v15
	v_and_b32_e32 v114, 7, v112
	v_or3_b32 v103, v113, v103, v114
	s_delay_alu instid0(VALU_DEP_1)
	v_cndmask_b32_e32 v15, 0, v103, vcc_lo
.LBB2_3176:                             ;   in Loop: Header=BB2_2916 Depth=2
	s_or_b32 exec_lo, exec_lo, s26
.LBB2_3177:                             ;   in Loop: Header=BB2_2916 Depth=2
	s_delay_alu instid0(SALU_CYCLE_1)
	s_or_b32 exec_lo, exec_lo, s25
	v_lshrrev_b16 v112, 8, v16
	v_lshrrev_b16 v103, 8, v12
	s_and_b32 vcc_lo, exec_lo, s24
	s_cbranch_vccz .LBB2_3187
; %bb.3178:                             ;   in Loop: Header=BB2_2916 Depth=2
	s_mov_b32 s7, 0
	s_mov_b32 s26, exec_lo
                                        ; implicit-def: $sgpr25
	v_cmpx_lt_i16_e32 0x7f, v112
	s_xor_b32 s26, exec_lo, s26
	s_cbranch_execnz .LBB2_3522
; %bb.3179:                             ;   in Loop: Header=BB2_2916 Depth=2
	s_or_saveexec_b32 s26, s26
	v_mov_b32_e32 v113, s25
	s_xor_b32 exec_lo, exec_lo, s26
	s_cbranch_execnz .LBB2_3525
.LBB2_3180:                             ;   in Loop: Header=BB2_2916 Depth=2
	s_or_b32 exec_lo, exec_lo, s26
	s_and_saveexec_b32 s25, s7
	s_cbranch_execz .LBB2_3182
.LBB2_3181:                             ;   in Loop: Header=BB2_2916 Depth=2
	v_and_b32_e32 v113, 0xffff, v112
	v_lshlrev_b32_e32 v117, 16, v16
	s_delay_alu instid0(VALU_DEP_2) | instskip(NEXT) | instid1(VALU_DEP_1)
	v_and_b32_e32 v114, 7, v113
	v_clz_i32_u32_e32 v115, v114
	s_delay_alu instid0(VALU_DEP_1) | instskip(NEXT) | instid1(VALU_DEP_1)
	v_min_u32_e32 v115, 32, v115
	v_subrev_nc_u32_e32 v116, 28, v115
	v_sub_nc_u32_e32 v115, 29, v115
	s_delay_alu instid0(VALU_DEP_2) | instskip(SKIP_1) | instid1(VALU_DEP_2)
	v_lshlrev_b32_e32 v116, v116, v113
	v_bfe_u32 v113, v113, 3, 4
	v_and_b32_e32 v116, 7, v116
	s_delay_alu instid0(VALU_DEP_2) | instskip(NEXT) | instid1(VALU_DEP_2)
	v_cmp_eq_u32_e32 vcc_lo, 0, v113
	v_dual_cndmask_b32 v113, v113, v115 :: v_dual_cndmask_b32 v114, v114, v116
	v_and_b32_e32 v115, 0x80000000, v117
	s_delay_alu instid0(VALU_DEP_2) | instskip(NEXT) | instid1(VALU_DEP_3)
	v_lshl_add_u32 v113, v113, 23, 0x3b800000
	v_lshlrev_b32_e32 v114, 20, v114
	s_delay_alu instid0(VALU_DEP_1)
	v_or3_b32 v113, v115, v113, v114
.LBB2_3182:                             ;   in Loop: Header=BB2_2916 Depth=2
	s_or_b32 exec_lo, exec_lo, s25
	s_mov_b32 s7, 0
	s_mov_b32 s26, exec_lo
                                        ; implicit-def: $sgpr25
	v_cmpx_lt_i16_e32 0x7f, v103
	s_xor_b32 s26, exec_lo, s26
	s_cbranch_execnz .LBB2_3526
; %bb.3183:                             ;   in Loop: Header=BB2_2916 Depth=2
	s_or_saveexec_b32 s26, s26
	v_mov_b32_e32 v114, s25
	s_xor_b32 exec_lo, exec_lo, s26
	s_cbranch_execnz .LBB2_3529
.LBB2_3184:                             ;   in Loop: Header=BB2_2916 Depth=2
	s_or_b32 exec_lo, exec_lo, s26
	s_and_saveexec_b32 s25, s7
	s_cbranch_execz .LBB2_3186
.LBB2_3185:                             ;   in Loop: Header=BB2_2916 Depth=2
	v_and_b32_e32 v114, 0xffff, v103
	v_lshlrev_b32_e32 v118, 16, v12
	s_delay_alu instid0(VALU_DEP_2) | instskip(NEXT) | instid1(VALU_DEP_1)
	v_and_b32_e32 v115, 7, v114
	v_clz_i32_u32_e32 v116, v115
	s_delay_alu instid0(VALU_DEP_1) | instskip(NEXT) | instid1(VALU_DEP_1)
	v_min_u32_e32 v116, 32, v116
	v_subrev_nc_u32_e32 v117, 28, v116
	v_sub_nc_u32_e32 v116, 29, v116
	s_delay_alu instid0(VALU_DEP_2) | instskip(SKIP_1) | instid1(VALU_DEP_2)
	v_lshlrev_b32_e32 v117, v117, v114
	v_bfe_u32 v114, v114, 3, 4
	v_and_b32_e32 v117, 7, v117
	s_delay_alu instid0(VALU_DEP_2) | instskip(NEXT) | instid1(VALU_DEP_2)
	v_cmp_eq_u32_e32 vcc_lo, 0, v114
	v_dual_cndmask_b32 v114, v114, v116 :: v_dual_cndmask_b32 v115, v115, v117
	v_and_b32_e32 v116, 0x80000000, v118
	s_delay_alu instid0(VALU_DEP_2) | instskip(NEXT) | instid1(VALU_DEP_3)
	v_lshl_add_u32 v114, v114, 23, 0x3b800000
	v_lshlrev_b32_e32 v115, 20, v115
	s_delay_alu instid0(VALU_DEP_1)
	v_or3_b32 v114, v116, v114, v115
.LBB2_3186:                             ;   in Loop: Header=BB2_2916 Depth=2
	s_or_b32 exec_lo, exec_lo, s25
	s_delay_alu instid0(VALU_DEP_1) | instskip(SKIP_1) | instid1(VALU_DEP_1)
	v_dual_max_f32 v114, v114, v114 :: v_dual_max_f32 v113, v113, v113
	s_mov_b32 s7, 0
	v_max_f32_e32 v113, v113, v114
	s_branch .LBB2_3188
.LBB2_3187:                             ;   in Loop: Header=BB2_2916 Depth=2
	s_mov_b32 s7, -1
                                        ; implicit-def: $vgpr113
.LBB2_3188:                             ;   in Loop: Header=BB2_2916 Depth=2
	s_delay_alu instid0(SALU_CYCLE_1)
	s_and_b32 vcc_lo, exec_lo, s7
	s_cbranch_vccz .LBB2_3198
; %bb.3189:                             ;   in Loop: Header=BB2_2916 Depth=2
	s_mov_b32 s7, 0
	s_mov_b32 s26, exec_lo
                                        ; implicit-def: $sgpr25
	v_cmpx_lt_i16_e32 0x7f, v112
	s_xor_b32 s26, exec_lo, s26
	s_cbranch_execnz .LBB2_3530
; %bb.3190:                             ;   in Loop: Header=BB2_2916 Depth=2
	s_or_saveexec_b32 s26, s26
	v_mov_b32_e32 v113, s25
	s_xor_b32 exec_lo, exec_lo, s26
	s_cbranch_execnz .LBB2_3533
.LBB2_3191:                             ;   in Loop: Header=BB2_2916 Depth=2
	s_or_b32 exec_lo, exec_lo, s26
	s_and_saveexec_b32 s25, s7
	s_cbranch_execz .LBB2_3193
.LBB2_3192:                             ;   in Loop: Header=BB2_2916 Depth=2
	v_and_b32_e32 v112, 0xffff, v112
	v_lshlrev_b32_e32 v116, 16, v16
	s_delay_alu instid0(VALU_DEP_2) | instskip(NEXT) | instid1(VALU_DEP_1)
	v_and_b32_e32 v113, 7, v112
	v_clz_i32_u32_e32 v114, v113
	s_delay_alu instid0(VALU_DEP_1) | instskip(NEXT) | instid1(VALU_DEP_1)
	v_min_u32_e32 v114, 32, v114
	v_subrev_nc_u32_e32 v115, 28, v114
	v_sub_nc_u32_e32 v114, 29, v114
	s_delay_alu instid0(VALU_DEP_2) | instskip(SKIP_1) | instid1(VALU_DEP_2)
	v_lshlrev_b32_e32 v115, v115, v112
	v_bfe_u32 v112, v112, 3, 4
	v_and_b32_e32 v115, 7, v115
	s_delay_alu instid0(VALU_DEP_2) | instskip(NEXT) | instid1(VALU_DEP_2)
	v_cmp_eq_u32_e32 vcc_lo, 0, v112
	v_dual_cndmask_b32 v112, v112, v114 :: v_dual_cndmask_b32 v113, v113, v115
	v_and_b32_e32 v114, 0x80000000, v116
	s_delay_alu instid0(VALU_DEP_2) | instskip(NEXT) | instid1(VALU_DEP_3)
	v_lshl_add_u32 v112, v112, 23, 0x3b800000
	v_lshlrev_b32_e32 v113, 20, v113
	s_delay_alu instid0(VALU_DEP_1)
	v_or3_b32 v113, v114, v112, v113
.LBB2_3193:                             ;   in Loop: Header=BB2_2916 Depth=2
	s_or_b32 exec_lo, exec_lo, s25
	s_mov_b32 s7, 0
	s_mov_b32 s26, exec_lo
                                        ; implicit-def: $sgpr25
	v_cmpx_lt_i16_e32 0x7f, v103
	s_xor_b32 s26, exec_lo, s26
	s_cbranch_execnz .LBB2_3534
; %bb.3194:                             ;   in Loop: Header=BB2_2916 Depth=2
	s_or_saveexec_b32 s26, s26
	v_mov_b32_e32 v112, s25
	s_xor_b32 exec_lo, exec_lo, s26
	s_cbranch_execnz .LBB2_3537
.LBB2_3195:                             ;   in Loop: Header=BB2_2916 Depth=2
	s_or_b32 exec_lo, exec_lo, s26
	s_and_saveexec_b32 s25, s7
	s_cbranch_execz .LBB2_3197
.LBB2_3196:                             ;   in Loop: Header=BB2_2916 Depth=2
	v_and_b32_e32 v103, 0xffff, v103
	v_lshlrev_b32_e32 v116, 16, v12
	s_delay_alu instid0(VALU_DEP_2) | instskip(NEXT) | instid1(VALU_DEP_1)
	v_and_b32_e32 v112, 7, v103
	v_clz_i32_u32_e32 v114, v112
	s_delay_alu instid0(VALU_DEP_1) | instskip(NEXT) | instid1(VALU_DEP_1)
	v_min_u32_e32 v114, 32, v114
	v_subrev_nc_u32_e32 v115, 28, v114
	v_sub_nc_u32_e32 v114, 29, v114
	s_delay_alu instid0(VALU_DEP_2) | instskip(SKIP_1) | instid1(VALU_DEP_2)
	v_lshlrev_b32_e32 v115, v115, v103
	v_bfe_u32 v103, v103, 3, 4
	v_and_b32_e32 v115, 7, v115
	s_delay_alu instid0(VALU_DEP_2) | instskip(NEXT) | instid1(VALU_DEP_2)
	v_cmp_eq_u32_e32 vcc_lo, 0, v103
	v_dual_cndmask_b32 v103, v103, v114 :: v_dual_cndmask_b32 v112, v112, v115
	v_and_b32_e32 v114, 0x80000000, v116
	s_delay_alu instid0(VALU_DEP_2) | instskip(NEXT) | instid1(VALU_DEP_3)
	v_lshl_add_u32 v103, v103, 23, 0x3b800000
	v_lshlrev_b32_e32 v112, 20, v112
	s_delay_alu instid0(VALU_DEP_1)
	v_or3_b32 v112, v114, v103, v112
.LBB2_3197:                             ;   in Loop: Header=BB2_2916 Depth=2
	s_or_b32 exec_lo, exec_lo, s25
	s_delay_alu instid0(VALU_DEP_1) | instskip(NEXT) | instid1(VALU_DEP_1)
	v_dual_max_f32 v103, v112, v112 :: v_dual_max_f32 v112, v113, v113
	v_min_f32_e32 v113, v112, v103
.LBB2_3198:                             ;   in Loop: Header=BB2_2916 Depth=2
	s_delay_alu instid0(VALU_DEP_1) | instskip(NEXT) | instid1(VALU_DEP_1)
	v_and_b32_e32 v103, 0x7f800000, v113
	v_cmp_ne_u32_e32 vcc_lo, 0x7f800000, v103
	v_mov_b32_e32 v103, 0x80
	s_and_saveexec_b32 s25, vcc_lo
	s_cbranch_execz .LBB2_3206
; %bb.3199:                             ;   in Loop: Header=BB2_2916 Depth=2
	v_mov_b32_e32 v103, 0
	s_mov_b32 s26, exec_lo
	v_cmpx_ne_u32_e32 0, v113
	s_cbranch_execz .LBB2_3205
; %bb.3200:                             ;   in Loop: Header=BB2_2916 Depth=2
	v_bfe_u32 v103, v113, 23, 8
	v_and_b32_e32 v112, 0x7fffff, v113
	s_delay_alu instid0(VALU_DEP_2) | instskip(SKIP_1) | instid1(VALU_DEP_3)
	v_sub_nc_u32_e32 v114, 0x78, v103
	v_cmp_gt_u32_e32 vcc_lo, 0x79, v103
	v_or_b32_e32 v115, 0x800000, v112
	s_delay_alu instid0(VALU_DEP_3) | instskip(SKIP_2) | instid1(VALU_DEP_3)
	v_cndmask_b32_e32 v114, 0, v114, vcc_lo
	v_cmp_eq_u32_e32 vcc_lo, 0, v103
	v_add_nc_u32_e32 v103, 0xffffff89, v103
	v_cndmask_b32_e64 v114, v114, 0x77, vcc_lo
	v_cndmask_b32_e32 v112, v115, v112, vcc_lo
	s_delay_alu instid0(VALU_DEP_3) | instskip(NEXT) | instid1(VALU_DEP_3)
	v_cndmask_b32_e64 v103, v103, 0xffffff8a, vcc_lo
	v_lshl_add_u32 v115, 0x100000, v114, -1
	s_delay_alu instid0(VALU_DEP_3) | instskip(SKIP_1) | instid1(VALU_DEP_4)
	v_lshrrev_b32_e32 v116, v114, v112
	v_lshlrev_b32_e64 v118, v114, 0x80000
	v_add_nc_u32_e32 v114, v114, v103
	s_delay_alu instid0(VALU_DEP_4) | instskip(NEXT) | instid1(VALU_DEP_4)
	v_and_b32_e32 v112, v115, v112
	v_bfe_u32 v117, v116, 20, 1
	s_delay_alu instid0(VALU_DEP_2) | instskip(NEXT) | instid1(VALU_DEP_2)
	v_cmp_eq_u32_e64 s7, v112, v118
	v_add_nc_u32_e32 v115, -1, v117
	s_delay_alu instid0(VALU_DEP_1) | instskip(SKIP_2) | instid1(VALU_DEP_2)
	v_cndmask_b32_e64 v112, 0, v115, s7
	v_lshrrev_b32_e32 v115, 23, v116
	s_mov_b32 s7, exec_lo
	v_add_nc_u32_e32 v112, v112, v116
	s_delay_alu instid0(VALU_DEP_2) | instskip(NEXT) | instid1(VALU_DEP_2)
	v_xor_b32_e32 v115, 1, v115
	v_and_b32_e32 v103, 0xfffff, v112
	s_delay_alu instid0(VALU_DEP_1) | instskip(NEXT) | instid1(VALU_DEP_3)
	v_add_nc_u32_e32 v112, v103, v116
                                        ; implicit-def: $vgpr103
	v_cmpx_ne_u32_e64 v114, v115
	s_xor_b32 s7, exec_lo, s7
; %bb.3201:                             ;   in Loop: Header=BB2_2916 Depth=2
	s_delay_alu instid0(VALU_DEP_2) | instskip(SKIP_2) | instid1(VALU_DEP_2)
	v_cmp_lt_u32_e32 vcc_lo, 0xffffff, v112
	v_sub_nc_u32_e32 v103, v114, v115
	v_cndmask_b32_e64 v114, 0, 1, vcc_lo
	v_add_co_ci_u32_e32 v103, vcc_lo, 0, v103, vcc_lo
	s_delay_alu instid0(VALU_DEP_2)
	v_lshrrev_b32_e32 v112, v114, v112
; %bb.3202:                             ;   in Loop: Header=BB2_2916 Depth=2
	s_and_not1_saveexec_b32 s7, s7
; %bb.3203:                             ;   in Loop: Header=BB2_2916 Depth=2
	s_delay_alu instid0(VALU_DEP_1)
	v_bfe_u32 v103, v112, 23, 1
; %bb.3204:                             ;   in Loop: Header=BB2_2916 Depth=2
	s_or_b32 exec_lo, exec_lo, s7
	v_lshrrev_b32_e32 v112, 20, v112
	s_delay_alu instid0(VALU_DEP_2) | instskip(SKIP_2) | instid1(VALU_DEP_2)
	v_cmp_gt_i32_e32 vcc_lo, 16, v103
	v_lshrrev_b32_e32 v113, 24, v113
	v_min_i32_e32 v114, 15, v103
	v_dual_cndmask_b32 v112, 7, v112 :: v_dual_and_b32 v113, 0x80, v113
	s_delay_alu instid0(VALU_DEP_1) | instskip(SKIP_1) | instid1(VALU_DEP_2)
	v_or_b32_e32 v103, v103, v112
	v_and_b32_e32 v115, 7, v112
	v_cmp_ne_u32_e32 vcc_lo, 0, v103
	v_lshlrev_b32_e32 v114, 3, v114
	s_delay_alu instid0(VALU_DEP_1) | instskip(NEXT) | instid1(VALU_DEP_1)
	v_or3_b32 v112, v114, v113, v115
	v_cndmask_b32_e32 v103, 0, v112, vcc_lo
.LBB2_3205:                             ;   in Loop: Header=BB2_2916 Depth=2
	s_or_b32 exec_lo, exec_lo, s26
.LBB2_3206:                             ;   in Loop: Header=BB2_2916 Depth=2
	s_delay_alu instid0(SALU_CYCLE_1)
	s_or_b32 exec_lo, exec_lo, s25
	v_lshrrev_b32_e32 v113, 16, v16
	v_lshrrev_b32_e32 v112, 16, v12
	s_and_b32 vcc_lo, exec_lo, s24
	s_cbranch_vccz .LBB2_3216
; %bb.3207:                             ;   in Loop: Header=BB2_2916 Depth=2
	s_delay_alu instid0(VALU_DEP_2) | instskip(SKIP_2) | instid1(VALU_DEP_1)
	v_and_b32_e32 v115, 0xff, v113
	s_mov_b32 s7, 0
	s_mov_b32 s26, exec_lo
                                        ; implicit-def: $sgpr25
	v_cmpx_lt_i16_e32 0x7f, v115
	s_xor_b32 s26, exec_lo, s26
	s_cbranch_execnz .LBB2_3538
; %bb.3208:                             ;   in Loop: Header=BB2_2916 Depth=2
	s_or_saveexec_b32 s26, s26
	v_mov_b32_e32 v114, s25
	s_xor_b32 exec_lo, exec_lo, s26
	s_cbranch_execnz .LBB2_3541
.LBB2_3209:                             ;   in Loop: Header=BB2_2916 Depth=2
	s_or_b32 exec_lo, exec_lo, s26
	s_and_saveexec_b32 s25, s7
	s_cbranch_execz .LBB2_3211
.LBB2_3210:                             ;   in Loop: Header=BB2_2916 Depth=2
	v_bfe_u32 v114, v16, 16, 3
	v_bfe_u32 v117, v16, 19, 4
	v_lshlrev_b32_e32 v118, 24, v113
	s_delay_alu instid0(VALU_DEP_3) | instskip(NEXT) | instid1(VALU_DEP_3)
	v_clz_i32_u32_e32 v115, v114
	v_cmp_eq_u32_e32 vcc_lo, 0, v117
	s_delay_alu instid0(VALU_DEP_2) | instskip(NEXT) | instid1(VALU_DEP_1)
	v_min_u32_e32 v115, 32, v115
	v_subrev_nc_u32_e32 v116, 28, v115
	v_sub_nc_u32_e32 v115, 29, v115
	s_delay_alu instid0(VALU_DEP_1) | instskip(NEXT) | instid1(VALU_DEP_1)
	v_dual_cndmask_b32 v115, v117, v115 :: v_dual_lshlrev_b32 v116, v116, v113
	v_and_b32_e32 v116, 7, v116
	s_delay_alu instid0(VALU_DEP_2) | instskip(NEXT) | instid1(VALU_DEP_2)
	v_lshl_add_u32 v115, v115, 23, 0x3b800000
	v_cndmask_b32_e32 v114, v114, v116, vcc_lo
	v_and_b32_e32 v116, 0x80000000, v118
	s_delay_alu instid0(VALU_DEP_2) | instskip(NEXT) | instid1(VALU_DEP_1)
	v_lshlrev_b32_e32 v114, 20, v114
	v_or3_b32 v114, v116, v115, v114
.LBB2_3211:                             ;   in Loop: Header=BB2_2916 Depth=2
	s_or_b32 exec_lo, exec_lo, s25
	v_and_b32_e32 v116, 0xff, v112
	s_mov_b32 s7, 0
	s_mov_b32 s26, exec_lo
                                        ; implicit-def: $sgpr25
	s_delay_alu instid0(VALU_DEP_1)
	v_cmpx_lt_i16_e32 0x7f, v116
	s_xor_b32 s26, exec_lo, s26
	s_cbranch_execnz .LBB2_3542
; %bb.3212:                             ;   in Loop: Header=BB2_2916 Depth=2
	s_or_saveexec_b32 s26, s26
	v_mov_b32_e32 v115, s25
	s_xor_b32 exec_lo, exec_lo, s26
	s_cbranch_execnz .LBB2_3545
.LBB2_3213:                             ;   in Loop: Header=BB2_2916 Depth=2
	s_or_b32 exec_lo, exec_lo, s26
	s_and_saveexec_b32 s25, s7
	s_cbranch_execz .LBB2_3215
.LBB2_3214:                             ;   in Loop: Header=BB2_2916 Depth=2
	v_bfe_u32 v115, v12, 16, 3
	v_bfe_u32 v118, v12, 19, 4
	v_lshlrev_b32_e32 v119, 24, v112
	s_delay_alu instid0(VALU_DEP_3) | instskip(NEXT) | instid1(VALU_DEP_3)
	v_clz_i32_u32_e32 v116, v115
	v_cmp_eq_u32_e32 vcc_lo, 0, v118
	s_delay_alu instid0(VALU_DEP_2) | instskip(NEXT) | instid1(VALU_DEP_1)
	v_min_u32_e32 v116, 32, v116
	v_subrev_nc_u32_e32 v117, 28, v116
	v_sub_nc_u32_e32 v116, 29, v116
	s_delay_alu instid0(VALU_DEP_2) | instskip(NEXT) | instid1(VALU_DEP_1)
	v_lshlrev_b32_e32 v117, v117, v112
	v_dual_cndmask_b32 v116, v118, v116 :: v_dual_and_b32 v117, 7, v117
	s_delay_alu instid0(VALU_DEP_1) | instskip(NEXT) | instid1(VALU_DEP_2)
	v_lshl_add_u32 v116, v116, 23, 0x3b800000
	v_cndmask_b32_e32 v115, v115, v117, vcc_lo
	v_and_b32_e32 v117, 0x80000000, v119
	s_delay_alu instid0(VALU_DEP_2) | instskip(NEXT) | instid1(VALU_DEP_1)
	v_lshlrev_b32_e32 v115, 20, v115
	v_or3_b32 v115, v117, v116, v115
.LBB2_3215:                             ;   in Loop: Header=BB2_2916 Depth=2
	s_or_b32 exec_lo, exec_lo, s25
	s_delay_alu instid0(VALU_DEP_1) | instskip(SKIP_1) | instid1(VALU_DEP_1)
	v_dual_max_f32 v115, v115, v115 :: v_dual_max_f32 v114, v114, v114
	s_mov_b32 s7, 0
	v_max_f32_e32 v114, v114, v115
	s_branch .LBB2_3217
.LBB2_3216:                             ;   in Loop: Header=BB2_2916 Depth=2
	s_mov_b32 s7, -1
                                        ; implicit-def: $vgpr114
.LBB2_3217:                             ;   in Loop: Header=BB2_2916 Depth=2
	s_delay_alu instid0(SALU_CYCLE_1)
	s_and_b32 vcc_lo, exec_lo, s7
	s_cbranch_vccz .LBB2_3227
; %bb.3218:                             ;   in Loop: Header=BB2_2916 Depth=2
	v_and_b32_e32 v115, 0xff, v113
	s_mov_b32 s7, 0
	s_mov_b32 s26, exec_lo
                                        ; implicit-def: $sgpr25
	s_delay_alu instid0(VALU_DEP_1)
	v_cmpx_lt_i16_e32 0x7f, v115
	s_xor_b32 s26, exec_lo, s26
	s_cbranch_execnz .LBB2_3546
; %bb.3219:                             ;   in Loop: Header=BB2_2916 Depth=2
	s_or_saveexec_b32 s26, s26
	v_mov_b32_e32 v114, s25
	s_xor_b32 exec_lo, exec_lo, s26
	s_cbranch_execnz .LBB2_3549
.LBB2_3220:                             ;   in Loop: Header=BB2_2916 Depth=2
	s_or_b32 exec_lo, exec_lo, s26
	s_and_saveexec_b32 s25, s7
	s_cbranch_execz .LBB2_3222
.LBB2_3221:                             ;   in Loop: Header=BB2_2916 Depth=2
	v_bfe_u32 v114, v16, 16, 3
	v_bfe_u32 v117, v16, 19, 4
	s_delay_alu instid0(VALU_DEP_2) | instskip(NEXT) | instid1(VALU_DEP_2)
	v_clz_i32_u32_e32 v115, v114
	v_cmp_eq_u32_e32 vcc_lo, 0, v117
	s_delay_alu instid0(VALU_DEP_2) | instskip(NEXT) | instid1(VALU_DEP_1)
	v_min_u32_e32 v115, 32, v115
	v_subrev_nc_u32_e32 v116, 28, v115
	v_sub_nc_u32_e32 v115, 29, v115
	s_delay_alu instid0(VALU_DEP_1) | instskip(NEXT) | instid1(VALU_DEP_1)
	v_dual_cndmask_b32 v115, v117, v115 :: v_dual_lshlrev_b32 v116, v116, v113
	v_and_b32_e32 v116, 7, v116
	v_lshlrev_b32_e32 v113, 24, v113
	s_delay_alu instid0(VALU_DEP_3) | instskip(NEXT) | instid1(VALU_DEP_2)
	v_lshl_add_u32 v115, v115, 23, 0x3b800000
	v_dual_cndmask_b32 v114, v114, v116 :: v_dual_and_b32 v113, 0x80000000, v113
	s_delay_alu instid0(VALU_DEP_1) | instskip(NEXT) | instid1(VALU_DEP_1)
	v_lshlrev_b32_e32 v114, 20, v114
	v_or3_b32 v114, v113, v115, v114
.LBB2_3222:                             ;   in Loop: Header=BB2_2916 Depth=2
	s_or_b32 exec_lo, exec_lo, s25
	v_and_b32_e32 v115, 0xff, v112
	s_mov_b32 s7, 0
	s_mov_b32 s26, exec_lo
                                        ; implicit-def: $sgpr25
	s_delay_alu instid0(VALU_DEP_1)
	v_cmpx_lt_i16_e32 0x7f, v115
	s_xor_b32 s26, exec_lo, s26
	s_cbranch_execnz .LBB2_3550
; %bb.3223:                             ;   in Loop: Header=BB2_2916 Depth=2
	s_or_saveexec_b32 s26, s26
	v_mov_b32_e32 v113, s25
	s_xor_b32 exec_lo, exec_lo, s26
	s_cbranch_execnz .LBB2_3553
.LBB2_3224:                             ;   in Loop: Header=BB2_2916 Depth=2
	s_or_b32 exec_lo, exec_lo, s26
	s_and_saveexec_b32 s25, s7
	s_cbranch_execz .LBB2_3226
.LBB2_3225:                             ;   in Loop: Header=BB2_2916 Depth=2
	v_bfe_u32 v113, v12, 16, 3
	v_bfe_u32 v117, v12, 19, 4
	s_delay_alu instid0(VALU_DEP_2) | instskip(NEXT) | instid1(VALU_DEP_2)
	v_clz_i32_u32_e32 v115, v113
	v_cmp_eq_u32_e32 vcc_lo, 0, v117
	s_delay_alu instid0(VALU_DEP_2) | instskip(NEXT) | instid1(VALU_DEP_1)
	v_min_u32_e32 v115, 32, v115
	v_subrev_nc_u32_e32 v116, 28, v115
	v_sub_nc_u32_e32 v115, 29, v115
	s_delay_alu instid0(VALU_DEP_1) | instskip(SKIP_1) | instid1(VALU_DEP_2)
	v_dual_cndmask_b32 v115, v117, v115 :: v_dual_lshlrev_b32 v116, v116, v112
	v_lshlrev_b32_e32 v112, 24, v112
	v_and_b32_e32 v116, 7, v116
	s_delay_alu instid0(VALU_DEP_3) | instskip(NEXT) | instid1(VALU_DEP_3)
	v_lshl_add_u32 v115, v115, 23, 0x3b800000
	v_and_b32_e32 v112, 0x80000000, v112
	s_delay_alu instid0(VALU_DEP_3) | instskip(NEXT) | instid1(VALU_DEP_1)
	v_cndmask_b32_e32 v113, v113, v116, vcc_lo
	v_lshlrev_b32_e32 v113, 20, v113
	s_delay_alu instid0(VALU_DEP_1)
	v_or3_b32 v113, v112, v115, v113
.LBB2_3226:                             ;   in Loop: Header=BB2_2916 Depth=2
	s_or_b32 exec_lo, exec_lo, s25
	s_delay_alu instid0(VALU_DEP_1) | instskip(NEXT) | instid1(VALU_DEP_1)
	v_dual_max_f32 v112, v113, v113 :: v_dual_max_f32 v113, v114, v114
	v_min_f32_e32 v114, v113, v112
.LBB2_3227:                             ;   in Loop: Header=BB2_2916 Depth=2
	s_delay_alu instid0(VALU_DEP_1) | instskip(NEXT) | instid1(VALU_DEP_1)
	v_and_b32_e32 v112, 0x7f800000, v114
	v_cmp_ne_u32_e32 vcc_lo, 0x7f800000, v112
	v_mov_b32_e32 v112, 0x80
	s_and_saveexec_b32 s25, vcc_lo
	s_cbranch_execz .LBB2_3235
; %bb.3228:                             ;   in Loop: Header=BB2_2916 Depth=2
	v_mov_b32_e32 v112, 0
	s_mov_b32 s26, exec_lo
	v_cmpx_ne_u32_e32 0, v114
	s_cbranch_execz .LBB2_3234
; %bb.3229:                             ;   in Loop: Header=BB2_2916 Depth=2
	v_bfe_u32 v112, v114, 23, 8
	v_and_b32_e32 v113, 0x7fffff, v114
	s_delay_alu instid0(VALU_DEP_2) | instskip(SKIP_1) | instid1(VALU_DEP_3)
	v_sub_nc_u32_e32 v115, 0x78, v112
	v_cmp_gt_u32_e32 vcc_lo, 0x79, v112
	v_or_b32_e32 v116, 0x800000, v113
	s_delay_alu instid0(VALU_DEP_3) | instskip(SKIP_2) | instid1(VALU_DEP_3)
	v_cndmask_b32_e32 v115, 0, v115, vcc_lo
	v_cmp_eq_u32_e32 vcc_lo, 0, v112
	v_add_nc_u32_e32 v112, 0xffffff89, v112
	v_cndmask_b32_e64 v115, v115, 0x77, vcc_lo
	v_cndmask_b32_e32 v113, v116, v113, vcc_lo
	s_delay_alu instid0(VALU_DEP_3) | instskip(NEXT) | instid1(VALU_DEP_3)
	v_cndmask_b32_e64 v112, v112, 0xffffff8a, vcc_lo
	v_lshl_add_u32 v116, 0x100000, v115, -1
	s_delay_alu instid0(VALU_DEP_3) | instskip(SKIP_1) | instid1(VALU_DEP_4)
	v_lshrrev_b32_e32 v117, v115, v113
	v_lshlrev_b32_e64 v119, v115, 0x80000
	v_add_nc_u32_e32 v115, v115, v112
	s_delay_alu instid0(VALU_DEP_4) | instskip(NEXT) | instid1(VALU_DEP_4)
	v_and_b32_e32 v113, v116, v113
	v_bfe_u32 v118, v117, 20, 1
	s_delay_alu instid0(VALU_DEP_2) | instskip(NEXT) | instid1(VALU_DEP_2)
	v_cmp_eq_u32_e64 s7, v113, v119
	v_add_nc_u32_e32 v116, -1, v118
	s_delay_alu instid0(VALU_DEP_1) | instskip(SKIP_2) | instid1(VALU_DEP_2)
	v_cndmask_b32_e64 v113, 0, v116, s7
	v_lshrrev_b32_e32 v116, 23, v117
	s_mov_b32 s7, exec_lo
	v_add_nc_u32_e32 v113, v113, v117
	s_delay_alu instid0(VALU_DEP_2) | instskip(NEXT) | instid1(VALU_DEP_2)
	v_xor_b32_e32 v116, 1, v116
	v_and_b32_e32 v112, 0xfffff, v113
	s_delay_alu instid0(VALU_DEP_1) | instskip(NEXT) | instid1(VALU_DEP_3)
	v_add_nc_u32_e32 v113, v112, v117
                                        ; implicit-def: $vgpr112
	v_cmpx_ne_u32_e64 v115, v116
	s_xor_b32 s7, exec_lo, s7
; %bb.3230:                             ;   in Loop: Header=BB2_2916 Depth=2
	s_delay_alu instid0(VALU_DEP_2) | instskip(SKIP_2) | instid1(VALU_DEP_2)
	v_cmp_lt_u32_e32 vcc_lo, 0xffffff, v113
	v_sub_nc_u32_e32 v112, v115, v116
	v_cndmask_b32_e64 v115, 0, 1, vcc_lo
	v_add_co_ci_u32_e32 v112, vcc_lo, 0, v112, vcc_lo
	s_delay_alu instid0(VALU_DEP_2)
	v_lshrrev_b32_e32 v113, v115, v113
; %bb.3231:                             ;   in Loop: Header=BB2_2916 Depth=2
	s_and_not1_saveexec_b32 s7, s7
; %bb.3232:                             ;   in Loop: Header=BB2_2916 Depth=2
	s_delay_alu instid0(VALU_DEP_1)
	v_bfe_u32 v112, v113, 23, 1
; %bb.3233:                             ;   in Loop: Header=BB2_2916 Depth=2
	s_or_b32 exec_lo, exec_lo, s7
	v_lshrrev_b32_e32 v113, 20, v113
	s_delay_alu instid0(VALU_DEP_2) | instskip(SKIP_2) | instid1(VALU_DEP_2)
	v_cmp_gt_i32_e32 vcc_lo, 16, v112
	v_lshrrev_b32_e32 v114, 24, v114
	v_min_i32_e32 v115, 15, v112
	v_dual_cndmask_b32 v113, 7, v113 :: v_dual_and_b32 v114, 0x80, v114
	s_delay_alu instid0(VALU_DEP_1) | instskip(SKIP_1) | instid1(VALU_DEP_2)
	v_or_b32_e32 v112, v112, v113
	v_and_b32_e32 v116, 7, v113
	v_cmp_ne_u32_e32 vcc_lo, 0, v112
	v_lshlrev_b32_e32 v115, 3, v115
	s_delay_alu instid0(VALU_DEP_1) | instskip(NEXT) | instid1(VALU_DEP_1)
	v_or3_b32 v113, v115, v114, v116
	v_cndmask_b32_e32 v112, 0, v113, vcc_lo
.LBB2_3234:                             ;   in Loop: Header=BB2_2916 Depth=2
	s_or_b32 exec_lo, exec_lo, s26
.LBB2_3235:                             ;   in Loop: Header=BB2_2916 Depth=2
	s_delay_alu instid0(SALU_CYCLE_1)
	s_or_b32 exec_lo, exec_lo, s25
	v_lshrrev_b32_e32 v114, 24, v16
	v_lshrrev_b32_e32 v113, 24, v12
	s_and_b32 vcc_lo, exec_lo, s24
	s_cbranch_vccz .LBB2_3245
; %bb.3236:                             ;   in Loop: Header=BB2_2916 Depth=2
	s_mov_b32 s7, 0
	s_mov_b32 s26, exec_lo
                                        ; implicit-def: $sgpr25
	v_cmpx_lt_i16_e32 0x7f, v114
	s_xor_b32 s26, exec_lo, s26
	s_cbranch_execnz .LBB2_3554
; %bb.3237:                             ;   in Loop: Header=BB2_2916 Depth=2
	s_or_saveexec_b32 s26, s26
	v_mov_b32_e32 v115, s25
	s_xor_b32 exec_lo, exec_lo, s26
	s_cbranch_execnz .LBB2_3557
.LBB2_3238:                             ;   in Loop: Header=BB2_2916 Depth=2
	s_or_b32 exec_lo, exec_lo, s26
	s_and_saveexec_b32 s25, s7
	s_cbranch_execz .LBB2_3240
.LBB2_3239:                             ;   in Loop: Header=BB2_2916 Depth=2
	v_bfe_u32 v115, v16, 24, 3
	v_bfe_u32 v118, v16, 27, 4
	s_delay_alu instid0(VALU_DEP_2) | instskip(NEXT) | instid1(VALU_DEP_2)
	v_clz_i32_u32_e32 v116, v115
	v_cmp_eq_u32_e32 vcc_lo, 0, v118
	s_delay_alu instid0(VALU_DEP_2) | instskip(NEXT) | instid1(VALU_DEP_1)
	v_min_u32_e32 v116, 32, v116
	v_subrev_nc_u32_e32 v117, 28, v116
	v_sub_nc_u32_e32 v116, 29, v116
	s_delay_alu instid0(VALU_DEP_1) | instskip(NEXT) | instid1(VALU_DEP_1)
	v_dual_cndmask_b32 v116, v118, v116 :: v_dual_lshlrev_b32 v117, v117, v114
	v_and_b32_e32 v117, 7, v117
	s_delay_alu instid0(VALU_DEP_2) | instskip(NEXT) | instid1(VALU_DEP_2)
	v_lshl_add_u32 v116, v116, 23, 0x3b800000
	v_cndmask_b32_e32 v115, v115, v117, vcc_lo
	v_and_b32_e32 v117, 0x80000000, v16
	s_delay_alu instid0(VALU_DEP_2) | instskip(NEXT) | instid1(VALU_DEP_1)
	v_lshlrev_b32_e32 v115, 20, v115
	v_or3_b32 v115, v117, v116, v115
.LBB2_3240:                             ;   in Loop: Header=BB2_2916 Depth=2
	s_or_b32 exec_lo, exec_lo, s25
	s_mov_b32 s7, 0
	s_mov_b32 s26, exec_lo
                                        ; implicit-def: $sgpr25
	v_cmpx_lt_i16_e32 0x7f, v113
	s_xor_b32 s26, exec_lo, s26
	s_cbranch_execnz .LBB2_3558
; %bb.3241:                             ;   in Loop: Header=BB2_2916 Depth=2
	s_or_saveexec_b32 s26, s26
	v_mov_b32_e32 v116, s25
	s_xor_b32 exec_lo, exec_lo, s26
	s_cbranch_execnz .LBB2_3561
.LBB2_3242:                             ;   in Loop: Header=BB2_2916 Depth=2
	s_or_b32 exec_lo, exec_lo, s26
	s_and_saveexec_b32 s25, s7
	s_cbranch_execz .LBB2_3244
.LBB2_3243:                             ;   in Loop: Header=BB2_2916 Depth=2
	v_bfe_u32 v116, v12, 24, 3
	v_bfe_u32 v119, v12, 27, 4
	s_delay_alu instid0(VALU_DEP_2) | instskip(NEXT) | instid1(VALU_DEP_2)
	v_clz_i32_u32_e32 v117, v116
	v_cmp_eq_u32_e32 vcc_lo, 0, v119
	s_delay_alu instid0(VALU_DEP_2) | instskip(NEXT) | instid1(VALU_DEP_1)
	v_min_u32_e32 v117, 32, v117
	v_subrev_nc_u32_e32 v118, 28, v117
	v_sub_nc_u32_e32 v117, 29, v117
	s_delay_alu instid0(VALU_DEP_2) | instskip(NEXT) | instid1(VALU_DEP_1)
	v_lshlrev_b32_e32 v118, v118, v113
	v_dual_cndmask_b32 v117, v119, v117 :: v_dual_and_b32 v118, 7, v118
	s_delay_alu instid0(VALU_DEP_1) | instskip(NEXT) | instid1(VALU_DEP_2)
	v_lshl_add_u32 v117, v117, 23, 0x3b800000
	v_cndmask_b32_e32 v116, v116, v118, vcc_lo
	v_and_b32_e32 v118, 0x80000000, v12
	s_delay_alu instid0(VALU_DEP_2) | instskip(NEXT) | instid1(VALU_DEP_1)
	v_lshlrev_b32_e32 v116, 20, v116
	v_or3_b32 v116, v118, v117, v116
.LBB2_3244:                             ;   in Loop: Header=BB2_2916 Depth=2
	s_or_b32 exec_lo, exec_lo, s25
	s_delay_alu instid0(VALU_DEP_1) | instskip(SKIP_1) | instid1(VALU_DEP_1)
	v_dual_max_f32 v116, v116, v116 :: v_dual_max_f32 v115, v115, v115
	s_mov_b32 s7, 0
	v_max_f32_e32 v115, v115, v116
	s_branch .LBB2_3246
.LBB2_3245:                             ;   in Loop: Header=BB2_2916 Depth=2
	s_mov_b32 s7, -1
                                        ; implicit-def: $vgpr115
.LBB2_3246:                             ;   in Loop: Header=BB2_2916 Depth=2
	s_delay_alu instid0(SALU_CYCLE_1)
	s_and_b32 vcc_lo, exec_lo, s7
	s_cbranch_vccz .LBB2_3256
; %bb.3247:                             ;   in Loop: Header=BB2_2916 Depth=2
	s_mov_b32 s7, 0
	s_mov_b32 s26, exec_lo
                                        ; implicit-def: $sgpr25
	v_cmpx_lt_i16_e32 0x7f, v114
	s_xor_b32 s26, exec_lo, s26
	s_cbranch_execnz .LBB2_3562
; %bb.3248:                             ;   in Loop: Header=BB2_2916 Depth=2
	s_or_saveexec_b32 s26, s26
	v_mov_b32_e32 v115, s25
	s_xor_b32 exec_lo, exec_lo, s26
	s_cbranch_execnz .LBB2_3565
.LBB2_3249:                             ;   in Loop: Header=BB2_2916 Depth=2
	s_or_b32 exec_lo, exec_lo, s26
	s_and_saveexec_b32 s25, s7
	s_cbranch_execz .LBB2_3251
.LBB2_3250:                             ;   in Loop: Header=BB2_2916 Depth=2
	v_bfe_u32 v115, v16, 24, 3
	s_delay_alu instid0(VALU_DEP_1) | instskip(NEXT) | instid1(VALU_DEP_1)
	v_clz_i32_u32_e32 v116, v115
	v_min_u32_e32 v116, 32, v116
	s_delay_alu instid0(VALU_DEP_1) | instskip(SKIP_1) | instid1(VALU_DEP_2)
	v_subrev_nc_u32_e32 v117, 28, v116
	v_sub_nc_u32_e32 v116, 29, v116
	v_lshlrev_b32_e32 v114, v117, v114
	v_bfe_u32 v117, v16, 27, 4
	v_and_b32_e32 v16, 0x80000000, v16
	s_delay_alu instid0(VALU_DEP_3) | instskip(NEXT) | instid1(VALU_DEP_3)
	v_and_b32_e32 v114, 7, v114
	v_cmp_eq_u32_e32 vcc_lo, 0, v117
	v_cndmask_b32_e32 v116, v117, v116, vcc_lo
	s_delay_alu instid0(VALU_DEP_3) | instskip(NEXT) | instid1(VALU_DEP_2)
	v_cndmask_b32_e32 v114, v115, v114, vcc_lo
	v_lshl_add_u32 v115, v116, 23, 0x3b800000
	s_delay_alu instid0(VALU_DEP_2) | instskip(NEXT) | instid1(VALU_DEP_1)
	v_lshlrev_b32_e32 v114, 20, v114
	v_or3_b32 v115, v16, v115, v114
.LBB2_3251:                             ;   in Loop: Header=BB2_2916 Depth=2
	s_or_b32 exec_lo, exec_lo, s25
	s_mov_b32 s7, 0
	s_mov_b32 s26, exec_lo
                                        ; implicit-def: $sgpr25
	v_cmpx_lt_i16_e32 0x7f, v113
	s_xor_b32 s26, exec_lo, s26
	s_cbranch_execnz .LBB2_3566
; %bb.3252:                             ;   in Loop: Header=BB2_2916 Depth=2
	s_or_saveexec_b32 s26, s26
	v_mov_b32_e32 v16, s25
	s_xor_b32 exec_lo, exec_lo, s26
	s_cbranch_execnz .LBB2_3569
.LBB2_3253:                             ;   in Loop: Header=BB2_2916 Depth=2
	s_or_b32 exec_lo, exec_lo, s26
	s_and_saveexec_b32 s25, s7
	s_cbranch_execz .LBB2_3255
.LBB2_3254:                             ;   in Loop: Header=BB2_2916 Depth=2
	v_bfe_u32 v16, v12, 24, 3
	s_delay_alu instid0(VALU_DEP_1) | instskip(NEXT) | instid1(VALU_DEP_1)
	v_clz_i32_u32_e32 v114, v16
	v_min_u32_e32 v114, 32, v114
	s_delay_alu instid0(VALU_DEP_1) | instskip(SKIP_1) | instid1(VALU_DEP_2)
	v_subrev_nc_u32_e32 v116, 28, v114
	v_sub_nc_u32_e32 v114, 29, v114
	v_lshlrev_b32_e32 v113, v116, v113
	v_bfe_u32 v116, v12, 27, 4
	v_and_b32_e32 v12, 0x80000000, v12
	s_delay_alu instid0(VALU_DEP_2) | instskip(NEXT) | instid1(VALU_DEP_4)
	v_cmp_eq_u32_e32 vcc_lo, 0, v116
	v_dual_cndmask_b32 v114, v116, v114 :: v_dual_and_b32 v113, 7, v113
	s_delay_alu instid0(VALU_DEP_1) | instskip(NEXT) | instid1(VALU_DEP_2)
	v_cndmask_b32_e32 v16, v16, v113, vcc_lo
	v_lshl_add_u32 v113, v114, 23, 0x3b800000
	s_delay_alu instid0(VALU_DEP_2) | instskip(NEXT) | instid1(VALU_DEP_1)
	v_lshlrev_b32_e32 v16, 20, v16
	v_or3_b32 v16, v12, v113, v16
.LBB2_3255:                             ;   in Loop: Header=BB2_2916 Depth=2
	s_or_b32 exec_lo, exec_lo, s25
	s_delay_alu instid0(VALU_DEP_1) | instskip(SKIP_1) | instid1(VALU_DEP_1)
	v_max_f32_e32 v12, v16, v16
	v_max_f32_e32 v16, v115, v115
	v_min_f32_e32 v115, v16, v12
.LBB2_3256:                             ;   in Loop: Header=BB2_2916 Depth=2
	s_delay_alu instid0(VALU_DEP_1) | instskip(NEXT) | instid1(VALU_DEP_1)
	v_and_b32_e32 v12, 0x7f800000, v115
	v_cmp_ne_u32_e32 vcc_lo, 0x7f800000, v12
	v_mov_b32_e32 v12, 0x80
	s_and_saveexec_b32 s25, vcc_lo
	s_cbranch_execz .LBB2_3264
; %bb.3257:                             ;   in Loop: Header=BB2_2916 Depth=2
	v_mov_b32_e32 v12, 0
	s_mov_b32 s26, exec_lo
	v_cmpx_ne_u32_e32 0, v115
	s_cbranch_execz .LBB2_3263
; %bb.3258:                             ;   in Loop: Header=BB2_2916 Depth=2
	v_bfe_u32 v12, v115, 23, 8
	s_delay_alu instid0(VALU_DEP_1) | instskip(SKIP_1) | instid1(VALU_DEP_2)
	v_sub_nc_u32_e32 v113, 0x78, v12
	v_cmp_gt_u32_e32 vcc_lo, 0x79, v12
	v_dual_cndmask_b32 v113, 0, v113 :: v_dual_and_b32 v16, 0x7fffff, v115
	s_delay_alu instid0(VALU_DEP_1) | instskip(SKIP_2) | instid1(VALU_DEP_4)
	v_or_b32_e32 v114, 0x800000, v16
	v_cmp_eq_u32_e32 vcc_lo, 0, v12
	v_add_nc_u32_e32 v12, 0xffffff89, v12
	v_cndmask_b32_e64 v113, v113, 0x77, vcc_lo
	s_delay_alu instid0(VALU_DEP_4) | instskip(NEXT) | instid1(VALU_DEP_3)
	v_cndmask_b32_e32 v16, v114, v16, vcc_lo
	v_cndmask_b32_e64 v12, v12, 0xffffff8a, vcc_lo
	s_delay_alu instid0(VALU_DEP_3) | instskip(NEXT) | instid1(VALU_DEP_3)
	v_lshl_add_u32 v114, 0x100000, v113, -1
	v_lshrrev_b32_e32 v116, v113, v16
	v_lshlrev_b32_e64 v118, v113, 0x80000
	s_delay_alu instid0(VALU_DEP_4) | instskip(NEXT) | instid1(VALU_DEP_4)
	v_add_nc_u32_e32 v113, v113, v12
	v_and_b32_e32 v16, v114, v16
	s_delay_alu instid0(VALU_DEP_4) | instskip(NEXT) | instid1(VALU_DEP_2)
	v_bfe_u32 v117, v116, 20, 1
	v_cmp_eq_u32_e64 s7, v16, v118
	s_delay_alu instid0(VALU_DEP_2) | instskip(NEXT) | instid1(VALU_DEP_1)
	v_add_nc_u32_e32 v114, -1, v117
	v_cndmask_b32_e64 v16, 0, v114, s7
	v_lshrrev_b32_e32 v114, 23, v116
	s_mov_b32 s7, exec_lo
	s_delay_alu instid0(VALU_DEP_2) | instskip(NEXT) | instid1(VALU_DEP_2)
	v_add_nc_u32_e32 v16, v16, v116
	v_xor_b32_e32 v114, 1, v114
	s_delay_alu instid0(VALU_DEP_2) | instskip(NEXT) | instid1(VALU_DEP_1)
	v_and_b32_e32 v12, 0xfffff, v16
	v_add_nc_u32_e32 v16, v12, v116
                                        ; implicit-def: $vgpr12
	s_delay_alu instid0(VALU_DEP_3)
	v_cmpx_ne_u32_e64 v113, v114
	s_xor_b32 s7, exec_lo, s7
; %bb.3259:                             ;   in Loop: Header=BB2_2916 Depth=2
	s_delay_alu instid0(VALU_DEP_2) | instskip(SKIP_2) | instid1(VALU_DEP_2)
	v_cmp_lt_u32_e32 vcc_lo, 0xffffff, v16
	v_sub_nc_u32_e32 v12, v113, v114
	v_cndmask_b32_e64 v113, 0, 1, vcc_lo
	v_add_co_ci_u32_e32 v12, vcc_lo, 0, v12, vcc_lo
	s_delay_alu instid0(VALU_DEP_2)
	v_lshrrev_b32_e32 v16, v113, v16
; %bb.3260:                             ;   in Loop: Header=BB2_2916 Depth=2
	s_and_not1_saveexec_b32 s7, s7
; %bb.3261:                             ;   in Loop: Header=BB2_2916 Depth=2
	s_delay_alu instid0(VALU_DEP_1)
	v_bfe_u32 v12, v16, 23, 1
; %bb.3262:                             ;   in Loop: Header=BB2_2916 Depth=2
	s_or_b32 exec_lo, exec_lo, s7
	v_lshrrev_b32_e32 v16, 20, v16
	s_delay_alu instid0(VALU_DEP_2) | instskip(SKIP_2) | instid1(VALU_DEP_2)
	v_cmp_gt_i32_e32 vcc_lo, 16, v12
	v_lshrrev_b32_e32 v113, 24, v115
	v_min_i32_e32 v114, 15, v12
	v_dual_cndmask_b32 v16, 7, v16 :: v_dual_and_b32 v113, 0x80, v113
	s_delay_alu instid0(VALU_DEP_2) | instskip(NEXT) | instid1(VALU_DEP_2)
	v_lshlrev_b32_e32 v114, 3, v114
	v_and_b32_e32 v115, 7, v16
	v_or_b32_e32 v12, v12, v16
	s_delay_alu instid0(VALU_DEP_2) | instskip(NEXT) | instid1(VALU_DEP_2)
	v_or3_b32 v16, v114, v113, v115
	v_cmp_ne_u32_e32 vcc_lo, 0, v12
	s_delay_alu instid0(VALU_DEP_2)
	v_cndmask_b32_e32 v12, 0, v16, vcc_lo
.LBB2_3263:                             ;   in Loop: Header=BB2_2916 Depth=2
	s_or_b32 exec_lo, exec_lo, s26
.LBB2_3264:                             ;   in Loop: Header=BB2_2916 Depth=2
	s_delay_alu instid0(SALU_CYCLE_1) | instskip(NEXT) | instid1(SALU_CYCLE_1)
	s_or_b32 exec_lo, exec_lo, s25
	s_and_b32 vcc_lo, exec_lo, s24
	s_cbranch_vccz .LBB2_3274
; %bb.3265:                             ;   in Loop: Header=BB2_2916 Depth=2
	v_and_b32_e32 v113, 0xff, v17
	s_mov_b32 s7, 0
	s_mov_b32 s26, exec_lo
                                        ; implicit-def: $sgpr25
	s_delay_alu instid0(VALU_DEP_1)
	v_cmpx_lt_i16_e32 0x7f, v113
	s_xor_b32 s26, exec_lo, s26
	s_cbranch_execnz .LBB2_3570
; %bb.3266:                             ;   in Loop: Header=BB2_2916 Depth=2
	s_or_saveexec_b32 s26, s26
	v_mov_b32_e32 v16, s25
	s_xor_b32 exec_lo, exec_lo, s26
	s_cbranch_execnz .LBB2_3573
.LBB2_3267:                             ;   in Loop: Header=BB2_2916 Depth=2
	s_or_b32 exec_lo, exec_lo, s26
	s_and_saveexec_b32 s25, s7
	s_cbranch_execz .LBB2_3269
.LBB2_3268:                             ;   in Loop: Header=BB2_2916 Depth=2
	v_and_b32_e32 v16, 7, v17
	v_bfe_u32 v115, v17, 3, 4
	v_lshlrev_b32_e32 v116, 24, v17
	s_delay_alu instid0(VALU_DEP_3) | instskip(NEXT) | instid1(VALU_DEP_3)
	v_clz_i32_u32_e32 v113, v16
	v_cmp_eq_u32_e32 vcc_lo, 0, v115
	s_delay_alu instid0(VALU_DEP_2) | instskip(NEXT) | instid1(VALU_DEP_1)
	v_min_u32_e32 v113, 32, v113
	v_subrev_nc_u32_e32 v114, 28, v113
	v_sub_nc_u32_e32 v113, 29, v113
	s_delay_alu instid0(VALU_DEP_2) | instskip(NEXT) | instid1(VALU_DEP_1)
	v_lshlrev_b32_e32 v114, v114, v17
	v_dual_cndmask_b32 v113, v115, v113 :: v_dual_and_b32 v114, 7, v114
	s_delay_alu instid0(VALU_DEP_1) | instskip(NEXT) | instid1(VALU_DEP_2)
	v_lshl_add_u32 v113, v113, 23, 0x3b800000
	v_cndmask_b32_e32 v16, v16, v114, vcc_lo
	v_and_b32_e32 v114, 0x80000000, v116
	s_delay_alu instid0(VALU_DEP_2) | instskip(NEXT) | instid1(VALU_DEP_1)
	v_lshlrev_b32_e32 v16, 20, v16
	v_or3_b32 v16, v114, v113, v16
.LBB2_3269:                             ;   in Loop: Header=BB2_2916 Depth=2
	s_or_b32 exec_lo, exec_lo, s25
	v_and_b32_e32 v114, 0xff, v13
	s_mov_b32 s7, 0
	s_mov_b32 s26, exec_lo
                                        ; implicit-def: $sgpr25
	s_delay_alu instid0(VALU_DEP_1)
	v_cmpx_lt_i16_e32 0x7f, v114
	s_xor_b32 s26, exec_lo, s26
	s_cbranch_execnz .LBB2_3574
; %bb.3270:                             ;   in Loop: Header=BB2_2916 Depth=2
	s_or_saveexec_b32 s26, s26
	v_mov_b32_e32 v113, s25
	s_xor_b32 exec_lo, exec_lo, s26
	s_cbranch_execnz .LBB2_3577
.LBB2_3271:                             ;   in Loop: Header=BB2_2916 Depth=2
	s_or_b32 exec_lo, exec_lo, s26
	s_and_saveexec_b32 s25, s7
	s_cbranch_execz .LBB2_3273
.LBB2_3272:                             ;   in Loop: Header=BB2_2916 Depth=2
	v_bfe_u32 v116, v13, 3, 4
	v_lshlrev_b32_e32 v117, 24, v13
	s_delay_alu instid0(VALU_DEP_2) | instskip(SKIP_1) | instid1(VALU_DEP_1)
	v_cmp_eq_u32_e32 vcc_lo, 0, v116
	v_and_b32_e32 v113, 7, v13
	v_clz_i32_u32_e32 v114, v113
	s_delay_alu instid0(VALU_DEP_1) | instskip(NEXT) | instid1(VALU_DEP_1)
	v_min_u32_e32 v114, 32, v114
	v_subrev_nc_u32_e32 v115, 28, v114
	v_sub_nc_u32_e32 v114, 29, v114
	s_delay_alu instid0(VALU_DEP_1) | instskip(NEXT) | instid1(VALU_DEP_1)
	v_dual_cndmask_b32 v114, v116, v114 :: v_dual_lshlrev_b32 v115, v115, v13
	v_and_b32_e32 v115, 7, v115
	s_delay_alu instid0(VALU_DEP_2) | instskip(NEXT) | instid1(VALU_DEP_2)
	v_lshl_add_u32 v114, v114, 23, 0x3b800000
	v_cndmask_b32_e32 v113, v113, v115, vcc_lo
	v_and_b32_e32 v115, 0x80000000, v117
	s_delay_alu instid0(VALU_DEP_2) | instskip(NEXT) | instid1(VALU_DEP_1)
	v_lshlrev_b32_e32 v113, 20, v113
	v_or3_b32 v113, v115, v114, v113
.LBB2_3273:                             ;   in Loop: Header=BB2_2916 Depth=2
	s_or_b32 exec_lo, exec_lo, s25
	s_delay_alu instid0(VALU_DEP_1) | instskip(SKIP_1) | instid1(VALU_DEP_1)
	v_dual_max_f32 v113, v113, v113 :: v_dual_max_f32 v16, v16, v16
	s_mov_b32 s7, 0
	v_max_f32_e32 v113, v16, v113
	s_branch .LBB2_3275
.LBB2_3274:                             ;   in Loop: Header=BB2_2916 Depth=2
	s_mov_b32 s7, -1
                                        ; implicit-def: $vgpr113
.LBB2_3275:                             ;   in Loop: Header=BB2_2916 Depth=2
	s_delay_alu instid0(SALU_CYCLE_1)
	s_and_b32 vcc_lo, exec_lo, s7
	s_cbranch_vccz .LBB2_3285
; %bb.3276:                             ;   in Loop: Header=BB2_2916 Depth=2
	v_and_b32_e32 v113, 0xff, v17
	s_mov_b32 s7, 0
	s_mov_b32 s26, exec_lo
                                        ; implicit-def: $sgpr25
	s_delay_alu instid0(VALU_DEP_1)
	v_cmpx_lt_i16_e32 0x7f, v113
	s_xor_b32 s26, exec_lo, s26
	s_cbranch_execnz .LBB2_3578
; %bb.3277:                             ;   in Loop: Header=BB2_2916 Depth=2
	s_or_saveexec_b32 s26, s26
	v_mov_b32_e32 v16, s25
	s_xor_b32 exec_lo, exec_lo, s26
	s_cbranch_execnz .LBB2_3581
.LBB2_3278:                             ;   in Loop: Header=BB2_2916 Depth=2
	s_or_b32 exec_lo, exec_lo, s26
	s_and_saveexec_b32 s25, s7
	s_cbranch_execz .LBB2_3280
.LBB2_3279:                             ;   in Loop: Header=BB2_2916 Depth=2
	v_and_b32_e32 v16, 7, v17
	v_bfe_u32 v115, v17, 3, 4
	v_lshlrev_b32_e32 v116, 24, v17
	s_delay_alu instid0(VALU_DEP_3) | instskip(NEXT) | instid1(VALU_DEP_3)
	v_clz_i32_u32_e32 v113, v16
	v_cmp_eq_u32_e32 vcc_lo, 0, v115
	s_delay_alu instid0(VALU_DEP_2) | instskip(NEXT) | instid1(VALU_DEP_1)
	v_min_u32_e32 v113, 32, v113
	v_subrev_nc_u32_e32 v114, 28, v113
	v_sub_nc_u32_e32 v113, 29, v113
	s_delay_alu instid0(VALU_DEP_2) | instskip(NEXT) | instid1(VALU_DEP_1)
	v_lshlrev_b32_e32 v114, v114, v17
	v_dual_cndmask_b32 v113, v115, v113 :: v_dual_and_b32 v114, 7, v114
	s_delay_alu instid0(VALU_DEP_1) | instskip(NEXT) | instid1(VALU_DEP_2)
	v_lshl_add_u32 v113, v113, 23, 0x3b800000
	v_cndmask_b32_e32 v16, v16, v114, vcc_lo
	v_and_b32_e32 v114, 0x80000000, v116
	s_delay_alu instid0(VALU_DEP_2) | instskip(NEXT) | instid1(VALU_DEP_1)
	v_lshlrev_b32_e32 v16, 20, v16
	v_or3_b32 v16, v114, v113, v16
.LBB2_3280:                             ;   in Loop: Header=BB2_2916 Depth=2
	s_or_b32 exec_lo, exec_lo, s25
	v_and_b32_e32 v114, 0xff, v13
	s_mov_b32 s7, 0
	s_mov_b32 s26, exec_lo
                                        ; implicit-def: $sgpr25
	s_delay_alu instid0(VALU_DEP_1)
	v_cmpx_lt_i16_e32 0x7f, v114
	s_xor_b32 s26, exec_lo, s26
	s_cbranch_execnz .LBB2_3582
; %bb.3281:                             ;   in Loop: Header=BB2_2916 Depth=2
	s_or_saveexec_b32 s26, s26
	v_mov_b32_e32 v113, s25
	s_xor_b32 exec_lo, exec_lo, s26
	s_cbranch_execnz .LBB2_3585
.LBB2_3282:                             ;   in Loop: Header=BB2_2916 Depth=2
	s_or_b32 exec_lo, exec_lo, s26
	s_and_saveexec_b32 s25, s7
	s_cbranch_execz .LBB2_3284
.LBB2_3283:                             ;   in Loop: Header=BB2_2916 Depth=2
	v_bfe_u32 v116, v13, 3, 4
	v_lshlrev_b32_e32 v117, 24, v13
	s_delay_alu instid0(VALU_DEP_2) | instskip(SKIP_1) | instid1(VALU_DEP_1)
	v_cmp_eq_u32_e32 vcc_lo, 0, v116
	v_and_b32_e32 v113, 7, v13
	v_clz_i32_u32_e32 v114, v113
	s_delay_alu instid0(VALU_DEP_1) | instskip(NEXT) | instid1(VALU_DEP_1)
	v_min_u32_e32 v114, 32, v114
	v_subrev_nc_u32_e32 v115, 28, v114
	v_sub_nc_u32_e32 v114, 29, v114
	s_delay_alu instid0(VALU_DEP_1) | instskip(NEXT) | instid1(VALU_DEP_1)
	v_dual_cndmask_b32 v114, v116, v114 :: v_dual_lshlrev_b32 v115, v115, v13
	v_and_b32_e32 v115, 7, v115
	s_delay_alu instid0(VALU_DEP_2) | instskip(NEXT) | instid1(VALU_DEP_2)
	v_lshl_add_u32 v114, v114, 23, 0x3b800000
	v_cndmask_b32_e32 v113, v113, v115, vcc_lo
	v_and_b32_e32 v115, 0x80000000, v117
	s_delay_alu instid0(VALU_DEP_2) | instskip(NEXT) | instid1(VALU_DEP_1)
	v_lshlrev_b32_e32 v113, 20, v113
	v_or3_b32 v113, v115, v114, v113
.LBB2_3284:                             ;   in Loop: Header=BB2_2916 Depth=2
	s_or_b32 exec_lo, exec_lo, s25
	s_delay_alu instid0(VALU_DEP_1) | instskip(NEXT) | instid1(VALU_DEP_1)
	v_dual_max_f32 v113, v113, v113 :: v_dual_max_f32 v16, v16, v16
	v_min_f32_e32 v113, v16, v113
.LBB2_3285:                             ;   in Loop: Header=BB2_2916 Depth=2
	s_delay_alu instid0(VALU_DEP_1) | instskip(NEXT) | instid1(VALU_DEP_1)
	v_and_b32_e32 v16, 0x7f800000, v113
	v_cmp_ne_u32_e32 vcc_lo, 0x7f800000, v16
	v_mov_b32_e32 v16, 0x80
	s_and_saveexec_b32 s25, vcc_lo
	s_cbranch_execz .LBB2_3293
; %bb.3286:                             ;   in Loop: Header=BB2_2916 Depth=2
	v_mov_b32_e32 v16, 0
	s_mov_b32 s26, exec_lo
	v_cmpx_ne_u32_e32 0, v113
	s_cbranch_execz .LBB2_3292
; %bb.3287:                             ;   in Loop: Header=BB2_2916 Depth=2
	v_bfe_u32 v16, v113, 23, 8
	s_delay_alu instid0(VALU_DEP_1) | instskip(SKIP_1) | instid1(VALU_DEP_2)
	v_sub_nc_u32_e32 v115, 0x78, v16
	v_cmp_gt_u32_e32 vcc_lo, 0x79, v16
	v_dual_cndmask_b32 v115, 0, v115 :: v_dual_and_b32 v114, 0x7fffff, v113
	s_delay_alu instid0(VALU_DEP_1) | instskip(SKIP_2) | instid1(VALU_DEP_4)
	v_or_b32_e32 v116, 0x800000, v114
	v_cmp_eq_u32_e32 vcc_lo, 0, v16
	v_add_nc_u32_e32 v16, 0xffffff89, v16
	v_cndmask_b32_e64 v115, v115, 0x77, vcc_lo
	s_delay_alu instid0(VALU_DEP_2) | instskip(SKIP_1) | instid1(VALU_DEP_3)
	v_cndmask_b32_e64 v16, v16, 0xffffff8a, vcc_lo
	v_cndmask_b32_e32 v114, v116, v114, vcc_lo
	v_lshl_add_u32 v116, 0x100000, v115, -1
	v_lshlrev_b32_e64 v119, v115, 0x80000
	s_delay_alu instid0(VALU_DEP_3) | instskip(SKIP_1) | instid1(VALU_DEP_4)
	v_lshrrev_b32_e32 v117, v115, v114
	v_add_nc_u32_e32 v115, v115, v16
	v_and_b32_e32 v114, v116, v114
	s_delay_alu instid0(VALU_DEP_3) | instskip(NEXT) | instid1(VALU_DEP_2)
	v_bfe_u32 v118, v117, 20, 1
	v_cmp_eq_u32_e64 s7, v114, v119
	s_delay_alu instid0(VALU_DEP_2) | instskip(NEXT) | instid1(VALU_DEP_1)
	v_add_nc_u32_e32 v116, -1, v118
	v_cndmask_b32_e64 v114, 0, v116, s7
	v_lshrrev_b32_e32 v116, 23, v117
	s_mov_b32 s7, exec_lo
	s_delay_alu instid0(VALU_DEP_2) | instskip(NEXT) | instid1(VALU_DEP_2)
	v_add_nc_u32_e32 v114, v114, v117
	v_xor_b32_e32 v116, 1, v116
	s_delay_alu instid0(VALU_DEP_2) | instskip(NEXT) | instid1(VALU_DEP_1)
	v_and_b32_e32 v16, 0xfffff, v114
	v_add_nc_u32_e32 v114, v16, v117
                                        ; implicit-def: $vgpr16
	s_delay_alu instid0(VALU_DEP_3)
	v_cmpx_ne_u32_e64 v115, v116
	s_xor_b32 s7, exec_lo, s7
; %bb.3288:                             ;   in Loop: Header=BB2_2916 Depth=2
	s_delay_alu instid0(VALU_DEP_2) | instskip(SKIP_2) | instid1(VALU_DEP_2)
	v_cmp_lt_u32_e32 vcc_lo, 0xffffff, v114
	v_sub_nc_u32_e32 v16, v115, v116
	v_cndmask_b32_e64 v115, 0, 1, vcc_lo
	v_add_co_ci_u32_e32 v16, vcc_lo, 0, v16, vcc_lo
	s_delay_alu instid0(VALU_DEP_2)
	v_lshrrev_b32_e32 v114, v115, v114
; %bb.3289:                             ;   in Loop: Header=BB2_2916 Depth=2
	s_and_not1_saveexec_b32 s7, s7
; %bb.3290:                             ;   in Loop: Header=BB2_2916 Depth=2
	s_delay_alu instid0(VALU_DEP_1)
	v_bfe_u32 v16, v114, 23, 1
; %bb.3291:                             ;   in Loop: Header=BB2_2916 Depth=2
	s_or_b32 exec_lo, exec_lo, s7
	v_lshrrev_b32_e32 v114, 20, v114
	s_delay_alu instid0(VALU_DEP_2) | instskip(SKIP_2) | instid1(VALU_DEP_2)
	v_cmp_gt_i32_e32 vcc_lo, 16, v16
	v_lshrrev_b32_e32 v113, 24, v113
	v_min_i32_e32 v115, 15, v16
	v_dual_cndmask_b32 v114, 7, v114 :: v_dual_and_b32 v113, 0x80, v113
	s_delay_alu instid0(VALU_DEP_1) | instskip(SKIP_1) | instid1(VALU_DEP_2)
	v_or_b32_e32 v16, v16, v114
	v_and_b32_e32 v116, 7, v114
	v_cmp_ne_u32_e32 vcc_lo, 0, v16
	v_lshlrev_b32_e32 v115, 3, v115
	s_delay_alu instid0(VALU_DEP_1) | instskip(NEXT) | instid1(VALU_DEP_1)
	v_or3_b32 v113, v115, v113, v116
	v_cndmask_b32_e32 v16, 0, v113, vcc_lo
.LBB2_3292:                             ;   in Loop: Header=BB2_2916 Depth=2
	s_or_b32 exec_lo, exec_lo, s26
.LBB2_3293:                             ;   in Loop: Header=BB2_2916 Depth=2
	s_delay_alu instid0(SALU_CYCLE_1)
	s_or_b32 exec_lo, exec_lo, s25
	v_lshrrev_b16 v114, 8, v17
	v_lshrrev_b16 v113, 8, v13
	s_and_b32 vcc_lo, exec_lo, s24
	s_cbranch_vccz .LBB2_3303
; %bb.3294:                             ;   in Loop: Header=BB2_2916 Depth=2
	s_mov_b32 s7, 0
	s_mov_b32 s26, exec_lo
                                        ; implicit-def: $sgpr25
	v_cmpx_lt_i16_e32 0x7f, v114
	s_xor_b32 s26, exec_lo, s26
	s_cbranch_execnz .LBB2_3586
; %bb.3295:                             ;   in Loop: Header=BB2_2916 Depth=2
	s_or_saveexec_b32 s26, s26
	v_mov_b32_e32 v115, s25
	s_xor_b32 exec_lo, exec_lo, s26
	s_cbranch_execnz .LBB2_3589
.LBB2_3296:                             ;   in Loop: Header=BB2_2916 Depth=2
	s_or_b32 exec_lo, exec_lo, s26
	s_and_saveexec_b32 s25, s7
	s_cbranch_execz .LBB2_3298
.LBB2_3297:                             ;   in Loop: Header=BB2_2916 Depth=2
	v_and_b32_e32 v115, 0xffff, v114
	s_delay_alu instid0(VALU_DEP_1) | instskip(NEXT) | instid1(VALU_DEP_1)
	v_and_b32_e32 v116, 7, v115
	v_clz_i32_u32_e32 v117, v116
	s_delay_alu instid0(VALU_DEP_1) | instskip(NEXT) | instid1(VALU_DEP_1)
	v_min_u32_e32 v117, 32, v117
	v_subrev_nc_u32_e32 v118, 28, v117
	v_sub_nc_u32_e32 v117, 29, v117
	s_delay_alu instid0(VALU_DEP_2) | instskip(SKIP_1) | instid1(VALU_DEP_2)
	v_lshlrev_b32_e32 v118, v118, v115
	v_bfe_u32 v115, v115, 3, 4
	v_and_b32_e32 v118, 7, v118
	s_delay_alu instid0(VALU_DEP_2) | instskip(SKIP_1) | instid1(VALU_DEP_3)
	v_cmp_eq_u32_e32 vcc_lo, 0, v115
	v_cndmask_b32_e32 v115, v115, v117, vcc_lo
	v_dual_cndmask_b32 v116, v116, v118 :: v_dual_lshlrev_b32 v119, 16, v17
	s_delay_alu instid0(VALU_DEP_2) | instskip(NEXT) | instid1(VALU_DEP_2)
	v_lshl_add_u32 v115, v115, 23, 0x3b800000
	v_and_b32_e32 v117, 0x80000000, v119
	s_delay_alu instid0(VALU_DEP_3) | instskip(NEXT) | instid1(VALU_DEP_1)
	v_lshlrev_b32_e32 v116, 20, v116
	v_or3_b32 v115, v117, v115, v116
.LBB2_3298:                             ;   in Loop: Header=BB2_2916 Depth=2
	s_or_b32 exec_lo, exec_lo, s25
	s_mov_b32 s7, 0
	s_mov_b32 s26, exec_lo
                                        ; implicit-def: $sgpr25
	v_cmpx_lt_i16_e32 0x7f, v113
	s_xor_b32 s26, exec_lo, s26
	s_cbranch_execnz .LBB2_3590
; %bb.3299:                             ;   in Loop: Header=BB2_2916 Depth=2
	s_or_saveexec_b32 s26, s26
	v_mov_b32_e32 v116, s25
	s_xor_b32 exec_lo, exec_lo, s26
	s_cbranch_execnz .LBB2_3593
.LBB2_3300:                             ;   in Loop: Header=BB2_2916 Depth=2
	s_or_b32 exec_lo, exec_lo, s26
	s_and_saveexec_b32 s25, s7
	s_cbranch_execz .LBB2_3302
.LBB2_3301:                             ;   in Loop: Header=BB2_2916 Depth=2
	v_and_b32_e32 v116, 0xffff, v113
	v_lshlrev_b32_e32 v128, 16, v13
	s_delay_alu instid0(VALU_DEP_2) | instskip(NEXT) | instid1(VALU_DEP_1)
	v_and_b32_e32 v117, 7, v116
	v_clz_i32_u32_e32 v118, v117
	s_delay_alu instid0(VALU_DEP_1) | instskip(NEXT) | instid1(VALU_DEP_1)
	v_min_u32_e32 v118, 32, v118
	v_subrev_nc_u32_e32 v119, 28, v118
	v_sub_nc_u32_e32 v118, 29, v118
	s_delay_alu instid0(VALU_DEP_2) | instskip(SKIP_1) | instid1(VALU_DEP_2)
	v_lshlrev_b32_e32 v119, v119, v116
	v_bfe_u32 v116, v116, 3, 4
	v_and_b32_e32 v119, 7, v119
	s_delay_alu instid0(VALU_DEP_2) | instskip(NEXT) | instid1(VALU_DEP_2)
	v_cmp_eq_u32_e32 vcc_lo, 0, v116
	v_dual_cndmask_b32 v116, v116, v118 :: v_dual_cndmask_b32 v117, v117, v119
	v_and_b32_e32 v118, 0x80000000, v128
	s_delay_alu instid0(VALU_DEP_2) | instskip(NEXT) | instid1(VALU_DEP_3)
	v_lshl_add_u32 v116, v116, 23, 0x3b800000
	v_lshlrev_b32_e32 v117, 20, v117
	s_delay_alu instid0(VALU_DEP_1)
	v_or3_b32 v116, v118, v116, v117
.LBB2_3302:                             ;   in Loop: Header=BB2_2916 Depth=2
	s_or_b32 exec_lo, exec_lo, s25
	s_delay_alu instid0(VALU_DEP_1) | instskip(SKIP_1) | instid1(VALU_DEP_1)
	v_dual_max_f32 v116, v116, v116 :: v_dual_max_f32 v115, v115, v115
	s_mov_b32 s7, 0
	v_max_f32_e32 v115, v115, v116
	s_branch .LBB2_3304
.LBB2_3303:                             ;   in Loop: Header=BB2_2916 Depth=2
	s_mov_b32 s7, -1
                                        ; implicit-def: $vgpr115
.LBB2_3304:                             ;   in Loop: Header=BB2_2916 Depth=2
	s_delay_alu instid0(SALU_CYCLE_1)
	s_and_b32 vcc_lo, exec_lo, s7
	s_cbranch_vccz .LBB2_3314
; %bb.3305:                             ;   in Loop: Header=BB2_2916 Depth=2
	s_mov_b32 s7, 0
	s_mov_b32 s26, exec_lo
                                        ; implicit-def: $sgpr25
	v_cmpx_lt_i16_e32 0x7f, v114
	s_xor_b32 s26, exec_lo, s26
	s_cbranch_execnz .LBB2_3594
; %bb.3306:                             ;   in Loop: Header=BB2_2916 Depth=2
	s_or_saveexec_b32 s26, s26
	v_mov_b32_e32 v115, s25
	s_xor_b32 exec_lo, exec_lo, s26
	s_cbranch_execnz .LBB2_3597
.LBB2_3307:                             ;   in Loop: Header=BB2_2916 Depth=2
	s_or_b32 exec_lo, exec_lo, s26
	s_and_saveexec_b32 s25, s7
	s_cbranch_execz .LBB2_3309
.LBB2_3308:                             ;   in Loop: Header=BB2_2916 Depth=2
	v_and_b32_e32 v114, 0xffff, v114
	v_lshlrev_b32_e32 v118, 16, v17
	s_delay_alu instid0(VALU_DEP_2) | instskip(NEXT) | instid1(VALU_DEP_1)
	v_and_b32_e32 v115, 7, v114
	v_clz_i32_u32_e32 v116, v115
	s_delay_alu instid0(VALU_DEP_1) | instskip(NEXT) | instid1(VALU_DEP_1)
	v_min_u32_e32 v116, 32, v116
	v_subrev_nc_u32_e32 v117, 28, v116
	v_sub_nc_u32_e32 v116, 29, v116
	s_delay_alu instid0(VALU_DEP_2) | instskip(SKIP_1) | instid1(VALU_DEP_2)
	v_lshlrev_b32_e32 v117, v117, v114
	v_bfe_u32 v114, v114, 3, 4
	v_and_b32_e32 v117, 7, v117
	s_delay_alu instid0(VALU_DEP_2) | instskip(NEXT) | instid1(VALU_DEP_2)
	v_cmp_eq_u32_e32 vcc_lo, 0, v114
	v_dual_cndmask_b32 v114, v114, v116 :: v_dual_cndmask_b32 v115, v115, v117
	v_and_b32_e32 v116, 0x80000000, v118
	s_delay_alu instid0(VALU_DEP_2) | instskip(NEXT) | instid1(VALU_DEP_3)
	v_lshl_add_u32 v114, v114, 23, 0x3b800000
	v_lshlrev_b32_e32 v115, 20, v115
	s_delay_alu instid0(VALU_DEP_1)
	v_or3_b32 v115, v116, v114, v115
.LBB2_3309:                             ;   in Loop: Header=BB2_2916 Depth=2
	s_or_b32 exec_lo, exec_lo, s25
	s_mov_b32 s7, 0
	s_mov_b32 s26, exec_lo
                                        ; implicit-def: $sgpr25
	v_cmpx_lt_i16_e32 0x7f, v113
	s_xor_b32 s26, exec_lo, s26
	s_cbranch_execnz .LBB2_3598
; %bb.3310:                             ;   in Loop: Header=BB2_2916 Depth=2
	s_or_saveexec_b32 s26, s26
	v_mov_b32_e32 v114, s25
	s_xor_b32 exec_lo, exec_lo, s26
	s_cbranch_execnz .LBB2_3601
.LBB2_3311:                             ;   in Loop: Header=BB2_2916 Depth=2
	s_or_b32 exec_lo, exec_lo, s26
	s_and_saveexec_b32 s25, s7
	s_cbranch_execz .LBB2_3313
.LBB2_3312:                             ;   in Loop: Header=BB2_2916 Depth=2
	v_and_b32_e32 v113, 0xffff, v113
	v_lshlrev_b32_e32 v118, 16, v13
	s_delay_alu instid0(VALU_DEP_2) | instskip(NEXT) | instid1(VALU_DEP_1)
	v_and_b32_e32 v114, 7, v113
	v_clz_i32_u32_e32 v116, v114
	s_delay_alu instid0(VALU_DEP_1) | instskip(NEXT) | instid1(VALU_DEP_1)
	v_min_u32_e32 v116, 32, v116
	v_subrev_nc_u32_e32 v117, 28, v116
	v_sub_nc_u32_e32 v116, 29, v116
	s_delay_alu instid0(VALU_DEP_2) | instskip(SKIP_1) | instid1(VALU_DEP_2)
	v_lshlrev_b32_e32 v117, v117, v113
	v_bfe_u32 v113, v113, 3, 4
	v_and_b32_e32 v117, 7, v117
	s_delay_alu instid0(VALU_DEP_2) | instskip(NEXT) | instid1(VALU_DEP_2)
	v_cmp_eq_u32_e32 vcc_lo, 0, v113
	v_dual_cndmask_b32 v113, v113, v116 :: v_dual_cndmask_b32 v114, v114, v117
	v_and_b32_e32 v116, 0x80000000, v118
	s_delay_alu instid0(VALU_DEP_2) | instskip(NEXT) | instid1(VALU_DEP_3)
	v_lshl_add_u32 v113, v113, 23, 0x3b800000
	v_lshlrev_b32_e32 v114, 20, v114
	s_delay_alu instid0(VALU_DEP_1)
	v_or3_b32 v114, v116, v113, v114
.LBB2_3313:                             ;   in Loop: Header=BB2_2916 Depth=2
	s_or_b32 exec_lo, exec_lo, s25
	s_delay_alu instid0(VALU_DEP_1) | instskip(NEXT) | instid1(VALU_DEP_1)
	v_dual_max_f32 v113, v114, v114 :: v_dual_max_f32 v114, v115, v115
	v_min_f32_e32 v115, v114, v113
.LBB2_3314:                             ;   in Loop: Header=BB2_2916 Depth=2
	s_delay_alu instid0(VALU_DEP_1) | instskip(NEXT) | instid1(VALU_DEP_1)
	v_and_b32_e32 v113, 0x7f800000, v115
	v_cmp_ne_u32_e32 vcc_lo, 0x7f800000, v113
	v_mov_b32_e32 v113, 0x80
	s_and_saveexec_b32 s25, vcc_lo
	s_cbranch_execz .LBB2_3322
; %bb.3315:                             ;   in Loop: Header=BB2_2916 Depth=2
	v_mov_b32_e32 v113, 0
	s_mov_b32 s26, exec_lo
	v_cmpx_ne_u32_e32 0, v115
	s_cbranch_execz .LBB2_3321
; %bb.3316:                             ;   in Loop: Header=BB2_2916 Depth=2
	v_bfe_u32 v113, v115, 23, 8
	v_and_b32_e32 v114, 0x7fffff, v115
	s_delay_alu instid0(VALU_DEP_2) | instskip(SKIP_1) | instid1(VALU_DEP_3)
	v_sub_nc_u32_e32 v116, 0x78, v113
	v_cmp_gt_u32_e32 vcc_lo, 0x79, v113
	v_or_b32_e32 v117, 0x800000, v114
	s_delay_alu instid0(VALU_DEP_3) | instskip(SKIP_2) | instid1(VALU_DEP_3)
	v_cndmask_b32_e32 v116, 0, v116, vcc_lo
	v_cmp_eq_u32_e32 vcc_lo, 0, v113
	v_add_nc_u32_e32 v113, 0xffffff89, v113
	v_cndmask_b32_e64 v116, v116, 0x77, vcc_lo
	v_cndmask_b32_e32 v114, v117, v114, vcc_lo
	s_delay_alu instid0(VALU_DEP_3) | instskip(NEXT) | instid1(VALU_DEP_3)
	v_cndmask_b32_e64 v113, v113, 0xffffff8a, vcc_lo
	v_lshl_add_u32 v117, 0x100000, v116, -1
	s_delay_alu instid0(VALU_DEP_3) | instskip(SKIP_1) | instid1(VALU_DEP_4)
	v_lshrrev_b32_e32 v118, v116, v114
	v_lshlrev_b32_e64 v128, v116, 0x80000
	v_add_nc_u32_e32 v116, v116, v113
	s_delay_alu instid0(VALU_DEP_4) | instskip(NEXT) | instid1(VALU_DEP_4)
	v_and_b32_e32 v114, v117, v114
	v_bfe_u32 v119, v118, 20, 1
	s_delay_alu instid0(VALU_DEP_2) | instskip(NEXT) | instid1(VALU_DEP_2)
	v_cmp_eq_u32_e64 s7, v114, v128
	v_add_nc_u32_e32 v117, -1, v119
	s_delay_alu instid0(VALU_DEP_1) | instskip(SKIP_2) | instid1(VALU_DEP_2)
	v_cndmask_b32_e64 v114, 0, v117, s7
	v_lshrrev_b32_e32 v117, 23, v118
	s_mov_b32 s7, exec_lo
	v_add_nc_u32_e32 v114, v114, v118
	s_delay_alu instid0(VALU_DEP_2) | instskip(NEXT) | instid1(VALU_DEP_2)
	v_xor_b32_e32 v117, 1, v117
	v_and_b32_e32 v113, 0xfffff, v114
	s_delay_alu instid0(VALU_DEP_1) | instskip(NEXT) | instid1(VALU_DEP_3)
	v_add_nc_u32_e32 v114, v113, v118
                                        ; implicit-def: $vgpr113
	v_cmpx_ne_u32_e64 v116, v117
	s_xor_b32 s7, exec_lo, s7
; %bb.3317:                             ;   in Loop: Header=BB2_2916 Depth=2
	s_delay_alu instid0(VALU_DEP_2) | instskip(SKIP_2) | instid1(VALU_DEP_2)
	v_cmp_lt_u32_e32 vcc_lo, 0xffffff, v114
	v_sub_nc_u32_e32 v113, v116, v117
	v_cndmask_b32_e64 v116, 0, 1, vcc_lo
	v_add_co_ci_u32_e32 v113, vcc_lo, 0, v113, vcc_lo
	s_delay_alu instid0(VALU_DEP_2)
	v_lshrrev_b32_e32 v114, v116, v114
; %bb.3318:                             ;   in Loop: Header=BB2_2916 Depth=2
	s_and_not1_saveexec_b32 s7, s7
; %bb.3319:                             ;   in Loop: Header=BB2_2916 Depth=2
	s_delay_alu instid0(VALU_DEP_1)
	v_bfe_u32 v113, v114, 23, 1
; %bb.3320:                             ;   in Loop: Header=BB2_2916 Depth=2
	s_or_b32 exec_lo, exec_lo, s7
	v_lshrrev_b32_e32 v114, 20, v114
	s_delay_alu instid0(VALU_DEP_2) | instskip(SKIP_2) | instid1(VALU_DEP_2)
	v_cmp_gt_i32_e32 vcc_lo, 16, v113
	v_lshrrev_b32_e32 v115, 24, v115
	v_min_i32_e32 v116, 15, v113
	v_dual_cndmask_b32 v114, 7, v114 :: v_dual_and_b32 v115, 0x80, v115
	s_delay_alu instid0(VALU_DEP_1) | instskip(SKIP_1) | instid1(VALU_DEP_2)
	v_or_b32_e32 v113, v113, v114
	v_and_b32_e32 v117, 7, v114
	v_cmp_ne_u32_e32 vcc_lo, 0, v113
	v_lshlrev_b32_e32 v116, 3, v116
	s_delay_alu instid0(VALU_DEP_1) | instskip(NEXT) | instid1(VALU_DEP_1)
	v_or3_b32 v114, v116, v115, v117
	v_cndmask_b32_e32 v113, 0, v114, vcc_lo
.LBB2_3321:                             ;   in Loop: Header=BB2_2916 Depth=2
	s_or_b32 exec_lo, exec_lo, s26
.LBB2_3322:                             ;   in Loop: Header=BB2_2916 Depth=2
	s_delay_alu instid0(SALU_CYCLE_1)
	s_or_b32 exec_lo, exec_lo, s25
	v_lshrrev_b32_e32 v115, 16, v17
	v_lshrrev_b32_e32 v114, 16, v13
	s_and_b32 vcc_lo, exec_lo, s24
	s_cbranch_vccz .LBB2_3332
; %bb.3323:                             ;   in Loop: Header=BB2_2916 Depth=2
	s_delay_alu instid0(VALU_DEP_2) | instskip(SKIP_2) | instid1(VALU_DEP_1)
	v_and_b32_e32 v117, 0xff, v115
	s_mov_b32 s7, 0
	s_mov_b32 s26, exec_lo
                                        ; implicit-def: $sgpr25
	v_cmpx_lt_i16_e32 0x7f, v117
	s_xor_b32 s26, exec_lo, s26
	s_cbranch_execnz .LBB2_3602
; %bb.3324:                             ;   in Loop: Header=BB2_2916 Depth=2
	s_or_saveexec_b32 s26, s26
	v_mov_b32_e32 v116, s25
	s_xor_b32 exec_lo, exec_lo, s26
	s_cbranch_execnz .LBB2_3605
.LBB2_3325:                             ;   in Loop: Header=BB2_2916 Depth=2
	s_or_b32 exec_lo, exec_lo, s26
	s_and_saveexec_b32 s25, s7
	s_cbranch_execz .LBB2_3327
.LBB2_3326:                             ;   in Loop: Header=BB2_2916 Depth=2
	v_bfe_u32 v116, v17, 16, 3
	v_bfe_u32 v119, v17, 19, 4
	v_lshlrev_b32_e32 v128, 24, v115
	s_delay_alu instid0(VALU_DEP_3) | instskip(NEXT) | instid1(VALU_DEP_3)
	v_clz_i32_u32_e32 v117, v116
	v_cmp_eq_u32_e32 vcc_lo, 0, v119
	s_delay_alu instid0(VALU_DEP_2) | instskip(NEXT) | instid1(VALU_DEP_1)
	v_min_u32_e32 v117, 32, v117
	v_subrev_nc_u32_e32 v118, 28, v117
	v_sub_nc_u32_e32 v117, 29, v117
	s_delay_alu instid0(VALU_DEP_1) | instskip(NEXT) | instid1(VALU_DEP_1)
	v_dual_cndmask_b32 v117, v119, v117 :: v_dual_lshlrev_b32 v118, v118, v115
	v_and_b32_e32 v118, 7, v118
	s_delay_alu instid0(VALU_DEP_2) | instskip(NEXT) | instid1(VALU_DEP_2)
	v_lshl_add_u32 v117, v117, 23, 0x3b800000
	v_cndmask_b32_e32 v116, v116, v118, vcc_lo
	v_and_b32_e32 v118, 0x80000000, v128
	s_delay_alu instid0(VALU_DEP_2) | instskip(NEXT) | instid1(VALU_DEP_1)
	v_lshlrev_b32_e32 v116, 20, v116
	v_or3_b32 v116, v118, v117, v116
.LBB2_3327:                             ;   in Loop: Header=BB2_2916 Depth=2
	s_or_b32 exec_lo, exec_lo, s25
	v_and_b32_e32 v118, 0xff, v114
	s_mov_b32 s7, 0
	s_mov_b32 s26, exec_lo
                                        ; implicit-def: $sgpr25
	s_delay_alu instid0(VALU_DEP_1)
	v_cmpx_lt_i16_e32 0x7f, v118
	s_xor_b32 s26, exec_lo, s26
	s_cbranch_execnz .LBB2_3606
; %bb.3328:                             ;   in Loop: Header=BB2_2916 Depth=2
	s_or_saveexec_b32 s26, s26
	v_mov_b32_e32 v117, s25
	s_xor_b32 exec_lo, exec_lo, s26
	s_cbranch_execnz .LBB2_3609
.LBB2_3329:                             ;   in Loop: Header=BB2_2916 Depth=2
	s_or_b32 exec_lo, exec_lo, s26
	s_and_saveexec_b32 s25, s7
	s_cbranch_execz .LBB2_3331
.LBB2_3330:                             ;   in Loop: Header=BB2_2916 Depth=2
	v_bfe_u32 v117, v13, 16, 3
	v_bfe_u32 v128, v13, 19, 4
	v_lshlrev_b32_e32 v129, 24, v114
	s_delay_alu instid0(VALU_DEP_3) | instskip(NEXT) | instid1(VALU_DEP_3)
	v_clz_i32_u32_e32 v118, v117
	v_cmp_eq_u32_e32 vcc_lo, 0, v128
	s_delay_alu instid0(VALU_DEP_2) | instskip(NEXT) | instid1(VALU_DEP_1)
	v_min_u32_e32 v118, 32, v118
	v_subrev_nc_u32_e32 v119, 28, v118
	v_sub_nc_u32_e32 v118, 29, v118
	s_delay_alu instid0(VALU_DEP_2) | instskip(NEXT) | instid1(VALU_DEP_1)
	v_lshlrev_b32_e32 v119, v119, v114
	v_dual_cndmask_b32 v118, v128, v118 :: v_dual_and_b32 v119, 7, v119
	s_delay_alu instid0(VALU_DEP_1) | instskip(NEXT) | instid1(VALU_DEP_2)
	v_lshl_add_u32 v118, v118, 23, 0x3b800000
	v_cndmask_b32_e32 v117, v117, v119, vcc_lo
	v_and_b32_e32 v119, 0x80000000, v129
	s_delay_alu instid0(VALU_DEP_2) | instskip(NEXT) | instid1(VALU_DEP_1)
	v_lshlrev_b32_e32 v117, 20, v117
	v_or3_b32 v117, v119, v118, v117
.LBB2_3331:                             ;   in Loop: Header=BB2_2916 Depth=2
	s_or_b32 exec_lo, exec_lo, s25
	s_delay_alu instid0(VALU_DEP_1) | instskip(SKIP_1) | instid1(VALU_DEP_1)
	v_dual_max_f32 v117, v117, v117 :: v_dual_max_f32 v116, v116, v116
	s_mov_b32 s7, 0
	v_max_f32_e32 v116, v116, v117
	s_branch .LBB2_3333
.LBB2_3332:                             ;   in Loop: Header=BB2_2916 Depth=2
	s_mov_b32 s7, -1
                                        ; implicit-def: $vgpr116
.LBB2_3333:                             ;   in Loop: Header=BB2_2916 Depth=2
	s_delay_alu instid0(SALU_CYCLE_1)
	s_and_b32 vcc_lo, exec_lo, s7
	s_cbranch_vccz .LBB2_3343
; %bb.3334:                             ;   in Loop: Header=BB2_2916 Depth=2
	v_and_b32_e32 v117, 0xff, v115
	s_mov_b32 s7, 0
	s_mov_b32 s26, exec_lo
                                        ; implicit-def: $sgpr25
	s_delay_alu instid0(VALU_DEP_1)
	v_cmpx_lt_i16_e32 0x7f, v117
	s_xor_b32 s26, exec_lo, s26
	s_cbranch_execnz .LBB2_3610
; %bb.3335:                             ;   in Loop: Header=BB2_2916 Depth=2
	s_or_saveexec_b32 s26, s26
	v_mov_b32_e32 v116, s25
	s_xor_b32 exec_lo, exec_lo, s26
	s_cbranch_execnz .LBB2_3613
.LBB2_3336:                             ;   in Loop: Header=BB2_2916 Depth=2
	s_or_b32 exec_lo, exec_lo, s26
	s_and_saveexec_b32 s25, s7
	s_cbranch_execz .LBB2_3338
.LBB2_3337:                             ;   in Loop: Header=BB2_2916 Depth=2
	v_bfe_u32 v116, v17, 16, 3
	v_bfe_u32 v119, v17, 19, 4
	s_delay_alu instid0(VALU_DEP_2) | instskip(NEXT) | instid1(VALU_DEP_2)
	v_clz_i32_u32_e32 v117, v116
	v_cmp_eq_u32_e32 vcc_lo, 0, v119
	s_delay_alu instid0(VALU_DEP_2) | instskip(NEXT) | instid1(VALU_DEP_1)
	v_min_u32_e32 v117, 32, v117
	v_subrev_nc_u32_e32 v118, 28, v117
	v_sub_nc_u32_e32 v117, 29, v117
	s_delay_alu instid0(VALU_DEP_1) | instskip(NEXT) | instid1(VALU_DEP_1)
	v_dual_cndmask_b32 v117, v119, v117 :: v_dual_lshlrev_b32 v118, v118, v115
	v_and_b32_e32 v118, 7, v118
	v_lshlrev_b32_e32 v115, 24, v115
	s_delay_alu instid0(VALU_DEP_3) | instskip(NEXT) | instid1(VALU_DEP_2)
	v_lshl_add_u32 v117, v117, 23, 0x3b800000
	v_dual_cndmask_b32 v116, v116, v118 :: v_dual_and_b32 v115, 0x80000000, v115
	s_delay_alu instid0(VALU_DEP_1) | instskip(NEXT) | instid1(VALU_DEP_1)
	v_lshlrev_b32_e32 v116, 20, v116
	v_or3_b32 v116, v115, v117, v116
.LBB2_3338:                             ;   in Loop: Header=BB2_2916 Depth=2
	s_or_b32 exec_lo, exec_lo, s25
	v_and_b32_e32 v117, 0xff, v114
	s_mov_b32 s7, 0
	s_mov_b32 s26, exec_lo
                                        ; implicit-def: $sgpr25
	s_delay_alu instid0(VALU_DEP_1)
	v_cmpx_lt_i16_e32 0x7f, v117
	s_xor_b32 s26, exec_lo, s26
	s_cbranch_execnz .LBB2_3614
; %bb.3339:                             ;   in Loop: Header=BB2_2916 Depth=2
	s_or_saveexec_b32 s26, s26
	v_mov_b32_e32 v115, s25
	s_xor_b32 exec_lo, exec_lo, s26
	s_cbranch_execnz .LBB2_3617
.LBB2_3340:                             ;   in Loop: Header=BB2_2916 Depth=2
	s_or_b32 exec_lo, exec_lo, s26
	s_and_saveexec_b32 s25, s7
	s_cbranch_execz .LBB2_3342
.LBB2_3341:                             ;   in Loop: Header=BB2_2916 Depth=2
	v_bfe_u32 v115, v13, 16, 3
	v_bfe_u32 v119, v13, 19, 4
	s_delay_alu instid0(VALU_DEP_2) | instskip(NEXT) | instid1(VALU_DEP_2)
	v_clz_i32_u32_e32 v117, v115
	v_cmp_eq_u32_e32 vcc_lo, 0, v119
	s_delay_alu instid0(VALU_DEP_2) | instskip(NEXT) | instid1(VALU_DEP_1)
	v_min_u32_e32 v117, 32, v117
	v_subrev_nc_u32_e32 v118, 28, v117
	v_sub_nc_u32_e32 v117, 29, v117
	s_delay_alu instid0(VALU_DEP_1) | instskip(SKIP_1) | instid1(VALU_DEP_2)
	v_dual_cndmask_b32 v117, v119, v117 :: v_dual_lshlrev_b32 v118, v118, v114
	v_lshlrev_b32_e32 v114, 24, v114
	v_and_b32_e32 v118, 7, v118
	s_delay_alu instid0(VALU_DEP_3) | instskip(NEXT) | instid1(VALU_DEP_3)
	v_lshl_add_u32 v117, v117, 23, 0x3b800000
	v_and_b32_e32 v114, 0x80000000, v114
	s_delay_alu instid0(VALU_DEP_3) | instskip(NEXT) | instid1(VALU_DEP_1)
	v_cndmask_b32_e32 v115, v115, v118, vcc_lo
	v_lshlrev_b32_e32 v115, 20, v115
	s_delay_alu instid0(VALU_DEP_1)
	v_or3_b32 v115, v114, v117, v115
.LBB2_3342:                             ;   in Loop: Header=BB2_2916 Depth=2
	s_or_b32 exec_lo, exec_lo, s25
	s_delay_alu instid0(VALU_DEP_1) | instskip(NEXT) | instid1(VALU_DEP_1)
	v_dual_max_f32 v114, v115, v115 :: v_dual_max_f32 v115, v116, v116
	v_min_f32_e32 v116, v115, v114
.LBB2_3343:                             ;   in Loop: Header=BB2_2916 Depth=2
	s_delay_alu instid0(VALU_DEP_1) | instskip(NEXT) | instid1(VALU_DEP_1)
	v_and_b32_e32 v114, 0x7f800000, v116
	v_cmp_ne_u32_e32 vcc_lo, 0x7f800000, v114
	v_mov_b32_e32 v114, 0x80
	s_and_saveexec_b32 s25, vcc_lo
	s_cbranch_execz .LBB2_3351
; %bb.3344:                             ;   in Loop: Header=BB2_2916 Depth=2
	v_mov_b32_e32 v114, 0
	s_mov_b32 s26, exec_lo
	v_cmpx_ne_u32_e32 0, v116
	s_cbranch_execz .LBB2_3350
; %bb.3345:                             ;   in Loop: Header=BB2_2916 Depth=2
	v_bfe_u32 v114, v116, 23, 8
	v_and_b32_e32 v115, 0x7fffff, v116
	s_delay_alu instid0(VALU_DEP_2) | instskip(SKIP_1) | instid1(VALU_DEP_3)
	v_sub_nc_u32_e32 v117, 0x78, v114
	v_cmp_gt_u32_e32 vcc_lo, 0x79, v114
	v_or_b32_e32 v118, 0x800000, v115
	s_delay_alu instid0(VALU_DEP_3) | instskip(SKIP_2) | instid1(VALU_DEP_3)
	v_cndmask_b32_e32 v117, 0, v117, vcc_lo
	v_cmp_eq_u32_e32 vcc_lo, 0, v114
	v_add_nc_u32_e32 v114, 0xffffff89, v114
	v_cndmask_b32_e64 v117, v117, 0x77, vcc_lo
	v_cndmask_b32_e32 v115, v118, v115, vcc_lo
	s_delay_alu instid0(VALU_DEP_3) | instskip(NEXT) | instid1(VALU_DEP_3)
	v_cndmask_b32_e64 v114, v114, 0xffffff8a, vcc_lo
	v_lshl_add_u32 v118, 0x100000, v117, -1
	s_delay_alu instid0(VALU_DEP_3) | instskip(SKIP_1) | instid1(VALU_DEP_4)
	v_lshrrev_b32_e32 v119, v117, v115
	v_lshlrev_b32_e64 v129, v117, 0x80000
	v_add_nc_u32_e32 v117, v117, v114
	s_delay_alu instid0(VALU_DEP_4) | instskip(NEXT) | instid1(VALU_DEP_4)
	v_and_b32_e32 v115, v118, v115
	v_bfe_u32 v128, v119, 20, 1
	s_delay_alu instid0(VALU_DEP_2) | instskip(NEXT) | instid1(VALU_DEP_2)
	v_cmp_eq_u32_e64 s7, v115, v129
	v_add_nc_u32_e32 v118, -1, v128
	s_delay_alu instid0(VALU_DEP_1) | instskip(SKIP_2) | instid1(VALU_DEP_2)
	v_cndmask_b32_e64 v115, 0, v118, s7
	v_lshrrev_b32_e32 v118, 23, v119
	s_mov_b32 s7, exec_lo
	v_add_nc_u32_e32 v115, v115, v119
	s_delay_alu instid0(VALU_DEP_2) | instskip(NEXT) | instid1(VALU_DEP_2)
	v_xor_b32_e32 v118, 1, v118
	v_and_b32_e32 v114, 0xfffff, v115
	s_delay_alu instid0(VALU_DEP_1) | instskip(NEXT) | instid1(VALU_DEP_3)
	v_add_nc_u32_e32 v115, v114, v119
                                        ; implicit-def: $vgpr114
	v_cmpx_ne_u32_e64 v117, v118
	s_xor_b32 s7, exec_lo, s7
; %bb.3346:                             ;   in Loop: Header=BB2_2916 Depth=2
	s_delay_alu instid0(VALU_DEP_2) | instskip(SKIP_2) | instid1(VALU_DEP_2)
	v_cmp_lt_u32_e32 vcc_lo, 0xffffff, v115
	v_sub_nc_u32_e32 v114, v117, v118
	v_cndmask_b32_e64 v117, 0, 1, vcc_lo
	v_add_co_ci_u32_e32 v114, vcc_lo, 0, v114, vcc_lo
	s_delay_alu instid0(VALU_DEP_2)
	v_lshrrev_b32_e32 v115, v117, v115
; %bb.3347:                             ;   in Loop: Header=BB2_2916 Depth=2
	s_and_not1_saveexec_b32 s7, s7
; %bb.3348:                             ;   in Loop: Header=BB2_2916 Depth=2
	s_delay_alu instid0(VALU_DEP_1)
	v_bfe_u32 v114, v115, 23, 1
; %bb.3349:                             ;   in Loop: Header=BB2_2916 Depth=2
	s_or_b32 exec_lo, exec_lo, s7
	v_lshrrev_b32_e32 v115, 20, v115
	s_delay_alu instid0(VALU_DEP_2) | instskip(SKIP_2) | instid1(VALU_DEP_2)
	v_cmp_gt_i32_e32 vcc_lo, 16, v114
	v_lshrrev_b32_e32 v116, 24, v116
	v_min_i32_e32 v117, 15, v114
	v_dual_cndmask_b32 v115, 7, v115 :: v_dual_and_b32 v116, 0x80, v116
	s_delay_alu instid0(VALU_DEP_1) | instskip(SKIP_1) | instid1(VALU_DEP_2)
	v_or_b32_e32 v114, v114, v115
	v_and_b32_e32 v118, 7, v115
	v_cmp_ne_u32_e32 vcc_lo, 0, v114
	v_lshlrev_b32_e32 v117, 3, v117
	s_delay_alu instid0(VALU_DEP_1) | instskip(NEXT) | instid1(VALU_DEP_1)
	v_and_b32_e32 v117, 0xf8, v117
	v_or3_b32 v115, v117, v116, v118
	s_delay_alu instid0(VALU_DEP_1)
	v_cndmask_b32_e32 v114, 0, v115, vcc_lo
.LBB2_3350:                             ;   in Loop: Header=BB2_2916 Depth=2
	s_or_b32 exec_lo, exec_lo, s26
.LBB2_3351:                             ;   in Loop: Header=BB2_2916 Depth=2
	s_delay_alu instid0(SALU_CYCLE_1)
	s_or_b32 exec_lo, exec_lo, s25
	v_lshrrev_b32_e32 v116, 24, v17
	v_lshrrev_b32_e32 v115, 24, v13
	s_and_b32 vcc_lo, exec_lo, s24
	s_cbranch_vccz .LBB2_3361
; %bb.3352:                             ;   in Loop: Header=BB2_2916 Depth=2
	s_mov_b32 s7, 0
	s_mov_b32 s26, exec_lo
                                        ; implicit-def: $sgpr25
	v_cmpx_lt_i16_e32 0x7f, v116
	s_xor_b32 s26, exec_lo, s26
	s_cbranch_execnz .LBB2_3618
; %bb.3353:                             ;   in Loop: Header=BB2_2916 Depth=2
	s_or_saveexec_b32 s26, s26
	v_mov_b32_e32 v117, s25
	s_xor_b32 exec_lo, exec_lo, s26
	s_cbranch_execnz .LBB2_3621
.LBB2_3354:                             ;   in Loop: Header=BB2_2916 Depth=2
	s_or_b32 exec_lo, exec_lo, s26
	s_and_saveexec_b32 s25, s7
	s_cbranch_execz .LBB2_3356
.LBB2_3355:                             ;   in Loop: Header=BB2_2916 Depth=2
	v_bfe_u32 v117, v17, 24, 3
	v_bfe_u32 v128, v17, 27, 4
	s_delay_alu instid0(VALU_DEP_2) | instskip(NEXT) | instid1(VALU_DEP_2)
	v_clz_i32_u32_e32 v118, v117
	v_cmp_eq_u32_e32 vcc_lo, 0, v128
	s_delay_alu instid0(VALU_DEP_2) | instskip(NEXT) | instid1(VALU_DEP_1)
	v_min_u32_e32 v118, 32, v118
	v_subrev_nc_u32_e32 v119, 28, v118
	v_sub_nc_u32_e32 v118, 29, v118
	s_delay_alu instid0(VALU_DEP_1) | instskip(NEXT) | instid1(VALU_DEP_1)
	v_dual_cndmask_b32 v118, v128, v118 :: v_dual_lshlrev_b32 v119, v119, v116
	v_and_b32_e32 v119, 7, v119
	s_delay_alu instid0(VALU_DEP_2) | instskip(NEXT) | instid1(VALU_DEP_2)
	v_lshl_add_u32 v118, v118, 23, 0x3b800000
	v_cndmask_b32_e32 v117, v117, v119, vcc_lo
	v_and_b32_e32 v119, 0x80000000, v17
	s_delay_alu instid0(VALU_DEP_2) | instskip(NEXT) | instid1(VALU_DEP_1)
	v_lshlrev_b32_e32 v117, 20, v117
	v_or3_b32 v117, v119, v118, v117
.LBB2_3356:                             ;   in Loop: Header=BB2_2916 Depth=2
	s_or_b32 exec_lo, exec_lo, s25
	s_mov_b32 s7, 0
	s_mov_b32 s26, exec_lo
                                        ; implicit-def: $sgpr25
	v_cmpx_lt_i16_e32 0x7f, v115
	s_xor_b32 s26, exec_lo, s26
	s_cbranch_execnz .LBB2_3622
; %bb.3357:                             ;   in Loop: Header=BB2_2916 Depth=2
	s_or_saveexec_b32 s26, s26
	v_mov_b32_e32 v118, s25
	s_xor_b32 exec_lo, exec_lo, s26
	s_cbranch_execnz .LBB2_3625
.LBB2_3358:                             ;   in Loop: Header=BB2_2916 Depth=2
	s_or_b32 exec_lo, exec_lo, s26
	s_and_saveexec_b32 s25, s7
	s_cbranch_execz .LBB2_3360
.LBB2_3359:                             ;   in Loop: Header=BB2_2916 Depth=2
	v_bfe_u32 v118, v13, 24, 3
	v_bfe_u32 v129, v13, 27, 4
	s_delay_alu instid0(VALU_DEP_2) | instskip(NEXT) | instid1(VALU_DEP_2)
	v_clz_i32_u32_e32 v119, v118
	v_cmp_eq_u32_e32 vcc_lo, 0, v129
	s_delay_alu instid0(VALU_DEP_2) | instskip(NEXT) | instid1(VALU_DEP_1)
	v_min_u32_e32 v119, 32, v119
	v_subrev_nc_u32_e32 v128, 28, v119
	v_sub_nc_u32_e32 v119, 29, v119
	s_delay_alu instid0(VALU_DEP_2) | instskip(NEXT) | instid1(VALU_DEP_1)
	v_lshlrev_b32_e32 v128, v128, v115
	v_dual_cndmask_b32 v119, v129, v119 :: v_dual_and_b32 v128, 7, v128
	s_delay_alu instid0(VALU_DEP_1) | instskip(NEXT) | instid1(VALU_DEP_2)
	v_lshl_add_u32 v119, v119, 23, 0x3b800000
	v_cndmask_b32_e32 v118, v118, v128, vcc_lo
	v_and_b32_e32 v128, 0x80000000, v13
	s_delay_alu instid0(VALU_DEP_2) | instskip(NEXT) | instid1(VALU_DEP_1)
	v_lshlrev_b32_e32 v118, 20, v118
	v_or3_b32 v118, v128, v119, v118
.LBB2_3360:                             ;   in Loop: Header=BB2_2916 Depth=2
	s_or_b32 exec_lo, exec_lo, s25
	s_delay_alu instid0(VALU_DEP_1) | instskip(SKIP_1) | instid1(VALU_DEP_1)
	v_dual_max_f32 v118, v118, v118 :: v_dual_max_f32 v117, v117, v117
	s_mov_b32 s7, 0
	v_max_f32_e32 v117, v117, v118
	s_branch .LBB2_3362
.LBB2_3361:                             ;   in Loop: Header=BB2_2916 Depth=2
	s_mov_b32 s7, -1
                                        ; implicit-def: $vgpr117
.LBB2_3362:                             ;   in Loop: Header=BB2_2916 Depth=2
	s_delay_alu instid0(SALU_CYCLE_1)
	s_and_b32 vcc_lo, exec_lo, s7
	s_cbranch_vccz .LBB2_3372
; %bb.3363:                             ;   in Loop: Header=BB2_2916 Depth=2
	s_mov_b32 s7, 0
	s_mov_b32 s26, exec_lo
                                        ; implicit-def: $sgpr25
	v_cmpx_lt_i16_e32 0x7f, v116
	s_xor_b32 s26, exec_lo, s26
	s_cbranch_execnz .LBB2_3626
; %bb.3364:                             ;   in Loop: Header=BB2_2916 Depth=2
	s_or_saveexec_b32 s26, s26
	v_mov_b32_e32 v117, s25
	s_xor_b32 exec_lo, exec_lo, s26
	s_cbranch_execnz .LBB2_3629
.LBB2_3365:                             ;   in Loop: Header=BB2_2916 Depth=2
	s_or_b32 exec_lo, exec_lo, s26
	s_and_saveexec_b32 s25, s7
	s_cbranch_execz .LBB2_3367
.LBB2_3366:                             ;   in Loop: Header=BB2_2916 Depth=2
	v_bfe_u32 v117, v17, 24, 3
	s_delay_alu instid0(VALU_DEP_1) | instskip(NEXT) | instid1(VALU_DEP_1)
	v_clz_i32_u32_e32 v118, v117
	v_min_u32_e32 v118, 32, v118
	s_delay_alu instid0(VALU_DEP_1) | instskip(SKIP_1) | instid1(VALU_DEP_2)
	v_subrev_nc_u32_e32 v119, 28, v118
	v_sub_nc_u32_e32 v118, 29, v118
	v_lshlrev_b32_e32 v116, v119, v116
	v_bfe_u32 v119, v17, 27, 4
	v_and_b32_e32 v17, 0x80000000, v17
	s_delay_alu instid0(VALU_DEP_3) | instskip(NEXT) | instid1(VALU_DEP_3)
	v_and_b32_e32 v116, 7, v116
	v_cmp_eq_u32_e32 vcc_lo, 0, v119
	v_cndmask_b32_e32 v118, v119, v118, vcc_lo
	s_delay_alu instid0(VALU_DEP_3) | instskip(NEXT) | instid1(VALU_DEP_2)
	v_cndmask_b32_e32 v116, v117, v116, vcc_lo
	v_lshl_add_u32 v117, v118, 23, 0x3b800000
	s_delay_alu instid0(VALU_DEP_2) | instskip(NEXT) | instid1(VALU_DEP_1)
	v_lshlrev_b32_e32 v116, 20, v116
	v_or3_b32 v117, v17, v117, v116
.LBB2_3367:                             ;   in Loop: Header=BB2_2916 Depth=2
	s_or_b32 exec_lo, exec_lo, s25
	s_mov_b32 s7, 0
	s_mov_b32 s26, exec_lo
                                        ; implicit-def: $sgpr25
	v_cmpx_lt_i16_e32 0x7f, v115
	s_xor_b32 s26, exec_lo, s26
	s_cbranch_execnz .LBB2_3630
; %bb.3368:                             ;   in Loop: Header=BB2_2916 Depth=2
	s_or_saveexec_b32 s26, s26
	v_mov_b32_e32 v17, s25
	s_xor_b32 exec_lo, exec_lo, s26
	s_cbranch_execnz .LBB2_3633
.LBB2_3369:                             ;   in Loop: Header=BB2_2916 Depth=2
	s_or_b32 exec_lo, exec_lo, s26
	s_and_saveexec_b32 s25, s7
	s_cbranch_execz .LBB2_3371
.LBB2_3370:                             ;   in Loop: Header=BB2_2916 Depth=2
	v_bfe_u32 v17, v13, 24, 3
	s_delay_alu instid0(VALU_DEP_1) | instskip(NEXT) | instid1(VALU_DEP_1)
	v_clz_i32_u32_e32 v116, v17
	v_min_u32_e32 v116, 32, v116
	s_delay_alu instid0(VALU_DEP_1) | instskip(SKIP_1) | instid1(VALU_DEP_2)
	v_subrev_nc_u32_e32 v118, 28, v116
	v_sub_nc_u32_e32 v116, 29, v116
	v_lshlrev_b32_e32 v115, v118, v115
	v_bfe_u32 v118, v13, 27, 4
	v_and_b32_e32 v13, 0x80000000, v13
	s_delay_alu instid0(VALU_DEP_2) | instskip(NEXT) | instid1(VALU_DEP_4)
	v_cmp_eq_u32_e32 vcc_lo, 0, v118
	v_dual_cndmask_b32 v116, v118, v116 :: v_dual_and_b32 v115, 7, v115
	s_delay_alu instid0(VALU_DEP_1) | instskip(NEXT) | instid1(VALU_DEP_2)
	v_cndmask_b32_e32 v17, v17, v115, vcc_lo
	v_lshl_add_u32 v115, v116, 23, 0x3b800000
	s_delay_alu instid0(VALU_DEP_2) | instskip(NEXT) | instid1(VALU_DEP_1)
	v_lshlrev_b32_e32 v17, 20, v17
	v_or3_b32 v17, v13, v115, v17
.LBB2_3371:                             ;   in Loop: Header=BB2_2916 Depth=2
	s_or_b32 exec_lo, exec_lo, s25
	s_delay_alu instid0(VALU_DEP_1) | instskip(SKIP_1) | instid1(VALU_DEP_1)
	v_max_f32_e32 v13, v17, v17
	v_max_f32_e32 v17, v117, v117
	v_min_f32_e32 v117, v17, v13
.LBB2_3372:                             ;   in Loop: Header=BB2_2916 Depth=2
	s_delay_alu instid0(VALU_DEP_1) | instskip(NEXT) | instid1(VALU_DEP_1)
	v_and_b32_e32 v13, 0x7f800000, v117
	v_cmp_ne_u32_e32 vcc_lo, 0x7f800000, v13
	v_mov_b32_e32 v13, 0x8000
	s_and_saveexec_b32 s25, vcc_lo
	s_cbranch_execz .LBB2_2915
; %bb.3373:                             ;   in Loop: Header=BB2_2916 Depth=2
	v_mov_b32_e32 v13, 0
	s_mov_b32 s26, exec_lo
	v_cmpx_ne_u32_e32 0, v117
	s_cbranch_execz .LBB2_2914
; %bb.3374:                             ;   in Loop: Header=BB2_2916 Depth=2
	v_bfe_u32 v13, v117, 23, 8
	v_and_b32_e32 v17, 0x7fffff, v117
	s_delay_alu instid0(VALU_DEP_2) | instskip(SKIP_1) | instid1(VALU_DEP_3)
	v_sub_nc_u32_e32 v115, 0x78, v13
	v_cmp_gt_u32_e32 vcc_lo, 0x79, v13
	v_or_b32_e32 v116, 0x800000, v17
	s_delay_alu instid0(VALU_DEP_3) | instskip(SKIP_2) | instid1(VALU_DEP_3)
	v_cndmask_b32_e32 v115, 0, v115, vcc_lo
	v_cmp_eq_u32_e32 vcc_lo, 0, v13
	v_add_nc_u32_e32 v13, 0xffffff89, v13
	v_cndmask_b32_e64 v115, v115, 0x77, vcc_lo
	v_cndmask_b32_e32 v17, v116, v17, vcc_lo
	s_delay_alu instid0(VALU_DEP_3) | instskip(NEXT) | instid1(VALU_DEP_3)
	v_cndmask_b32_e64 v13, v13, 0xffffff8a, vcc_lo
	v_lshl_add_u32 v116, 0x100000, v115, -1
	s_delay_alu instid0(VALU_DEP_3) | instskip(SKIP_1) | instid1(VALU_DEP_4)
	v_lshrrev_b32_e32 v118, v115, v17
	v_lshlrev_b32_e64 v128, v115, 0x80000
	v_add_nc_u32_e32 v115, v115, v13
	s_delay_alu instid0(VALU_DEP_4) | instskip(NEXT) | instid1(VALU_DEP_4)
	v_and_b32_e32 v17, v116, v17
	v_bfe_u32 v119, v118, 20, 1
	s_delay_alu instid0(VALU_DEP_2) | instskip(NEXT) | instid1(VALU_DEP_2)
	v_cmp_eq_u32_e64 s7, v17, v128
	v_add_nc_u32_e32 v116, -1, v119
	s_delay_alu instid0(VALU_DEP_1) | instskip(SKIP_2) | instid1(VALU_DEP_2)
	v_cndmask_b32_e64 v17, 0, v116, s7
	v_lshrrev_b32_e32 v116, 23, v118
	s_mov_b32 s7, exec_lo
	v_add_nc_u32_e32 v17, v17, v118
	s_delay_alu instid0(VALU_DEP_2) | instskip(NEXT) | instid1(VALU_DEP_2)
	v_xor_b32_e32 v116, 1, v116
	v_and_b32_e32 v13, 0xfffff, v17
	s_delay_alu instid0(VALU_DEP_1) | instskip(NEXT) | instid1(VALU_DEP_3)
	v_add_nc_u32_e32 v17, v13, v118
                                        ; implicit-def: $vgpr13
	v_cmpx_ne_u32_e64 v115, v116
	s_xor_b32 s7, exec_lo, s7
; %bb.3375:                             ;   in Loop: Header=BB2_2916 Depth=2
	s_delay_alu instid0(VALU_DEP_2) | instskip(SKIP_2) | instid1(VALU_DEP_2)
	v_cmp_lt_u32_e32 vcc_lo, 0xffffff, v17
	v_sub_nc_u32_e32 v13, v115, v116
	v_cndmask_b32_e64 v115, 0, 1, vcc_lo
	v_add_co_ci_u32_e32 v13, vcc_lo, 0, v13, vcc_lo
	s_delay_alu instid0(VALU_DEP_2)
	v_lshrrev_b32_e32 v17, v115, v17
; %bb.3376:                             ;   in Loop: Header=BB2_2916 Depth=2
	s_and_not1_saveexec_b32 s7, s7
	s_cbranch_execz .LBB2_2913
; %bb.3377:                             ;   in Loop: Header=BB2_2916 Depth=2
	s_delay_alu instid0(VALU_DEP_1)
	v_bfe_u32 v13, v17, 23, 1
	s_branch .LBB2_2913
.LBB2_3378:                             ;   in Loop: Header=BB2_2916 Depth=2
	s_mov_b32 s7, -1
	s_mov_b32 s27, exec_lo
                                        ; implicit-def: $sgpr25
	v_cmpx_eq_u16_e32 0x80, v99
; %bb.3379:                             ;   in Loop: Header=BB2_2916 Depth=2
	s_mov_b32 s25, 0x7f800001
	s_xor_b32 s7, exec_lo, -1
; %bb.3380:                             ;   in Loop: Header=BB2_2916 Depth=2
	s_or_b32 exec_lo, exec_lo, s27
	s_delay_alu instid0(SALU_CYCLE_1)
	s_and_b32 s7, s7, exec_lo
                                        ; implicit-def: $vgpr99
	s_or_saveexec_b32 s26, s26
	v_mov_b32_e32 v98, s25
	s_xor_b32 exec_lo, exec_lo, s26
	s_cbranch_execz .LBB2_2919
.LBB2_3381:                             ;   in Loop: Header=BB2_2916 Depth=2
	v_cmp_ne_u16_e32 vcc_lo, 0, v99
	v_mov_b32_e32 v98, 0
	s_and_not1_b32 s7, s7, exec_lo
	s_and_b32 s25, vcc_lo, exec_lo
	s_delay_alu instid0(SALU_CYCLE_1)
	s_or_b32 s7, s7, s25
	s_or_b32 exec_lo, exec_lo, s26
	s_and_saveexec_b32 s25, s7
	s_cbranch_execnz .LBB2_2920
	s_branch .LBB2_2921
.LBB2_3382:                             ;   in Loop: Header=BB2_2916 Depth=2
	s_mov_b32 s7, -1
	s_mov_b32 s27, exec_lo
                                        ; implicit-def: $sgpr25
	v_cmpx_eq_u16_e32 0x80, v100
; %bb.3383:                             ;   in Loop: Header=BB2_2916 Depth=2
	s_mov_b32 s25, 0x7f800001
	s_xor_b32 s7, exec_lo, -1
; %bb.3384:                             ;   in Loop: Header=BB2_2916 Depth=2
	s_or_b32 exec_lo, exec_lo, s27
	s_delay_alu instid0(SALU_CYCLE_1)
	s_and_b32 s7, s7, exec_lo
                                        ; implicit-def: $vgpr100
	s_or_saveexec_b32 s26, s26
	v_mov_b32_e32 v99, s25
	s_xor_b32 exec_lo, exec_lo, s26
	s_cbranch_execz .LBB2_2923
.LBB2_3385:                             ;   in Loop: Header=BB2_2916 Depth=2
	v_cmp_ne_u16_e32 vcc_lo, 0, v100
	v_mov_b32_e32 v99, 0
	s_and_not1_b32 s7, s7, exec_lo
	s_and_b32 s25, vcc_lo, exec_lo
	s_delay_alu instid0(SALU_CYCLE_1)
	s_or_b32 s7, s7, s25
	s_or_b32 exec_lo, exec_lo, s26
	s_and_saveexec_b32 s25, s7
	s_cbranch_execnz .LBB2_2924
	s_branch .LBB2_2925
.LBB2_3386:                             ;   in Loop: Header=BB2_2916 Depth=2
	s_mov_b32 s7, -1
	s_mov_b32 s27, exec_lo
                                        ; implicit-def: $sgpr25
	v_cmpx_eq_u16_e32 0x80, v99
; %bb.3387:                             ;   in Loop: Header=BB2_2916 Depth=2
	s_mov_b32 s25, 0x7f800001
	s_xor_b32 s7, exec_lo, -1
; %bb.3388:                             ;   in Loop: Header=BB2_2916 Depth=2
	s_or_b32 exec_lo, exec_lo, s27
	s_delay_alu instid0(SALU_CYCLE_1)
	s_and_b32 s7, s7, exec_lo
                                        ; implicit-def: $vgpr99
	s_or_saveexec_b32 s26, s26
	v_mov_b32_e32 v98, s25
	s_xor_b32 exec_lo, exec_lo, s26
	s_cbranch_execz .LBB2_2930
.LBB2_3389:                             ;   in Loop: Header=BB2_2916 Depth=2
	v_cmp_ne_u16_e32 vcc_lo, 0, v99
	v_mov_b32_e32 v98, 0
	s_and_not1_b32 s7, s7, exec_lo
	s_and_b32 s25, vcc_lo, exec_lo
	s_delay_alu instid0(SALU_CYCLE_1)
	s_or_b32 s7, s7, s25
	s_or_b32 exec_lo, exec_lo, s26
	s_and_saveexec_b32 s25, s7
	s_cbranch_execnz .LBB2_2931
	s_branch .LBB2_2932
.LBB2_3390:                             ;   in Loop: Header=BB2_2916 Depth=2
	s_mov_b32 s7, -1
	s_mov_b32 s27, exec_lo
                                        ; implicit-def: $sgpr25
	v_cmpx_eq_u16_e32 0x80, v100
; %bb.3391:                             ;   in Loop: Header=BB2_2916 Depth=2
	s_mov_b32 s25, 0x7f800001
	s_xor_b32 s7, exec_lo, -1
; %bb.3392:                             ;   in Loop: Header=BB2_2916 Depth=2
	s_or_b32 exec_lo, exec_lo, s27
	s_delay_alu instid0(SALU_CYCLE_1)
	s_and_b32 s7, s7, exec_lo
                                        ; implicit-def: $vgpr100
	s_or_saveexec_b32 s26, s26
	v_mov_b32_e32 v99, s25
	s_xor_b32 exec_lo, exec_lo, s26
	s_cbranch_execz .LBB2_2934
.LBB2_3393:                             ;   in Loop: Header=BB2_2916 Depth=2
	v_cmp_ne_u16_e32 vcc_lo, 0, v100
	v_mov_b32_e32 v99, 0
	s_and_not1_b32 s7, s7, exec_lo
	s_and_b32 s25, vcc_lo, exec_lo
	s_delay_alu instid0(SALU_CYCLE_1)
	s_or_b32 s7, s7, s25
	s_or_b32 exec_lo, exec_lo, s26
	s_and_saveexec_b32 s25, s7
	s_cbranch_execnz .LBB2_2935
	s_branch .LBB2_2936
.LBB2_3394:                             ;   in Loop: Header=BB2_2916 Depth=2
	s_mov_b32 s7, -1
	s_mov_b32 s27, exec_lo
                                        ; implicit-def: $sgpr25
	v_cmpx_eq_u16_e32 0x80, v100
; %bb.3395:                             ;   in Loop: Header=BB2_2916 Depth=2
	s_mov_b32 s25, 0x7f800001
	s_xor_b32 s7, exec_lo, -1
; %bb.3396:                             ;   in Loop: Header=BB2_2916 Depth=2
	s_or_b32 exec_lo, exec_lo, s27
	s_delay_alu instid0(SALU_CYCLE_1)
	s_and_b32 s7, s7, exec_lo
	s_or_saveexec_b32 s26, s26
	v_mov_b32_e32 v101, s25
	s_xor_b32 exec_lo, exec_lo, s26
	s_cbranch_execz .LBB2_2948
.LBB2_3397:                             ;   in Loop: Header=BB2_2916 Depth=2
	v_cmp_ne_u16_e32 vcc_lo, 0, v100
	v_mov_b32_e32 v101, 0
	s_and_not1_b32 s7, s7, exec_lo
	s_and_b32 s25, vcc_lo, exec_lo
	s_delay_alu instid0(SALU_CYCLE_1)
	s_or_b32 s7, s7, s25
	s_or_b32 exec_lo, exec_lo, s26
	s_and_saveexec_b32 s25, s7
	s_cbranch_execnz .LBB2_2949
	s_branch .LBB2_2950
.LBB2_3398:                             ;   in Loop: Header=BB2_2916 Depth=2
	s_mov_b32 s7, -1
	s_mov_b32 s27, exec_lo
                                        ; implicit-def: $sgpr25
	v_cmpx_eq_u16_e32 0x80, v99
; %bb.3399:                             ;   in Loop: Header=BB2_2916 Depth=2
	s_mov_b32 s25, 0x7f800001
	s_xor_b32 s7, exec_lo, -1
; %bb.3400:                             ;   in Loop: Header=BB2_2916 Depth=2
	s_or_b32 exec_lo, exec_lo, s27
	s_delay_alu instid0(SALU_CYCLE_1)
	s_and_b32 s7, s7, exec_lo
	s_or_saveexec_b32 s26, s26
	v_mov_b32_e32 v102, s25
	s_xor_b32 exec_lo, exec_lo, s26
	s_cbranch_execz .LBB2_2952
.LBB2_3401:                             ;   in Loop: Header=BB2_2916 Depth=2
	v_cmp_ne_u16_e32 vcc_lo, 0, v99
	v_mov_b32_e32 v102, 0
	s_and_not1_b32 s7, s7, exec_lo
	s_and_b32 s25, vcc_lo, exec_lo
	s_delay_alu instid0(SALU_CYCLE_1)
	s_or_b32 s7, s7, s25
	s_or_b32 exec_lo, exec_lo, s26
	s_and_saveexec_b32 s25, s7
	s_cbranch_execnz .LBB2_2953
	s_branch .LBB2_2954
.LBB2_3402:                             ;   in Loop: Header=BB2_2916 Depth=2
	s_mov_b32 s7, -1
	s_mov_b32 s27, exec_lo
                                        ; implicit-def: $sgpr25
	v_cmpx_eq_u16_e32 0x80, v100
; %bb.3403:                             ;   in Loop: Header=BB2_2916 Depth=2
	s_mov_b32 s25, 0x7f800001
	s_xor_b32 s7, exec_lo, -1
; %bb.3404:                             ;   in Loop: Header=BB2_2916 Depth=2
	s_or_b32 exec_lo, exec_lo, s27
	s_delay_alu instid0(SALU_CYCLE_1)
	s_and_b32 s7, s7, exec_lo
	s_or_saveexec_b32 s26, s26
	v_mov_b32_e32 v101, s25
	s_xor_b32 exec_lo, exec_lo, s26
	s_cbranch_execz .LBB2_2959
.LBB2_3405:                             ;   in Loop: Header=BB2_2916 Depth=2
	v_cmp_ne_u16_e32 vcc_lo, 0, v100
	v_mov_b32_e32 v101, 0
	s_and_not1_b32 s7, s7, exec_lo
	s_and_b32 s25, vcc_lo, exec_lo
	s_delay_alu instid0(SALU_CYCLE_1)
	s_or_b32 s7, s7, s25
	s_or_b32 exec_lo, exec_lo, s26
	s_and_saveexec_b32 s25, s7
	s_cbranch_execnz .LBB2_2960
	s_branch .LBB2_2961
.LBB2_3406:                             ;   in Loop: Header=BB2_2916 Depth=2
	s_mov_b32 s7, -1
	s_mov_b32 s27, exec_lo
                                        ; implicit-def: $sgpr25
	v_cmpx_eq_u16_e32 0x80, v99
; %bb.3407:                             ;   in Loop: Header=BB2_2916 Depth=2
	s_mov_b32 s25, 0x7f800001
	s_xor_b32 s7, exec_lo, -1
; %bb.3408:                             ;   in Loop: Header=BB2_2916 Depth=2
	s_or_b32 exec_lo, exec_lo, s27
	s_delay_alu instid0(SALU_CYCLE_1)
	s_and_b32 s7, s7, exec_lo
	s_or_saveexec_b32 s26, s26
	v_mov_b32_e32 v100, s25
	s_xor_b32 exec_lo, exec_lo, s26
	s_cbranch_execz .LBB2_2963
.LBB2_3409:                             ;   in Loop: Header=BB2_2916 Depth=2
	v_cmp_ne_u16_e32 vcc_lo, 0, v99
	v_mov_b32_e32 v100, 0
	s_and_not1_b32 s7, s7, exec_lo
	s_and_b32 s25, vcc_lo, exec_lo
	s_delay_alu instid0(SALU_CYCLE_1)
	s_or_b32 s7, s7, s25
	s_or_b32 exec_lo, exec_lo, s26
	s_and_saveexec_b32 s25, s7
	s_cbranch_execnz .LBB2_2964
	s_branch .LBB2_2965
.LBB2_3410:                             ;   in Loop: Header=BB2_2916 Depth=2
	s_mov_b32 s7, -1
	s_mov_b32 s27, exec_lo
                                        ; implicit-def: $sgpr25
	v_cmpx_eq_u16_e32 0x80, v103
; %bb.3411:                             ;   in Loop: Header=BB2_2916 Depth=2
	s_mov_b32 s25, 0x7f800001
	s_xor_b32 s7, exec_lo, -1
; %bb.3412:                             ;   in Loop: Header=BB2_2916 Depth=2
	s_or_b32 exec_lo, exec_lo, s27
	s_delay_alu instid0(SALU_CYCLE_1)
	s_and_b32 s7, s7, exec_lo
                                        ; implicit-def: $vgpr103
	s_or_saveexec_b32 s26, s26
	v_mov_b32_e32 v102, s25
	s_xor_b32 exec_lo, exec_lo, s26
	s_cbranch_execz .LBB2_2977
.LBB2_3413:                             ;   in Loop: Header=BB2_2916 Depth=2
	v_cmp_ne_u16_e32 vcc_lo, 0, v103
	v_mov_b32_e32 v102, 0
	s_and_not1_b32 s7, s7, exec_lo
	s_and_b32 s25, vcc_lo, exec_lo
	s_delay_alu instid0(SALU_CYCLE_1)
	s_or_b32 s7, s7, s25
	s_or_b32 exec_lo, exec_lo, s26
	s_and_saveexec_b32 s25, s7
	s_cbranch_execnz .LBB2_2978
	s_branch .LBB2_2979
.LBB2_3414:                             ;   in Loop: Header=BB2_2916 Depth=2
	s_mov_b32 s7, -1
	s_mov_b32 s27, exec_lo
                                        ; implicit-def: $sgpr25
	v_cmpx_eq_u16_e32 0x80, v112
; %bb.3415:                             ;   in Loop: Header=BB2_2916 Depth=2
	s_mov_b32 s25, 0x7f800001
	s_xor_b32 s7, exec_lo, -1
; %bb.3416:                             ;   in Loop: Header=BB2_2916 Depth=2
	s_or_b32 exec_lo, exec_lo, s27
	s_delay_alu instid0(SALU_CYCLE_1)
	s_and_b32 s7, s7, exec_lo
                                        ; implicit-def: $vgpr112
	s_or_saveexec_b32 s26, s26
	v_mov_b32_e32 v103, s25
	s_xor_b32 exec_lo, exec_lo, s26
	s_cbranch_execz .LBB2_2981
.LBB2_3417:                             ;   in Loop: Header=BB2_2916 Depth=2
	v_cmp_ne_u16_e32 vcc_lo, 0, v112
	v_mov_b32_e32 v103, 0
	s_and_not1_b32 s7, s7, exec_lo
	s_and_b32 s25, vcc_lo, exec_lo
	s_delay_alu instid0(SALU_CYCLE_1)
	s_or_b32 s7, s7, s25
	s_or_b32 exec_lo, exec_lo, s26
	s_and_saveexec_b32 s25, s7
	s_cbranch_execnz .LBB2_2982
	s_branch .LBB2_2983
.LBB2_3418:                             ;   in Loop: Header=BB2_2916 Depth=2
	s_mov_b32 s7, -1
	s_mov_b32 s27, exec_lo
                                        ; implicit-def: $sgpr25
	v_cmpx_eq_u16_e32 0x80, v103
; %bb.3419:                             ;   in Loop: Header=BB2_2916 Depth=2
	s_mov_b32 s25, 0x7f800001
	s_xor_b32 s7, exec_lo, -1
; %bb.3420:                             ;   in Loop: Header=BB2_2916 Depth=2
	s_or_b32 exec_lo, exec_lo, s27
	s_delay_alu instid0(SALU_CYCLE_1)
	s_and_b32 s7, s7, exec_lo
                                        ; implicit-def: $vgpr103
	s_or_saveexec_b32 s26, s26
	v_mov_b32_e32 v102, s25
	s_xor_b32 exec_lo, exec_lo, s26
	s_cbranch_execz .LBB2_2988
.LBB2_3421:                             ;   in Loop: Header=BB2_2916 Depth=2
	v_cmp_ne_u16_e32 vcc_lo, 0, v103
	v_mov_b32_e32 v102, 0
	s_and_not1_b32 s7, s7, exec_lo
	s_and_b32 s25, vcc_lo, exec_lo
	s_delay_alu instid0(SALU_CYCLE_1)
	s_or_b32 s7, s7, s25
	s_or_b32 exec_lo, exec_lo, s26
	s_and_saveexec_b32 s25, s7
	s_cbranch_execnz .LBB2_2989
	s_branch .LBB2_2990
.LBB2_3422:                             ;   in Loop: Header=BB2_2916 Depth=2
	s_mov_b32 s7, -1
	s_mov_b32 s27, exec_lo
                                        ; implicit-def: $sgpr25
	v_cmpx_eq_u16_e32 0x80, v103
; %bb.3423:                             ;   in Loop: Header=BB2_2916 Depth=2
	s_mov_b32 s25, 0x7f800001
	s_xor_b32 s7, exec_lo, -1
; %bb.3424:                             ;   in Loop: Header=BB2_2916 Depth=2
	s_or_b32 exec_lo, exec_lo, s27
	s_delay_alu instid0(SALU_CYCLE_1)
	s_and_b32 s7, s7, exec_lo
                                        ; implicit-def: $vgpr103
	s_or_saveexec_b32 s26, s26
	v_mov_b32_e32 v101, s25
	s_xor_b32 exec_lo, exec_lo, s26
	s_cbranch_execz .LBB2_2992
.LBB2_3425:                             ;   in Loop: Header=BB2_2916 Depth=2
	v_cmp_ne_u16_e32 vcc_lo, 0, v103
	v_mov_b32_e32 v101, 0
	s_and_not1_b32 s7, s7, exec_lo
	s_and_b32 s25, vcc_lo, exec_lo
	s_delay_alu instid0(SALU_CYCLE_1)
	s_or_b32 s7, s7, s25
	s_or_b32 exec_lo, exec_lo, s26
	s_and_saveexec_b32 s25, s7
	s_cbranch_execnz .LBB2_2993
	s_branch .LBB2_2994
.LBB2_3426:                             ;   in Loop: Header=BB2_2916 Depth=2
	s_mov_b32 s7, -1
	s_mov_b32 s27, exec_lo
                                        ; implicit-def: $sgpr25
	v_cmpx_eq_u16_e32 0x80, v102
; %bb.3427:                             ;   in Loop: Header=BB2_2916 Depth=2
	s_mov_b32 s25, 0x7f800001
	s_xor_b32 s7, exec_lo, -1
; %bb.3428:                             ;   in Loop: Header=BB2_2916 Depth=2
	s_or_b32 exec_lo, exec_lo, s27
	s_delay_alu instid0(SALU_CYCLE_1)
	s_and_b32 s7, s7, exec_lo
	s_or_saveexec_b32 s26, s26
	v_mov_b32_e32 v103, s25
	s_xor_b32 exec_lo, exec_lo, s26
	s_cbranch_execz .LBB2_3006
.LBB2_3429:                             ;   in Loop: Header=BB2_2916 Depth=2
	v_cmp_ne_u16_e32 vcc_lo, 0, v102
	v_mov_b32_e32 v103, 0
	s_and_not1_b32 s7, s7, exec_lo
	s_and_b32 s25, vcc_lo, exec_lo
	s_delay_alu instid0(SALU_CYCLE_1)
	s_or_b32 s7, s7, s25
	s_or_b32 exec_lo, exec_lo, s26
	s_and_saveexec_b32 s25, s7
	s_cbranch_execnz .LBB2_3007
	s_branch .LBB2_3008
.LBB2_3430:                             ;   in Loop: Header=BB2_2916 Depth=2
	s_mov_b32 s7, -1
	s_mov_b32 s27, exec_lo
                                        ; implicit-def: $sgpr25
	v_cmpx_eq_u16_e32 0x80, v101
; %bb.3431:                             ;   in Loop: Header=BB2_2916 Depth=2
	s_mov_b32 s25, 0x7f800001
	s_xor_b32 s7, exec_lo, -1
; %bb.3432:                             ;   in Loop: Header=BB2_2916 Depth=2
	s_or_b32 exec_lo, exec_lo, s27
	s_delay_alu instid0(SALU_CYCLE_1)
	s_and_b32 s7, s7, exec_lo
	s_or_saveexec_b32 s26, s26
	v_mov_b32_e32 v112, s25
	s_xor_b32 exec_lo, exec_lo, s26
	s_cbranch_execz .LBB2_3010
.LBB2_3433:                             ;   in Loop: Header=BB2_2916 Depth=2
	v_cmp_ne_u16_e32 vcc_lo, 0, v101
	v_mov_b32_e32 v112, 0
	s_and_not1_b32 s7, s7, exec_lo
	s_and_b32 s25, vcc_lo, exec_lo
	s_delay_alu instid0(SALU_CYCLE_1)
	s_or_b32 s7, s7, s25
	s_or_b32 exec_lo, exec_lo, s26
	s_and_saveexec_b32 s25, s7
	s_cbranch_execnz .LBB2_3011
	s_branch .LBB2_3012
.LBB2_3434:                             ;   in Loop: Header=BB2_2916 Depth=2
	s_mov_b32 s7, -1
	s_mov_b32 s27, exec_lo
                                        ; implicit-def: $sgpr25
	v_cmpx_eq_u16_e32 0x80, v102
; %bb.3435:                             ;   in Loop: Header=BB2_2916 Depth=2
	s_mov_b32 s25, 0x7f800001
	s_xor_b32 s7, exec_lo, -1
; %bb.3436:                             ;   in Loop: Header=BB2_2916 Depth=2
	s_or_b32 exec_lo, exec_lo, s27
	s_delay_alu instid0(SALU_CYCLE_1)
	s_and_b32 s7, s7, exec_lo
	s_or_saveexec_b32 s26, s26
	v_mov_b32_e32 v103, s25
	s_xor_b32 exec_lo, exec_lo, s26
	s_cbranch_execz .LBB2_3017
.LBB2_3437:                             ;   in Loop: Header=BB2_2916 Depth=2
	v_cmp_ne_u16_e32 vcc_lo, 0, v102
	v_mov_b32_e32 v103, 0
	s_and_not1_b32 s7, s7, exec_lo
	s_and_b32 s25, vcc_lo, exec_lo
	s_delay_alu instid0(SALU_CYCLE_1)
	s_or_b32 s7, s7, s25
	s_or_b32 exec_lo, exec_lo, s26
	s_and_saveexec_b32 s25, s7
	s_cbranch_execnz .LBB2_3018
	s_branch .LBB2_3019
.LBB2_3438:                             ;   in Loop: Header=BB2_2916 Depth=2
	s_mov_b32 s7, -1
	s_mov_b32 s27, exec_lo
                                        ; implicit-def: $sgpr25
	v_cmpx_eq_u16_e32 0x80, v101
; %bb.3439:                             ;   in Loop: Header=BB2_2916 Depth=2
	s_mov_b32 s25, 0x7f800001
	s_xor_b32 s7, exec_lo, -1
; %bb.3440:                             ;   in Loop: Header=BB2_2916 Depth=2
	s_or_b32 exec_lo, exec_lo, s27
	s_delay_alu instid0(SALU_CYCLE_1)
	s_and_b32 s7, s7, exec_lo
	s_or_saveexec_b32 s26, s26
	v_mov_b32_e32 v14, s25
	s_xor_b32 exec_lo, exec_lo, s26
	s_cbranch_execz .LBB2_3021
.LBB2_3441:                             ;   in Loop: Header=BB2_2916 Depth=2
	v_cmp_ne_u16_e32 vcc_lo, 0, v101
	v_mov_b32_e32 v14, 0
	s_and_not1_b32 s7, s7, exec_lo
	s_and_b32 s25, vcc_lo, exec_lo
	s_delay_alu instid0(SALU_CYCLE_1)
	s_or_b32 s7, s7, s25
	s_or_b32 exec_lo, exec_lo, s26
	s_and_saveexec_b32 s25, s7
	s_cbranch_execnz .LBB2_3022
	s_branch .LBB2_3023
.LBB2_3442:                             ;   in Loop: Header=BB2_2916 Depth=2
	s_mov_b32 s7, -1
	s_mov_b32 s27, exec_lo
                                        ; implicit-def: $sgpr25
	v_cmpx_eq_u16_e32 0x80, v101
; %bb.3443:                             ;   in Loop: Header=BB2_2916 Depth=2
	s_mov_b32 s25, 0x7f800001
	s_xor_b32 s7, exec_lo, -1
; %bb.3444:                             ;   in Loop: Header=BB2_2916 Depth=2
	s_or_b32 exec_lo, exec_lo, s27
	s_delay_alu instid0(SALU_CYCLE_1)
	s_and_b32 s7, s7, exec_lo
                                        ; implicit-def: $vgpr101
	s_or_saveexec_b32 s26, s26
	v_mov_b32_e32 v14, s25
	s_xor_b32 exec_lo, exec_lo, s26
	s_cbranch_execz .LBB2_3035
.LBB2_3445:                             ;   in Loop: Header=BB2_2916 Depth=2
	v_cmp_ne_u16_e32 vcc_lo, 0, v101
	v_mov_b32_e32 v14, 0
	s_and_not1_b32 s7, s7, exec_lo
	s_and_b32 s25, vcc_lo, exec_lo
	s_delay_alu instid0(SALU_CYCLE_1)
	s_or_b32 s7, s7, s25
	s_or_b32 exec_lo, exec_lo, s26
	s_and_saveexec_b32 s25, s7
	s_cbranch_execnz .LBB2_3036
	s_branch .LBB2_3037
.LBB2_3446:                             ;   in Loop: Header=BB2_2916 Depth=2
	s_mov_b32 s7, -1
	s_mov_b32 s27, exec_lo
                                        ; implicit-def: $sgpr25
	v_cmpx_eq_u16_e32 0x80, v102
; %bb.3447:                             ;   in Loop: Header=BB2_2916 Depth=2
	s_mov_b32 s25, 0x7f800001
	s_xor_b32 s7, exec_lo, -1
; %bb.3448:                             ;   in Loop: Header=BB2_2916 Depth=2
	s_or_b32 exec_lo, exec_lo, s27
	s_delay_alu instid0(SALU_CYCLE_1)
	s_and_b32 s7, s7, exec_lo
                                        ; implicit-def: $vgpr102
	s_or_saveexec_b32 s26, s26
	v_mov_b32_e32 v101, s25
	s_xor_b32 exec_lo, exec_lo, s26
	s_cbranch_execz .LBB2_3039
.LBB2_3449:                             ;   in Loop: Header=BB2_2916 Depth=2
	v_cmp_ne_u16_e32 vcc_lo, 0, v102
	v_mov_b32_e32 v101, 0
	s_and_not1_b32 s7, s7, exec_lo
	s_and_b32 s25, vcc_lo, exec_lo
	s_delay_alu instid0(SALU_CYCLE_1)
	s_or_b32 s7, s7, s25
	s_or_b32 exec_lo, exec_lo, s26
	s_and_saveexec_b32 s25, s7
	s_cbranch_execnz .LBB2_3040
	s_branch .LBB2_3041
.LBB2_3450:                             ;   in Loop: Header=BB2_2916 Depth=2
	s_mov_b32 s7, -1
	s_mov_b32 s27, exec_lo
                                        ; implicit-def: $sgpr25
	v_cmpx_eq_u16_e32 0x80, v101
; %bb.3451:                             ;   in Loop: Header=BB2_2916 Depth=2
	s_mov_b32 s25, 0x7f800001
	s_xor_b32 s7, exec_lo, -1
; %bb.3452:                             ;   in Loop: Header=BB2_2916 Depth=2
	s_or_b32 exec_lo, exec_lo, s27
	s_delay_alu instid0(SALU_CYCLE_1)
	s_and_b32 s7, s7, exec_lo
                                        ; implicit-def: $vgpr101
	s_or_saveexec_b32 s26, s26
	v_mov_b32_e32 v14, s25
	s_xor_b32 exec_lo, exec_lo, s26
	s_cbranch_execz .LBB2_3046
.LBB2_3453:                             ;   in Loop: Header=BB2_2916 Depth=2
	v_cmp_ne_u16_e32 vcc_lo, 0, v101
	v_mov_b32_e32 v14, 0
	s_and_not1_b32 s7, s7, exec_lo
	s_and_b32 s25, vcc_lo, exec_lo
	s_delay_alu instid0(SALU_CYCLE_1)
	s_or_b32 s7, s7, s25
	s_or_b32 exec_lo, exec_lo, s26
	s_and_saveexec_b32 s25, s7
	s_cbranch_execnz .LBB2_3047
	s_branch .LBB2_3048
.LBB2_3454:                             ;   in Loop: Header=BB2_2916 Depth=2
	s_mov_b32 s7, -1
	s_mov_b32 s27, exec_lo
                                        ; implicit-def: $sgpr25
	v_cmpx_eq_u16_e32 0x80, v102
; %bb.3455:                             ;   in Loop: Header=BB2_2916 Depth=2
	s_mov_b32 s25, 0x7f800001
	s_xor_b32 s7, exec_lo, -1
; %bb.3456:                             ;   in Loop: Header=BB2_2916 Depth=2
	s_or_b32 exec_lo, exec_lo, s27
	s_delay_alu instid0(SALU_CYCLE_1)
	s_and_b32 s7, s7, exec_lo
                                        ; implicit-def: $vgpr102
	s_or_saveexec_b32 s26, s26
	v_mov_b32_e32 v101, s25
	s_xor_b32 exec_lo, exec_lo, s26
	s_cbranch_execz .LBB2_3050
.LBB2_3457:                             ;   in Loop: Header=BB2_2916 Depth=2
	v_cmp_ne_u16_e32 vcc_lo, 0, v102
	v_mov_b32_e32 v101, 0
	s_and_not1_b32 s7, s7, exec_lo
	s_and_b32 s25, vcc_lo, exec_lo
	s_delay_alu instid0(SALU_CYCLE_1)
	s_or_b32 s7, s7, s25
	s_or_b32 exec_lo, exec_lo, s26
	s_and_saveexec_b32 s25, s7
	s_cbranch_execnz .LBB2_3051
	s_branch .LBB2_3052
.LBB2_3458:                             ;   in Loop: Header=BB2_2916 Depth=2
	s_mov_b32 s7, -1
	s_mov_b32 s27, exec_lo
                                        ; implicit-def: $sgpr25
	v_cmpx_eq_u16_e32 0x80, v102
; %bb.3459:                             ;   in Loop: Header=BB2_2916 Depth=2
	s_mov_b32 s25, 0x7f800001
	s_xor_b32 s7, exec_lo, -1
; %bb.3460:                             ;   in Loop: Header=BB2_2916 Depth=2
	s_or_b32 exec_lo, exec_lo, s27
	s_delay_alu instid0(SALU_CYCLE_1)
	s_and_b32 s7, s7, exec_lo
	s_or_saveexec_b32 s26, s26
	v_mov_b32_e32 v103, s25
	s_xor_b32 exec_lo, exec_lo, s26
	s_cbranch_execz .LBB2_3064
.LBB2_3461:                             ;   in Loop: Header=BB2_2916 Depth=2
	v_cmp_ne_u16_e32 vcc_lo, 0, v102
	v_mov_b32_e32 v103, 0
	s_and_not1_b32 s7, s7, exec_lo
	s_and_b32 s25, vcc_lo, exec_lo
	s_delay_alu instid0(SALU_CYCLE_1)
	s_or_b32 s7, s7, s25
	s_or_b32 exec_lo, exec_lo, s26
	s_and_saveexec_b32 s25, s7
	s_cbranch_execnz .LBB2_3065
	s_branch .LBB2_3066
.LBB2_3462:                             ;   in Loop: Header=BB2_2916 Depth=2
	s_mov_b32 s7, -1
	s_mov_b32 s27, exec_lo
                                        ; implicit-def: $sgpr25
	v_cmpx_eq_u16_e32 0x80, v101
; %bb.3463:                             ;   in Loop: Header=BB2_2916 Depth=2
	s_mov_b32 s25, 0x7f800001
	s_xor_b32 s7, exec_lo, -1
; %bb.3464:                             ;   in Loop: Header=BB2_2916 Depth=2
	s_or_b32 exec_lo, exec_lo, s27
	s_delay_alu instid0(SALU_CYCLE_1)
	s_and_b32 s7, s7, exec_lo
	s_or_saveexec_b32 s26, s26
	v_mov_b32_e32 v112, s25
	s_xor_b32 exec_lo, exec_lo, s26
	s_cbranch_execz .LBB2_3068
.LBB2_3465:                             ;   in Loop: Header=BB2_2916 Depth=2
	v_cmp_ne_u16_e32 vcc_lo, 0, v101
	v_mov_b32_e32 v112, 0
	s_and_not1_b32 s7, s7, exec_lo
	s_and_b32 s25, vcc_lo, exec_lo
	s_delay_alu instid0(SALU_CYCLE_1)
	s_or_b32 s7, s7, s25
	s_or_b32 exec_lo, exec_lo, s26
	s_and_saveexec_b32 s25, s7
	s_cbranch_execnz .LBB2_3069
	s_branch .LBB2_3070
.LBB2_3466:                             ;   in Loop: Header=BB2_2916 Depth=2
	s_mov_b32 s7, -1
	s_mov_b32 s27, exec_lo
                                        ; implicit-def: $sgpr25
	v_cmpx_eq_u16_e32 0x80, v102
; %bb.3467:                             ;   in Loop: Header=BB2_2916 Depth=2
	s_mov_b32 s25, 0x7f800001
	s_xor_b32 s7, exec_lo, -1
; %bb.3468:                             ;   in Loop: Header=BB2_2916 Depth=2
	s_or_b32 exec_lo, exec_lo, s27
	s_delay_alu instid0(SALU_CYCLE_1)
	s_and_b32 s7, s7, exec_lo
	s_or_saveexec_b32 s26, s26
	v_mov_b32_e32 v103, s25
	s_xor_b32 exec_lo, exec_lo, s26
	s_cbranch_execz .LBB2_3075
.LBB2_3469:                             ;   in Loop: Header=BB2_2916 Depth=2
	v_cmp_ne_u16_e32 vcc_lo, 0, v102
	v_mov_b32_e32 v103, 0
	s_and_not1_b32 s7, s7, exec_lo
	s_and_b32 s25, vcc_lo, exec_lo
	s_delay_alu instid0(SALU_CYCLE_1)
	s_or_b32 s7, s7, s25
	s_or_b32 exec_lo, exec_lo, s26
	s_and_saveexec_b32 s25, s7
	s_cbranch_execnz .LBB2_3076
	s_branch .LBB2_3077
.LBB2_3470:                             ;   in Loop: Header=BB2_2916 Depth=2
	s_mov_b32 s7, -1
	s_mov_b32 s27, exec_lo
                                        ; implicit-def: $sgpr25
	v_cmpx_eq_u16_e32 0x80, v101
; %bb.3471:                             ;   in Loop: Header=BB2_2916 Depth=2
	s_mov_b32 s25, 0x7f800001
	s_xor_b32 s7, exec_lo, -1
; %bb.3472:                             ;   in Loop: Header=BB2_2916 Depth=2
	s_or_b32 exec_lo, exec_lo, s27
	s_delay_alu instid0(SALU_CYCLE_1)
	s_and_b32 s7, s7, exec_lo
	s_or_saveexec_b32 s26, s26
	v_mov_b32_e32 v102, s25
	s_xor_b32 exec_lo, exec_lo, s26
	s_cbranch_execz .LBB2_3079
.LBB2_3473:                             ;   in Loop: Header=BB2_2916 Depth=2
	v_cmp_ne_u16_e32 vcc_lo, 0, v101
	v_mov_b32_e32 v102, 0
	s_and_not1_b32 s7, s7, exec_lo
	s_and_b32 s25, vcc_lo, exec_lo
	s_delay_alu instid0(SALU_CYCLE_1)
	s_or_b32 s7, s7, s25
	s_or_b32 exec_lo, exec_lo, s26
	s_and_saveexec_b32 s25, s7
	s_cbranch_execnz .LBB2_3080
	s_branch .LBB2_3081
.LBB2_3474:                             ;   in Loop: Header=BB2_2916 Depth=2
	s_mov_b32 s7, -1
	s_mov_b32 s27, exec_lo
                                        ; implicit-def: $sgpr25
	v_cmpx_eq_u16_e32 0x80, v113
; %bb.3475:                             ;   in Loop: Header=BB2_2916 Depth=2
	s_mov_b32 s25, 0x7f800001
	s_xor_b32 s7, exec_lo, -1
; %bb.3476:                             ;   in Loop: Header=BB2_2916 Depth=2
	s_or_b32 exec_lo, exec_lo, s27
	s_delay_alu instid0(SALU_CYCLE_1)
	s_and_b32 s7, s7, exec_lo
                                        ; implicit-def: $vgpr113
	s_or_saveexec_b32 s26, s26
	v_mov_b32_e32 v112, s25
	s_xor_b32 exec_lo, exec_lo, s26
	s_cbranch_execz .LBB2_3093
.LBB2_3477:                             ;   in Loop: Header=BB2_2916 Depth=2
	v_cmp_ne_u16_e32 vcc_lo, 0, v113
	v_mov_b32_e32 v112, 0
	s_and_not1_b32 s7, s7, exec_lo
	s_and_b32 s25, vcc_lo, exec_lo
	s_delay_alu instid0(SALU_CYCLE_1)
	s_or_b32 s7, s7, s25
	s_or_b32 exec_lo, exec_lo, s26
	s_and_saveexec_b32 s25, s7
	s_cbranch_execnz .LBB2_3094
	s_branch .LBB2_3095
.LBB2_3478:                             ;   in Loop: Header=BB2_2916 Depth=2
	s_mov_b32 s7, -1
	s_mov_b32 s27, exec_lo
                                        ; implicit-def: $sgpr25
	v_cmpx_eq_u16_e32 0x80, v114
; %bb.3479:                             ;   in Loop: Header=BB2_2916 Depth=2
	s_mov_b32 s25, 0x7f800001
	s_xor_b32 s7, exec_lo, -1
; %bb.3480:                             ;   in Loop: Header=BB2_2916 Depth=2
	s_or_b32 exec_lo, exec_lo, s27
	s_delay_alu instid0(SALU_CYCLE_1)
	s_and_b32 s7, s7, exec_lo
                                        ; implicit-def: $vgpr114
	s_or_saveexec_b32 s26, s26
	v_mov_b32_e32 v113, s25
	s_xor_b32 exec_lo, exec_lo, s26
	s_cbranch_execz .LBB2_3097
.LBB2_3481:                             ;   in Loop: Header=BB2_2916 Depth=2
	v_cmp_ne_u16_e32 vcc_lo, 0, v114
	v_mov_b32_e32 v113, 0
	s_and_not1_b32 s7, s7, exec_lo
	s_and_b32 s25, vcc_lo, exec_lo
	s_delay_alu instid0(SALU_CYCLE_1)
	s_or_b32 s7, s7, s25
	s_or_b32 exec_lo, exec_lo, s26
	s_and_saveexec_b32 s25, s7
	s_cbranch_execnz .LBB2_3098
	s_branch .LBB2_3099
.LBB2_3482:                             ;   in Loop: Header=BB2_2916 Depth=2
	s_mov_b32 s7, -1
	s_mov_b32 s27, exec_lo
                                        ; implicit-def: $sgpr25
	v_cmpx_eq_u16_e32 0x80, v113
; %bb.3483:                             ;   in Loop: Header=BB2_2916 Depth=2
	s_mov_b32 s25, 0x7f800001
	s_xor_b32 s7, exec_lo, -1
; %bb.3484:                             ;   in Loop: Header=BB2_2916 Depth=2
	s_or_b32 exec_lo, exec_lo, s27
	s_delay_alu instid0(SALU_CYCLE_1)
	s_and_b32 s7, s7, exec_lo
                                        ; implicit-def: $vgpr113
	s_or_saveexec_b32 s26, s26
	v_mov_b32_e32 v112, s25
	s_xor_b32 exec_lo, exec_lo, s26
	s_cbranch_execz .LBB2_3104
.LBB2_3485:                             ;   in Loop: Header=BB2_2916 Depth=2
	v_cmp_ne_u16_e32 vcc_lo, 0, v113
	v_mov_b32_e32 v112, 0
	s_and_not1_b32 s7, s7, exec_lo
	s_and_b32 s25, vcc_lo, exec_lo
	s_delay_alu instid0(SALU_CYCLE_1)
	s_or_b32 s7, s7, s25
	s_or_b32 exec_lo, exec_lo, s26
	s_and_saveexec_b32 s25, s7
	s_cbranch_execnz .LBB2_3105
	s_branch .LBB2_3106
.LBB2_3486:                             ;   in Loop: Header=BB2_2916 Depth=2
	s_mov_b32 s7, -1
	s_mov_b32 s27, exec_lo
                                        ; implicit-def: $sgpr25
	v_cmpx_eq_u16_e32 0x80, v113
; %bb.3487:                             ;   in Loop: Header=BB2_2916 Depth=2
	s_mov_b32 s25, 0x7f800001
	s_xor_b32 s7, exec_lo, -1
; %bb.3488:                             ;   in Loop: Header=BB2_2916 Depth=2
	s_or_b32 exec_lo, exec_lo, s27
	s_delay_alu instid0(SALU_CYCLE_1)
	s_and_b32 s7, s7, exec_lo
                                        ; implicit-def: $vgpr113
	s_or_saveexec_b32 s26, s26
	v_mov_b32_e32 v103, s25
	s_xor_b32 exec_lo, exec_lo, s26
	s_cbranch_execz .LBB2_3108
.LBB2_3489:                             ;   in Loop: Header=BB2_2916 Depth=2
	v_cmp_ne_u16_e32 vcc_lo, 0, v113
	v_mov_b32_e32 v103, 0
	s_and_not1_b32 s7, s7, exec_lo
	s_and_b32 s25, vcc_lo, exec_lo
	s_delay_alu instid0(SALU_CYCLE_1)
	s_or_b32 s7, s7, s25
	s_or_b32 exec_lo, exec_lo, s26
	s_and_saveexec_b32 s25, s7
	s_cbranch_execnz .LBB2_3109
	s_branch .LBB2_3110
.LBB2_3490:                             ;   in Loop: Header=BB2_2916 Depth=2
	s_mov_b32 s7, -1
	s_mov_b32 s27, exec_lo
                                        ; implicit-def: $sgpr25
	v_cmpx_eq_u16_e32 0x80, v112
; %bb.3491:                             ;   in Loop: Header=BB2_2916 Depth=2
	s_mov_b32 s25, 0x7f800001
	s_xor_b32 s7, exec_lo, -1
; %bb.3492:                             ;   in Loop: Header=BB2_2916 Depth=2
	s_or_b32 exec_lo, exec_lo, s27
	s_delay_alu instid0(SALU_CYCLE_1)
	s_and_b32 s7, s7, exec_lo
	s_or_saveexec_b32 s26, s26
	v_mov_b32_e32 v113, s25
	s_xor_b32 exec_lo, exec_lo, s26
	s_cbranch_execz .LBB2_3122
.LBB2_3493:                             ;   in Loop: Header=BB2_2916 Depth=2
	v_cmp_ne_u16_e32 vcc_lo, 0, v112
	v_mov_b32_e32 v113, 0
	s_and_not1_b32 s7, s7, exec_lo
	s_and_b32 s25, vcc_lo, exec_lo
	s_delay_alu instid0(SALU_CYCLE_1)
	s_or_b32 s7, s7, s25
	s_or_b32 exec_lo, exec_lo, s26
	s_and_saveexec_b32 s25, s7
	s_cbranch_execnz .LBB2_3123
	s_branch .LBB2_3124
.LBB2_3494:                             ;   in Loop: Header=BB2_2916 Depth=2
	s_mov_b32 s7, -1
	s_mov_b32 s27, exec_lo
                                        ; implicit-def: $sgpr25
	v_cmpx_eq_u16_e32 0x80, v103
; %bb.3495:                             ;   in Loop: Header=BB2_2916 Depth=2
	s_mov_b32 s25, 0x7f800001
	s_xor_b32 s7, exec_lo, -1
; %bb.3496:                             ;   in Loop: Header=BB2_2916 Depth=2
	s_or_b32 exec_lo, exec_lo, s27
	s_delay_alu instid0(SALU_CYCLE_1)
	s_and_b32 s7, s7, exec_lo
	s_or_saveexec_b32 s26, s26
	v_mov_b32_e32 v114, s25
	s_xor_b32 exec_lo, exec_lo, s26
	s_cbranch_execz .LBB2_3126
.LBB2_3497:                             ;   in Loop: Header=BB2_2916 Depth=2
	v_cmp_ne_u16_e32 vcc_lo, 0, v103
	v_mov_b32_e32 v114, 0
	s_and_not1_b32 s7, s7, exec_lo
	s_and_b32 s25, vcc_lo, exec_lo
	s_delay_alu instid0(SALU_CYCLE_1)
	s_or_b32 s7, s7, s25
	s_or_b32 exec_lo, exec_lo, s26
	s_and_saveexec_b32 s25, s7
	s_cbranch_execnz .LBB2_3127
	s_branch .LBB2_3128
.LBB2_3498:                             ;   in Loop: Header=BB2_2916 Depth=2
	s_mov_b32 s7, -1
	s_mov_b32 s27, exec_lo
                                        ; implicit-def: $sgpr25
	v_cmpx_eq_u16_e32 0x80, v112
; %bb.3499:                             ;   in Loop: Header=BB2_2916 Depth=2
	s_mov_b32 s25, 0x7f800001
	s_xor_b32 s7, exec_lo, -1
; %bb.3500:                             ;   in Loop: Header=BB2_2916 Depth=2
	s_or_b32 exec_lo, exec_lo, s27
	s_delay_alu instid0(SALU_CYCLE_1)
	s_and_b32 s7, s7, exec_lo
	s_or_saveexec_b32 s26, s26
	v_mov_b32_e32 v113, s25
	s_xor_b32 exec_lo, exec_lo, s26
	s_cbranch_execz .LBB2_3133
.LBB2_3501:                             ;   in Loop: Header=BB2_2916 Depth=2
	v_cmp_ne_u16_e32 vcc_lo, 0, v112
	v_mov_b32_e32 v113, 0
	s_and_not1_b32 s7, s7, exec_lo
	s_and_b32 s25, vcc_lo, exec_lo
	s_delay_alu instid0(SALU_CYCLE_1)
	s_or_b32 s7, s7, s25
	s_or_b32 exec_lo, exec_lo, s26
	s_and_saveexec_b32 s25, s7
	s_cbranch_execnz .LBB2_3134
	s_branch .LBB2_3135
.LBB2_3502:                             ;   in Loop: Header=BB2_2916 Depth=2
	s_mov_b32 s7, -1
	s_mov_b32 s27, exec_lo
                                        ; implicit-def: $sgpr25
	v_cmpx_eq_u16_e32 0x80, v103
; %bb.3503:                             ;   in Loop: Header=BB2_2916 Depth=2
	s_mov_b32 s25, 0x7f800001
	s_xor_b32 s7, exec_lo, -1
; %bb.3504:                             ;   in Loop: Header=BB2_2916 Depth=2
	s_or_b32 exec_lo, exec_lo, s27
	s_delay_alu instid0(SALU_CYCLE_1)
	s_and_b32 s7, s7, exec_lo
	s_or_saveexec_b32 s26, s26
	v_mov_b32_e32 v15, s25
	s_xor_b32 exec_lo, exec_lo, s26
	s_cbranch_execz .LBB2_3137
.LBB2_3505:                             ;   in Loop: Header=BB2_2916 Depth=2
	v_cmp_ne_u16_e32 vcc_lo, 0, v103
	v_mov_b32_e32 v15, 0
	s_and_not1_b32 s7, s7, exec_lo
	s_and_b32 s25, vcc_lo, exec_lo
	s_delay_alu instid0(SALU_CYCLE_1)
	s_or_b32 s7, s7, s25
	s_or_b32 exec_lo, exec_lo, s26
	s_and_saveexec_b32 s25, s7
	s_cbranch_execnz .LBB2_3138
	s_branch .LBB2_3139
.LBB2_3506:                             ;   in Loop: Header=BB2_2916 Depth=2
	s_mov_b32 s7, -1
	s_mov_b32 s27, exec_lo
                                        ; implicit-def: $sgpr25
	v_cmpx_eq_u16_e32 0x80, v103
; %bb.3507:                             ;   in Loop: Header=BB2_2916 Depth=2
	s_mov_b32 s25, 0x7f800001
	s_xor_b32 s7, exec_lo, -1
; %bb.3508:                             ;   in Loop: Header=BB2_2916 Depth=2
	s_or_b32 exec_lo, exec_lo, s27
	s_delay_alu instid0(SALU_CYCLE_1)
	s_and_b32 s7, s7, exec_lo
                                        ; implicit-def: $vgpr103
	s_or_saveexec_b32 s26, s26
	v_mov_b32_e32 v15, s25
	s_xor_b32 exec_lo, exec_lo, s26
	s_cbranch_execz .LBB2_3151
.LBB2_3509:                             ;   in Loop: Header=BB2_2916 Depth=2
	v_cmp_ne_u16_e32 vcc_lo, 0, v103
	v_mov_b32_e32 v15, 0
	s_and_not1_b32 s7, s7, exec_lo
	s_and_b32 s25, vcc_lo, exec_lo
	s_delay_alu instid0(SALU_CYCLE_1)
	s_or_b32 s7, s7, s25
	s_or_b32 exec_lo, exec_lo, s26
	s_and_saveexec_b32 s25, s7
	s_cbranch_execnz .LBB2_3152
	s_branch .LBB2_3153
.LBB2_3510:                             ;   in Loop: Header=BB2_2916 Depth=2
	s_mov_b32 s7, -1
	s_mov_b32 s27, exec_lo
                                        ; implicit-def: $sgpr25
	v_cmpx_eq_u16_e32 0x80, v112
; %bb.3511:                             ;   in Loop: Header=BB2_2916 Depth=2
	s_mov_b32 s25, 0x7f800001
	s_xor_b32 s7, exec_lo, -1
; %bb.3512:                             ;   in Loop: Header=BB2_2916 Depth=2
	s_or_b32 exec_lo, exec_lo, s27
	s_delay_alu instid0(SALU_CYCLE_1)
	s_and_b32 s7, s7, exec_lo
                                        ; implicit-def: $vgpr112
	s_or_saveexec_b32 s26, s26
	v_mov_b32_e32 v103, s25
	s_xor_b32 exec_lo, exec_lo, s26
	s_cbranch_execz .LBB2_3155
.LBB2_3513:                             ;   in Loop: Header=BB2_2916 Depth=2
	v_cmp_ne_u16_e32 vcc_lo, 0, v112
	v_mov_b32_e32 v103, 0
	s_and_not1_b32 s7, s7, exec_lo
	s_and_b32 s25, vcc_lo, exec_lo
	s_delay_alu instid0(SALU_CYCLE_1)
	s_or_b32 s7, s7, s25
	s_or_b32 exec_lo, exec_lo, s26
	s_and_saveexec_b32 s25, s7
	s_cbranch_execnz .LBB2_3156
	s_branch .LBB2_3157
.LBB2_3514:                             ;   in Loop: Header=BB2_2916 Depth=2
	s_mov_b32 s7, -1
	s_mov_b32 s27, exec_lo
                                        ; implicit-def: $sgpr25
	v_cmpx_eq_u16_e32 0x80, v103
; %bb.3515:                             ;   in Loop: Header=BB2_2916 Depth=2
	s_mov_b32 s25, 0x7f800001
	s_xor_b32 s7, exec_lo, -1
; %bb.3516:                             ;   in Loop: Header=BB2_2916 Depth=2
	s_or_b32 exec_lo, exec_lo, s27
	s_delay_alu instid0(SALU_CYCLE_1)
	s_and_b32 s7, s7, exec_lo
                                        ; implicit-def: $vgpr103
	s_or_saveexec_b32 s26, s26
	v_mov_b32_e32 v15, s25
	s_xor_b32 exec_lo, exec_lo, s26
	s_cbranch_execz .LBB2_3162
.LBB2_3517:                             ;   in Loop: Header=BB2_2916 Depth=2
	v_cmp_ne_u16_e32 vcc_lo, 0, v103
	v_mov_b32_e32 v15, 0
	s_and_not1_b32 s7, s7, exec_lo
	s_and_b32 s25, vcc_lo, exec_lo
	s_delay_alu instid0(SALU_CYCLE_1)
	s_or_b32 s7, s7, s25
	s_or_b32 exec_lo, exec_lo, s26
	s_and_saveexec_b32 s25, s7
	s_cbranch_execnz .LBB2_3163
	s_branch .LBB2_3164
.LBB2_3518:                             ;   in Loop: Header=BB2_2916 Depth=2
	s_mov_b32 s7, -1
	s_mov_b32 s27, exec_lo
                                        ; implicit-def: $sgpr25
	v_cmpx_eq_u16_e32 0x80, v112
; %bb.3519:                             ;   in Loop: Header=BB2_2916 Depth=2
	s_mov_b32 s25, 0x7f800001
	s_xor_b32 s7, exec_lo, -1
; %bb.3520:                             ;   in Loop: Header=BB2_2916 Depth=2
	s_or_b32 exec_lo, exec_lo, s27
	s_delay_alu instid0(SALU_CYCLE_1)
	s_and_b32 s7, s7, exec_lo
                                        ; implicit-def: $vgpr112
	s_or_saveexec_b32 s26, s26
	v_mov_b32_e32 v103, s25
	s_xor_b32 exec_lo, exec_lo, s26
	s_cbranch_execz .LBB2_3166
.LBB2_3521:                             ;   in Loop: Header=BB2_2916 Depth=2
	v_cmp_ne_u16_e32 vcc_lo, 0, v112
	v_mov_b32_e32 v103, 0
	s_and_not1_b32 s7, s7, exec_lo
	s_and_b32 s25, vcc_lo, exec_lo
	s_delay_alu instid0(SALU_CYCLE_1)
	s_or_b32 s7, s7, s25
	s_or_b32 exec_lo, exec_lo, s26
	s_and_saveexec_b32 s25, s7
	s_cbranch_execnz .LBB2_3167
	s_branch .LBB2_3168
.LBB2_3522:                             ;   in Loop: Header=BB2_2916 Depth=2
	s_mov_b32 s7, -1
	s_mov_b32 s27, exec_lo
                                        ; implicit-def: $sgpr25
	v_cmpx_eq_u16_e32 0x80, v112
; %bb.3523:                             ;   in Loop: Header=BB2_2916 Depth=2
	s_mov_b32 s25, 0x7f800001
	s_xor_b32 s7, exec_lo, -1
; %bb.3524:                             ;   in Loop: Header=BB2_2916 Depth=2
	s_or_b32 exec_lo, exec_lo, s27
	s_delay_alu instid0(SALU_CYCLE_1)
	s_and_b32 s7, s7, exec_lo
	s_or_saveexec_b32 s26, s26
	v_mov_b32_e32 v113, s25
	s_xor_b32 exec_lo, exec_lo, s26
	s_cbranch_execz .LBB2_3180
.LBB2_3525:                             ;   in Loop: Header=BB2_2916 Depth=2
	v_cmp_ne_u16_e32 vcc_lo, 0, v112
	v_mov_b32_e32 v113, 0
	s_and_not1_b32 s7, s7, exec_lo
	s_and_b32 s25, vcc_lo, exec_lo
	s_delay_alu instid0(SALU_CYCLE_1)
	s_or_b32 s7, s7, s25
	s_or_b32 exec_lo, exec_lo, s26
	s_and_saveexec_b32 s25, s7
	s_cbranch_execnz .LBB2_3181
	s_branch .LBB2_3182
.LBB2_3526:                             ;   in Loop: Header=BB2_2916 Depth=2
	s_mov_b32 s7, -1
	s_mov_b32 s27, exec_lo
                                        ; implicit-def: $sgpr25
	v_cmpx_eq_u16_e32 0x80, v103
; %bb.3527:                             ;   in Loop: Header=BB2_2916 Depth=2
	s_mov_b32 s25, 0x7f800001
	s_xor_b32 s7, exec_lo, -1
; %bb.3528:                             ;   in Loop: Header=BB2_2916 Depth=2
	s_or_b32 exec_lo, exec_lo, s27
	s_delay_alu instid0(SALU_CYCLE_1)
	s_and_b32 s7, s7, exec_lo
	s_or_saveexec_b32 s26, s26
	v_mov_b32_e32 v114, s25
	s_xor_b32 exec_lo, exec_lo, s26
	s_cbranch_execz .LBB2_3184
.LBB2_3529:                             ;   in Loop: Header=BB2_2916 Depth=2
	v_cmp_ne_u16_e32 vcc_lo, 0, v103
	v_mov_b32_e32 v114, 0
	s_and_not1_b32 s7, s7, exec_lo
	s_and_b32 s25, vcc_lo, exec_lo
	s_delay_alu instid0(SALU_CYCLE_1)
	s_or_b32 s7, s7, s25
	s_or_b32 exec_lo, exec_lo, s26
	s_and_saveexec_b32 s25, s7
	s_cbranch_execnz .LBB2_3185
	s_branch .LBB2_3186
.LBB2_3530:                             ;   in Loop: Header=BB2_2916 Depth=2
	s_mov_b32 s7, -1
	s_mov_b32 s27, exec_lo
                                        ; implicit-def: $sgpr25
	v_cmpx_eq_u16_e32 0x80, v112
; %bb.3531:                             ;   in Loop: Header=BB2_2916 Depth=2
	s_mov_b32 s25, 0x7f800001
	s_xor_b32 s7, exec_lo, -1
; %bb.3532:                             ;   in Loop: Header=BB2_2916 Depth=2
	s_or_b32 exec_lo, exec_lo, s27
	s_delay_alu instid0(SALU_CYCLE_1)
	s_and_b32 s7, s7, exec_lo
	s_or_saveexec_b32 s26, s26
	v_mov_b32_e32 v113, s25
	s_xor_b32 exec_lo, exec_lo, s26
	s_cbranch_execz .LBB2_3191
.LBB2_3533:                             ;   in Loop: Header=BB2_2916 Depth=2
	v_cmp_ne_u16_e32 vcc_lo, 0, v112
	v_mov_b32_e32 v113, 0
	s_and_not1_b32 s7, s7, exec_lo
	s_and_b32 s25, vcc_lo, exec_lo
	s_delay_alu instid0(SALU_CYCLE_1)
	s_or_b32 s7, s7, s25
	s_or_b32 exec_lo, exec_lo, s26
	s_and_saveexec_b32 s25, s7
	s_cbranch_execnz .LBB2_3192
	s_branch .LBB2_3193
.LBB2_3534:                             ;   in Loop: Header=BB2_2916 Depth=2
	s_mov_b32 s7, -1
	s_mov_b32 s27, exec_lo
                                        ; implicit-def: $sgpr25
	v_cmpx_eq_u16_e32 0x80, v103
; %bb.3535:                             ;   in Loop: Header=BB2_2916 Depth=2
	s_mov_b32 s25, 0x7f800001
	s_xor_b32 s7, exec_lo, -1
; %bb.3536:                             ;   in Loop: Header=BB2_2916 Depth=2
	s_or_b32 exec_lo, exec_lo, s27
	s_delay_alu instid0(SALU_CYCLE_1)
	s_and_b32 s7, s7, exec_lo
	s_or_saveexec_b32 s26, s26
	v_mov_b32_e32 v112, s25
	s_xor_b32 exec_lo, exec_lo, s26
	s_cbranch_execz .LBB2_3195
.LBB2_3537:                             ;   in Loop: Header=BB2_2916 Depth=2
	v_cmp_ne_u16_e32 vcc_lo, 0, v103
	v_mov_b32_e32 v112, 0
	s_and_not1_b32 s7, s7, exec_lo
	s_and_b32 s25, vcc_lo, exec_lo
	s_delay_alu instid0(SALU_CYCLE_1)
	s_or_b32 s7, s7, s25
	s_or_b32 exec_lo, exec_lo, s26
	s_and_saveexec_b32 s25, s7
	s_cbranch_execnz .LBB2_3196
	s_branch .LBB2_3197
.LBB2_3538:                             ;   in Loop: Header=BB2_2916 Depth=2
	s_mov_b32 s7, -1
	s_mov_b32 s27, exec_lo
                                        ; implicit-def: $sgpr25
	v_cmpx_eq_u16_e32 0x80, v115
; %bb.3539:                             ;   in Loop: Header=BB2_2916 Depth=2
	s_mov_b32 s25, 0x7f800001
	s_xor_b32 s7, exec_lo, -1
; %bb.3540:                             ;   in Loop: Header=BB2_2916 Depth=2
	s_or_b32 exec_lo, exec_lo, s27
	s_delay_alu instid0(SALU_CYCLE_1)
	s_and_b32 s7, s7, exec_lo
                                        ; implicit-def: $vgpr115
	s_or_saveexec_b32 s26, s26
	v_mov_b32_e32 v114, s25
	s_xor_b32 exec_lo, exec_lo, s26
	s_cbranch_execz .LBB2_3209
.LBB2_3541:                             ;   in Loop: Header=BB2_2916 Depth=2
	v_cmp_ne_u16_e32 vcc_lo, 0, v115
	v_mov_b32_e32 v114, 0
	s_and_not1_b32 s7, s7, exec_lo
	s_and_b32 s25, vcc_lo, exec_lo
	s_delay_alu instid0(SALU_CYCLE_1)
	s_or_b32 s7, s7, s25
	s_or_b32 exec_lo, exec_lo, s26
	s_and_saveexec_b32 s25, s7
	s_cbranch_execnz .LBB2_3210
	s_branch .LBB2_3211
.LBB2_3542:                             ;   in Loop: Header=BB2_2916 Depth=2
	s_mov_b32 s7, -1
	s_mov_b32 s27, exec_lo
                                        ; implicit-def: $sgpr25
	v_cmpx_eq_u16_e32 0x80, v116
; %bb.3543:                             ;   in Loop: Header=BB2_2916 Depth=2
	s_mov_b32 s25, 0x7f800001
	s_xor_b32 s7, exec_lo, -1
; %bb.3544:                             ;   in Loop: Header=BB2_2916 Depth=2
	s_or_b32 exec_lo, exec_lo, s27
	s_delay_alu instid0(SALU_CYCLE_1)
	s_and_b32 s7, s7, exec_lo
                                        ; implicit-def: $vgpr116
	s_or_saveexec_b32 s26, s26
	v_mov_b32_e32 v115, s25
	s_xor_b32 exec_lo, exec_lo, s26
	s_cbranch_execz .LBB2_3213
.LBB2_3545:                             ;   in Loop: Header=BB2_2916 Depth=2
	v_cmp_ne_u16_e32 vcc_lo, 0, v116
	v_mov_b32_e32 v115, 0
	s_and_not1_b32 s7, s7, exec_lo
	s_and_b32 s25, vcc_lo, exec_lo
	s_delay_alu instid0(SALU_CYCLE_1)
	s_or_b32 s7, s7, s25
	s_or_b32 exec_lo, exec_lo, s26
	s_and_saveexec_b32 s25, s7
	s_cbranch_execnz .LBB2_3214
	s_branch .LBB2_3215
.LBB2_3546:                             ;   in Loop: Header=BB2_2916 Depth=2
	s_mov_b32 s7, -1
	s_mov_b32 s27, exec_lo
                                        ; implicit-def: $sgpr25
	v_cmpx_eq_u16_e32 0x80, v115
; %bb.3547:                             ;   in Loop: Header=BB2_2916 Depth=2
	s_mov_b32 s25, 0x7f800001
	s_xor_b32 s7, exec_lo, -1
; %bb.3548:                             ;   in Loop: Header=BB2_2916 Depth=2
	s_or_b32 exec_lo, exec_lo, s27
	s_delay_alu instid0(SALU_CYCLE_1)
	s_and_b32 s7, s7, exec_lo
                                        ; implicit-def: $vgpr115
	s_or_saveexec_b32 s26, s26
	v_mov_b32_e32 v114, s25
	s_xor_b32 exec_lo, exec_lo, s26
	s_cbranch_execz .LBB2_3220
.LBB2_3549:                             ;   in Loop: Header=BB2_2916 Depth=2
	v_cmp_ne_u16_e32 vcc_lo, 0, v115
	v_mov_b32_e32 v114, 0
	s_and_not1_b32 s7, s7, exec_lo
	s_and_b32 s25, vcc_lo, exec_lo
	s_delay_alu instid0(SALU_CYCLE_1)
	s_or_b32 s7, s7, s25
	s_or_b32 exec_lo, exec_lo, s26
	s_and_saveexec_b32 s25, s7
	s_cbranch_execnz .LBB2_3221
	s_branch .LBB2_3222
.LBB2_3550:                             ;   in Loop: Header=BB2_2916 Depth=2
	s_mov_b32 s7, -1
	s_mov_b32 s27, exec_lo
                                        ; implicit-def: $sgpr25
	v_cmpx_eq_u16_e32 0x80, v115
; %bb.3551:                             ;   in Loop: Header=BB2_2916 Depth=2
	s_mov_b32 s25, 0x7f800001
	s_xor_b32 s7, exec_lo, -1
; %bb.3552:                             ;   in Loop: Header=BB2_2916 Depth=2
	s_or_b32 exec_lo, exec_lo, s27
	s_delay_alu instid0(SALU_CYCLE_1)
	s_and_b32 s7, s7, exec_lo
                                        ; implicit-def: $vgpr115
	s_or_saveexec_b32 s26, s26
	v_mov_b32_e32 v113, s25
	s_xor_b32 exec_lo, exec_lo, s26
	s_cbranch_execz .LBB2_3224
.LBB2_3553:                             ;   in Loop: Header=BB2_2916 Depth=2
	v_cmp_ne_u16_e32 vcc_lo, 0, v115
	v_mov_b32_e32 v113, 0
	s_and_not1_b32 s7, s7, exec_lo
	s_and_b32 s25, vcc_lo, exec_lo
	s_delay_alu instid0(SALU_CYCLE_1)
	s_or_b32 s7, s7, s25
	s_or_b32 exec_lo, exec_lo, s26
	s_and_saveexec_b32 s25, s7
	s_cbranch_execnz .LBB2_3225
	s_branch .LBB2_3226
.LBB2_3554:                             ;   in Loop: Header=BB2_2916 Depth=2
	s_mov_b32 s7, -1
	s_mov_b32 s27, exec_lo
                                        ; implicit-def: $sgpr25
	v_cmpx_eq_u16_e32 0x80, v114
; %bb.3555:                             ;   in Loop: Header=BB2_2916 Depth=2
	s_mov_b32 s25, 0x7f800001
	s_xor_b32 s7, exec_lo, -1
; %bb.3556:                             ;   in Loop: Header=BB2_2916 Depth=2
	s_or_b32 exec_lo, exec_lo, s27
	s_delay_alu instid0(SALU_CYCLE_1)
	s_and_b32 s7, s7, exec_lo
	s_or_saveexec_b32 s26, s26
	v_mov_b32_e32 v115, s25
	s_xor_b32 exec_lo, exec_lo, s26
	s_cbranch_execz .LBB2_3238
.LBB2_3557:                             ;   in Loop: Header=BB2_2916 Depth=2
	v_cmp_ne_u16_e32 vcc_lo, 0, v114
	v_mov_b32_e32 v115, 0
	s_and_not1_b32 s7, s7, exec_lo
	s_and_b32 s25, vcc_lo, exec_lo
	s_delay_alu instid0(SALU_CYCLE_1)
	s_or_b32 s7, s7, s25
	s_or_b32 exec_lo, exec_lo, s26
	s_and_saveexec_b32 s25, s7
	s_cbranch_execnz .LBB2_3239
	s_branch .LBB2_3240
.LBB2_3558:                             ;   in Loop: Header=BB2_2916 Depth=2
	s_mov_b32 s7, -1
	s_mov_b32 s27, exec_lo
                                        ; implicit-def: $sgpr25
	v_cmpx_eq_u16_e32 0x80, v113
; %bb.3559:                             ;   in Loop: Header=BB2_2916 Depth=2
	s_mov_b32 s25, 0x7f800001
	s_xor_b32 s7, exec_lo, -1
; %bb.3560:                             ;   in Loop: Header=BB2_2916 Depth=2
	s_or_b32 exec_lo, exec_lo, s27
	s_delay_alu instid0(SALU_CYCLE_1)
	s_and_b32 s7, s7, exec_lo
	s_or_saveexec_b32 s26, s26
	v_mov_b32_e32 v116, s25
	s_xor_b32 exec_lo, exec_lo, s26
	s_cbranch_execz .LBB2_3242
.LBB2_3561:                             ;   in Loop: Header=BB2_2916 Depth=2
	v_cmp_ne_u16_e32 vcc_lo, 0, v113
	v_mov_b32_e32 v116, 0
	s_and_not1_b32 s7, s7, exec_lo
	s_and_b32 s25, vcc_lo, exec_lo
	s_delay_alu instid0(SALU_CYCLE_1)
	s_or_b32 s7, s7, s25
	s_or_b32 exec_lo, exec_lo, s26
	s_and_saveexec_b32 s25, s7
	s_cbranch_execnz .LBB2_3243
	s_branch .LBB2_3244
.LBB2_3562:                             ;   in Loop: Header=BB2_2916 Depth=2
	s_mov_b32 s7, -1
	s_mov_b32 s27, exec_lo
                                        ; implicit-def: $sgpr25
	v_cmpx_eq_u16_e32 0x80, v114
; %bb.3563:                             ;   in Loop: Header=BB2_2916 Depth=2
	s_mov_b32 s25, 0x7f800001
	s_xor_b32 s7, exec_lo, -1
; %bb.3564:                             ;   in Loop: Header=BB2_2916 Depth=2
	s_or_b32 exec_lo, exec_lo, s27
	s_delay_alu instid0(SALU_CYCLE_1)
	s_and_b32 s7, s7, exec_lo
	s_or_saveexec_b32 s26, s26
	v_mov_b32_e32 v115, s25
	s_xor_b32 exec_lo, exec_lo, s26
	s_cbranch_execz .LBB2_3249
.LBB2_3565:                             ;   in Loop: Header=BB2_2916 Depth=2
	v_cmp_ne_u16_e32 vcc_lo, 0, v114
	v_mov_b32_e32 v115, 0
	s_and_not1_b32 s7, s7, exec_lo
	s_and_b32 s25, vcc_lo, exec_lo
	s_delay_alu instid0(SALU_CYCLE_1)
	s_or_b32 s7, s7, s25
	s_or_b32 exec_lo, exec_lo, s26
	s_and_saveexec_b32 s25, s7
	s_cbranch_execnz .LBB2_3250
	s_branch .LBB2_3251
.LBB2_3566:                             ;   in Loop: Header=BB2_2916 Depth=2
	s_mov_b32 s7, -1
	s_mov_b32 s27, exec_lo
                                        ; implicit-def: $sgpr25
	v_cmpx_eq_u16_e32 0x80, v113
; %bb.3567:                             ;   in Loop: Header=BB2_2916 Depth=2
	s_mov_b32 s25, 0x7f800001
	s_xor_b32 s7, exec_lo, -1
; %bb.3568:                             ;   in Loop: Header=BB2_2916 Depth=2
	s_or_b32 exec_lo, exec_lo, s27
	s_delay_alu instid0(SALU_CYCLE_1)
	s_and_b32 s7, s7, exec_lo
	s_or_saveexec_b32 s26, s26
	v_mov_b32_e32 v16, s25
	s_xor_b32 exec_lo, exec_lo, s26
	s_cbranch_execz .LBB2_3253
.LBB2_3569:                             ;   in Loop: Header=BB2_2916 Depth=2
	v_cmp_ne_u16_e32 vcc_lo, 0, v113
	v_mov_b32_e32 v16, 0
	s_and_not1_b32 s7, s7, exec_lo
	s_and_b32 s25, vcc_lo, exec_lo
	s_delay_alu instid0(SALU_CYCLE_1)
	s_or_b32 s7, s7, s25
	s_or_b32 exec_lo, exec_lo, s26
	s_and_saveexec_b32 s25, s7
	s_cbranch_execnz .LBB2_3254
	s_branch .LBB2_3255
.LBB2_3570:                             ;   in Loop: Header=BB2_2916 Depth=2
	s_mov_b32 s7, -1
	s_mov_b32 s27, exec_lo
                                        ; implicit-def: $sgpr25
	v_cmpx_eq_u16_e32 0x80, v113
; %bb.3571:                             ;   in Loop: Header=BB2_2916 Depth=2
	s_mov_b32 s25, 0x7f800001
	s_xor_b32 s7, exec_lo, -1
; %bb.3572:                             ;   in Loop: Header=BB2_2916 Depth=2
	s_or_b32 exec_lo, exec_lo, s27
	s_delay_alu instid0(SALU_CYCLE_1)
	s_and_b32 s7, s7, exec_lo
                                        ; implicit-def: $vgpr113
	s_or_saveexec_b32 s26, s26
	v_mov_b32_e32 v16, s25
	s_xor_b32 exec_lo, exec_lo, s26
	s_cbranch_execz .LBB2_3267
.LBB2_3573:                             ;   in Loop: Header=BB2_2916 Depth=2
	v_cmp_ne_u16_e32 vcc_lo, 0, v113
	v_mov_b32_e32 v16, 0
	s_and_not1_b32 s7, s7, exec_lo
	s_and_b32 s25, vcc_lo, exec_lo
	s_delay_alu instid0(SALU_CYCLE_1)
	s_or_b32 s7, s7, s25
	s_or_b32 exec_lo, exec_lo, s26
	s_and_saveexec_b32 s25, s7
	s_cbranch_execnz .LBB2_3268
	s_branch .LBB2_3269
.LBB2_3574:                             ;   in Loop: Header=BB2_2916 Depth=2
	s_mov_b32 s7, -1
	s_mov_b32 s27, exec_lo
                                        ; implicit-def: $sgpr25
	v_cmpx_eq_u16_e32 0x80, v114
; %bb.3575:                             ;   in Loop: Header=BB2_2916 Depth=2
	s_mov_b32 s25, 0x7f800001
	s_xor_b32 s7, exec_lo, -1
; %bb.3576:                             ;   in Loop: Header=BB2_2916 Depth=2
	s_or_b32 exec_lo, exec_lo, s27
	s_delay_alu instid0(SALU_CYCLE_1)
	s_and_b32 s7, s7, exec_lo
                                        ; implicit-def: $vgpr114
	s_or_saveexec_b32 s26, s26
	v_mov_b32_e32 v113, s25
	s_xor_b32 exec_lo, exec_lo, s26
	s_cbranch_execz .LBB2_3271
.LBB2_3577:                             ;   in Loop: Header=BB2_2916 Depth=2
	v_cmp_ne_u16_e32 vcc_lo, 0, v114
	v_mov_b32_e32 v113, 0
	s_and_not1_b32 s7, s7, exec_lo
	s_and_b32 s25, vcc_lo, exec_lo
	s_delay_alu instid0(SALU_CYCLE_1)
	s_or_b32 s7, s7, s25
	s_or_b32 exec_lo, exec_lo, s26
	s_and_saveexec_b32 s25, s7
	s_cbranch_execnz .LBB2_3272
	s_branch .LBB2_3273
.LBB2_3578:                             ;   in Loop: Header=BB2_2916 Depth=2
	s_mov_b32 s7, -1
	s_mov_b32 s27, exec_lo
                                        ; implicit-def: $sgpr25
	v_cmpx_eq_u16_e32 0x80, v113
; %bb.3579:                             ;   in Loop: Header=BB2_2916 Depth=2
	s_mov_b32 s25, 0x7f800001
	s_xor_b32 s7, exec_lo, -1
; %bb.3580:                             ;   in Loop: Header=BB2_2916 Depth=2
	s_or_b32 exec_lo, exec_lo, s27
	s_delay_alu instid0(SALU_CYCLE_1)
	s_and_b32 s7, s7, exec_lo
                                        ; implicit-def: $vgpr113
	s_or_saveexec_b32 s26, s26
	v_mov_b32_e32 v16, s25
	s_xor_b32 exec_lo, exec_lo, s26
	s_cbranch_execz .LBB2_3278
.LBB2_3581:                             ;   in Loop: Header=BB2_2916 Depth=2
	v_cmp_ne_u16_e32 vcc_lo, 0, v113
	v_mov_b32_e32 v16, 0
	s_and_not1_b32 s7, s7, exec_lo
	s_and_b32 s25, vcc_lo, exec_lo
	s_delay_alu instid0(SALU_CYCLE_1)
	s_or_b32 s7, s7, s25
	s_or_b32 exec_lo, exec_lo, s26
	s_and_saveexec_b32 s25, s7
	s_cbranch_execnz .LBB2_3279
	s_branch .LBB2_3280
.LBB2_3582:                             ;   in Loop: Header=BB2_2916 Depth=2
	s_mov_b32 s7, -1
	s_mov_b32 s27, exec_lo
                                        ; implicit-def: $sgpr25
	v_cmpx_eq_u16_e32 0x80, v114
; %bb.3583:                             ;   in Loop: Header=BB2_2916 Depth=2
	s_mov_b32 s25, 0x7f800001
	s_xor_b32 s7, exec_lo, -1
; %bb.3584:                             ;   in Loop: Header=BB2_2916 Depth=2
	s_or_b32 exec_lo, exec_lo, s27
	s_delay_alu instid0(SALU_CYCLE_1)
	s_and_b32 s7, s7, exec_lo
                                        ; implicit-def: $vgpr114
	s_or_saveexec_b32 s26, s26
	v_mov_b32_e32 v113, s25
	s_xor_b32 exec_lo, exec_lo, s26
	s_cbranch_execz .LBB2_3282
.LBB2_3585:                             ;   in Loop: Header=BB2_2916 Depth=2
	v_cmp_ne_u16_e32 vcc_lo, 0, v114
	v_mov_b32_e32 v113, 0
	s_and_not1_b32 s7, s7, exec_lo
	s_and_b32 s25, vcc_lo, exec_lo
	s_delay_alu instid0(SALU_CYCLE_1)
	s_or_b32 s7, s7, s25
	s_or_b32 exec_lo, exec_lo, s26
	s_and_saveexec_b32 s25, s7
	s_cbranch_execnz .LBB2_3283
	s_branch .LBB2_3284
.LBB2_3586:                             ;   in Loop: Header=BB2_2916 Depth=2
	s_mov_b32 s7, -1
	s_mov_b32 s27, exec_lo
                                        ; implicit-def: $sgpr25
	v_cmpx_eq_u16_e32 0x80, v114
; %bb.3587:                             ;   in Loop: Header=BB2_2916 Depth=2
	s_mov_b32 s25, 0x7f800001
	s_xor_b32 s7, exec_lo, -1
; %bb.3588:                             ;   in Loop: Header=BB2_2916 Depth=2
	s_or_b32 exec_lo, exec_lo, s27
	s_delay_alu instid0(SALU_CYCLE_1)
	s_and_b32 s7, s7, exec_lo
	s_or_saveexec_b32 s26, s26
	v_mov_b32_e32 v115, s25
	s_xor_b32 exec_lo, exec_lo, s26
	s_cbranch_execz .LBB2_3296
.LBB2_3589:                             ;   in Loop: Header=BB2_2916 Depth=2
	v_cmp_ne_u16_e32 vcc_lo, 0, v114
	v_mov_b32_e32 v115, 0
	s_and_not1_b32 s7, s7, exec_lo
	s_and_b32 s25, vcc_lo, exec_lo
	s_delay_alu instid0(SALU_CYCLE_1)
	s_or_b32 s7, s7, s25
	s_or_b32 exec_lo, exec_lo, s26
	s_and_saveexec_b32 s25, s7
	s_cbranch_execnz .LBB2_3297
	s_branch .LBB2_3298
.LBB2_3590:                             ;   in Loop: Header=BB2_2916 Depth=2
	s_mov_b32 s7, -1
	s_mov_b32 s27, exec_lo
                                        ; implicit-def: $sgpr25
	v_cmpx_eq_u16_e32 0x80, v113
; %bb.3591:                             ;   in Loop: Header=BB2_2916 Depth=2
	s_mov_b32 s25, 0x7f800001
	s_xor_b32 s7, exec_lo, -1
; %bb.3592:                             ;   in Loop: Header=BB2_2916 Depth=2
	s_or_b32 exec_lo, exec_lo, s27
	s_delay_alu instid0(SALU_CYCLE_1)
	s_and_b32 s7, s7, exec_lo
	s_or_saveexec_b32 s26, s26
	v_mov_b32_e32 v116, s25
	s_xor_b32 exec_lo, exec_lo, s26
	s_cbranch_execz .LBB2_3300
.LBB2_3593:                             ;   in Loop: Header=BB2_2916 Depth=2
	v_cmp_ne_u16_e32 vcc_lo, 0, v113
	v_mov_b32_e32 v116, 0
	s_and_not1_b32 s7, s7, exec_lo
	s_and_b32 s25, vcc_lo, exec_lo
	s_delay_alu instid0(SALU_CYCLE_1)
	s_or_b32 s7, s7, s25
	s_or_b32 exec_lo, exec_lo, s26
	s_and_saveexec_b32 s25, s7
	s_cbranch_execnz .LBB2_3301
	s_branch .LBB2_3302
.LBB2_3594:                             ;   in Loop: Header=BB2_2916 Depth=2
	s_mov_b32 s7, -1
	s_mov_b32 s27, exec_lo
                                        ; implicit-def: $sgpr25
	v_cmpx_eq_u16_e32 0x80, v114
; %bb.3595:                             ;   in Loop: Header=BB2_2916 Depth=2
	s_mov_b32 s25, 0x7f800001
	s_xor_b32 s7, exec_lo, -1
; %bb.3596:                             ;   in Loop: Header=BB2_2916 Depth=2
	s_or_b32 exec_lo, exec_lo, s27
	s_delay_alu instid0(SALU_CYCLE_1)
	s_and_b32 s7, s7, exec_lo
	s_or_saveexec_b32 s26, s26
	v_mov_b32_e32 v115, s25
	s_xor_b32 exec_lo, exec_lo, s26
	s_cbranch_execz .LBB2_3307
.LBB2_3597:                             ;   in Loop: Header=BB2_2916 Depth=2
	v_cmp_ne_u16_e32 vcc_lo, 0, v114
	v_mov_b32_e32 v115, 0
	s_and_not1_b32 s7, s7, exec_lo
	s_and_b32 s25, vcc_lo, exec_lo
	s_delay_alu instid0(SALU_CYCLE_1)
	s_or_b32 s7, s7, s25
	s_or_b32 exec_lo, exec_lo, s26
	s_and_saveexec_b32 s25, s7
	s_cbranch_execnz .LBB2_3308
	s_branch .LBB2_3309
.LBB2_3598:                             ;   in Loop: Header=BB2_2916 Depth=2
	s_mov_b32 s7, -1
	s_mov_b32 s27, exec_lo
                                        ; implicit-def: $sgpr25
	v_cmpx_eq_u16_e32 0x80, v113
; %bb.3599:                             ;   in Loop: Header=BB2_2916 Depth=2
	s_mov_b32 s25, 0x7f800001
	s_xor_b32 s7, exec_lo, -1
; %bb.3600:                             ;   in Loop: Header=BB2_2916 Depth=2
	s_or_b32 exec_lo, exec_lo, s27
	s_delay_alu instid0(SALU_CYCLE_1)
	s_and_b32 s7, s7, exec_lo
	s_or_saveexec_b32 s26, s26
	v_mov_b32_e32 v114, s25
	s_xor_b32 exec_lo, exec_lo, s26
	s_cbranch_execz .LBB2_3311
.LBB2_3601:                             ;   in Loop: Header=BB2_2916 Depth=2
	v_cmp_ne_u16_e32 vcc_lo, 0, v113
	v_mov_b32_e32 v114, 0
	s_and_not1_b32 s7, s7, exec_lo
	s_and_b32 s25, vcc_lo, exec_lo
	s_delay_alu instid0(SALU_CYCLE_1)
	s_or_b32 s7, s7, s25
	s_or_b32 exec_lo, exec_lo, s26
	s_and_saveexec_b32 s25, s7
	s_cbranch_execnz .LBB2_3312
	s_branch .LBB2_3313
.LBB2_3602:                             ;   in Loop: Header=BB2_2916 Depth=2
	s_mov_b32 s7, -1
	s_mov_b32 s27, exec_lo
                                        ; implicit-def: $sgpr25
	v_cmpx_eq_u16_e32 0x80, v117
; %bb.3603:                             ;   in Loop: Header=BB2_2916 Depth=2
	s_mov_b32 s25, 0x7f800001
	s_xor_b32 s7, exec_lo, -1
; %bb.3604:                             ;   in Loop: Header=BB2_2916 Depth=2
	s_or_b32 exec_lo, exec_lo, s27
	s_delay_alu instid0(SALU_CYCLE_1)
	s_and_b32 s7, s7, exec_lo
                                        ; implicit-def: $vgpr117
	s_or_saveexec_b32 s26, s26
	v_mov_b32_e32 v116, s25
	s_xor_b32 exec_lo, exec_lo, s26
	s_cbranch_execz .LBB2_3325
.LBB2_3605:                             ;   in Loop: Header=BB2_2916 Depth=2
	v_cmp_ne_u16_e32 vcc_lo, 0, v117
	v_mov_b32_e32 v116, 0
	s_and_not1_b32 s7, s7, exec_lo
	s_and_b32 s25, vcc_lo, exec_lo
	s_delay_alu instid0(SALU_CYCLE_1)
	s_or_b32 s7, s7, s25
	s_or_b32 exec_lo, exec_lo, s26
	s_and_saveexec_b32 s25, s7
	s_cbranch_execnz .LBB2_3326
	s_branch .LBB2_3327
.LBB2_3606:                             ;   in Loop: Header=BB2_2916 Depth=2
	s_mov_b32 s7, -1
	s_mov_b32 s27, exec_lo
                                        ; implicit-def: $sgpr25
	v_cmpx_eq_u16_e32 0x80, v118
; %bb.3607:                             ;   in Loop: Header=BB2_2916 Depth=2
	s_mov_b32 s25, 0x7f800001
	s_xor_b32 s7, exec_lo, -1
; %bb.3608:                             ;   in Loop: Header=BB2_2916 Depth=2
	s_or_b32 exec_lo, exec_lo, s27
	s_delay_alu instid0(SALU_CYCLE_1)
	s_and_b32 s7, s7, exec_lo
                                        ; implicit-def: $vgpr118
	s_or_saveexec_b32 s26, s26
	v_mov_b32_e32 v117, s25
	s_xor_b32 exec_lo, exec_lo, s26
	s_cbranch_execz .LBB2_3329
.LBB2_3609:                             ;   in Loop: Header=BB2_2916 Depth=2
	v_cmp_ne_u16_e32 vcc_lo, 0, v118
	v_mov_b32_e32 v117, 0
	s_and_not1_b32 s7, s7, exec_lo
	s_and_b32 s25, vcc_lo, exec_lo
	s_delay_alu instid0(SALU_CYCLE_1)
	s_or_b32 s7, s7, s25
	s_or_b32 exec_lo, exec_lo, s26
	s_and_saveexec_b32 s25, s7
	s_cbranch_execnz .LBB2_3330
	s_branch .LBB2_3331
.LBB2_3610:                             ;   in Loop: Header=BB2_2916 Depth=2
	s_mov_b32 s7, -1
	s_mov_b32 s27, exec_lo
                                        ; implicit-def: $sgpr25
	v_cmpx_eq_u16_e32 0x80, v117
; %bb.3611:                             ;   in Loop: Header=BB2_2916 Depth=2
	s_mov_b32 s25, 0x7f800001
	s_xor_b32 s7, exec_lo, -1
; %bb.3612:                             ;   in Loop: Header=BB2_2916 Depth=2
	s_or_b32 exec_lo, exec_lo, s27
	s_delay_alu instid0(SALU_CYCLE_1)
	s_and_b32 s7, s7, exec_lo
                                        ; implicit-def: $vgpr117
	s_or_saveexec_b32 s26, s26
	v_mov_b32_e32 v116, s25
	s_xor_b32 exec_lo, exec_lo, s26
	s_cbranch_execz .LBB2_3336
.LBB2_3613:                             ;   in Loop: Header=BB2_2916 Depth=2
	v_cmp_ne_u16_e32 vcc_lo, 0, v117
	v_mov_b32_e32 v116, 0
	s_and_not1_b32 s7, s7, exec_lo
	s_and_b32 s25, vcc_lo, exec_lo
	s_delay_alu instid0(SALU_CYCLE_1)
	s_or_b32 s7, s7, s25
	s_or_b32 exec_lo, exec_lo, s26
	s_and_saveexec_b32 s25, s7
	s_cbranch_execnz .LBB2_3337
	s_branch .LBB2_3338
.LBB2_3614:                             ;   in Loop: Header=BB2_2916 Depth=2
	s_mov_b32 s7, -1
	s_mov_b32 s27, exec_lo
                                        ; implicit-def: $sgpr25
	v_cmpx_eq_u16_e32 0x80, v117
; %bb.3615:                             ;   in Loop: Header=BB2_2916 Depth=2
	s_mov_b32 s25, 0x7f800001
	s_xor_b32 s7, exec_lo, -1
; %bb.3616:                             ;   in Loop: Header=BB2_2916 Depth=2
	s_or_b32 exec_lo, exec_lo, s27
	s_delay_alu instid0(SALU_CYCLE_1)
	s_and_b32 s7, s7, exec_lo
                                        ; implicit-def: $vgpr117
	s_or_saveexec_b32 s26, s26
	v_mov_b32_e32 v115, s25
	s_xor_b32 exec_lo, exec_lo, s26
	s_cbranch_execz .LBB2_3340
.LBB2_3617:                             ;   in Loop: Header=BB2_2916 Depth=2
	v_cmp_ne_u16_e32 vcc_lo, 0, v117
	v_mov_b32_e32 v115, 0
	s_and_not1_b32 s7, s7, exec_lo
	s_and_b32 s25, vcc_lo, exec_lo
	s_delay_alu instid0(SALU_CYCLE_1)
	s_or_b32 s7, s7, s25
	s_or_b32 exec_lo, exec_lo, s26
	s_and_saveexec_b32 s25, s7
	s_cbranch_execnz .LBB2_3341
	s_branch .LBB2_3342
.LBB2_3618:                             ;   in Loop: Header=BB2_2916 Depth=2
	s_mov_b32 s7, -1
	s_mov_b32 s27, exec_lo
                                        ; implicit-def: $sgpr25
	v_cmpx_eq_u16_e32 0x80, v116
; %bb.3619:                             ;   in Loop: Header=BB2_2916 Depth=2
	s_mov_b32 s25, 0x7f800001
	s_xor_b32 s7, exec_lo, -1
; %bb.3620:                             ;   in Loop: Header=BB2_2916 Depth=2
	s_or_b32 exec_lo, exec_lo, s27
	s_delay_alu instid0(SALU_CYCLE_1)
	s_and_b32 s7, s7, exec_lo
	s_or_saveexec_b32 s26, s26
	v_mov_b32_e32 v117, s25
	s_xor_b32 exec_lo, exec_lo, s26
	s_cbranch_execz .LBB2_3354
.LBB2_3621:                             ;   in Loop: Header=BB2_2916 Depth=2
	v_cmp_ne_u16_e32 vcc_lo, 0, v116
	v_mov_b32_e32 v117, 0
	s_and_not1_b32 s7, s7, exec_lo
	s_and_b32 s25, vcc_lo, exec_lo
	s_delay_alu instid0(SALU_CYCLE_1)
	s_or_b32 s7, s7, s25
	s_or_b32 exec_lo, exec_lo, s26
	s_and_saveexec_b32 s25, s7
	s_cbranch_execnz .LBB2_3355
	s_branch .LBB2_3356
.LBB2_3622:                             ;   in Loop: Header=BB2_2916 Depth=2
	s_mov_b32 s7, -1
	s_mov_b32 s27, exec_lo
                                        ; implicit-def: $sgpr25
	v_cmpx_eq_u16_e32 0x80, v115
; %bb.3623:                             ;   in Loop: Header=BB2_2916 Depth=2
	s_mov_b32 s25, 0x7f800001
	s_xor_b32 s7, exec_lo, -1
; %bb.3624:                             ;   in Loop: Header=BB2_2916 Depth=2
	s_or_b32 exec_lo, exec_lo, s27
	s_delay_alu instid0(SALU_CYCLE_1)
	s_and_b32 s7, s7, exec_lo
	s_or_saveexec_b32 s26, s26
	v_mov_b32_e32 v118, s25
	s_xor_b32 exec_lo, exec_lo, s26
	s_cbranch_execz .LBB2_3358
.LBB2_3625:                             ;   in Loop: Header=BB2_2916 Depth=2
	v_cmp_ne_u16_e32 vcc_lo, 0, v115
	v_mov_b32_e32 v118, 0
	s_and_not1_b32 s7, s7, exec_lo
	s_and_b32 s25, vcc_lo, exec_lo
	s_delay_alu instid0(SALU_CYCLE_1)
	s_or_b32 s7, s7, s25
	s_or_b32 exec_lo, exec_lo, s26
	s_and_saveexec_b32 s25, s7
	s_cbranch_execnz .LBB2_3359
	s_branch .LBB2_3360
.LBB2_3626:                             ;   in Loop: Header=BB2_2916 Depth=2
	s_mov_b32 s7, -1
	s_mov_b32 s27, exec_lo
                                        ; implicit-def: $sgpr25
	v_cmpx_eq_u16_e32 0x80, v116
; %bb.3627:                             ;   in Loop: Header=BB2_2916 Depth=2
	s_mov_b32 s25, 0x7f800001
	s_xor_b32 s7, exec_lo, -1
; %bb.3628:                             ;   in Loop: Header=BB2_2916 Depth=2
	s_or_b32 exec_lo, exec_lo, s27
	s_delay_alu instid0(SALU_CYCLE_1)
	s_and_b32 s7, s7, exec_lo
	s_or_saveexec_b32 s26, s26
	v_mov_b32_e32 v117, s25
	s_xor_b32 exec_lo, exec_lo, s26
	s_cbranch_execz .LBB2_3365
.LBB2_3629:                             ;   in Loop: Header=BB2_2916 Depth=2
	v_cmp_ne_u16_e32 vcc_lo, 0, v116
	v_mov_b32_e32 v117, 0
	s_and_not1_b32 s7, s7, exec_lo
	s_and_b32 s25, vcc_lo, exec_lo
	s_delay_alu instid0(SALU_CYCLE_1)
	s_or_b32 s7, s7, s25
	s_or_b32 exec_lo, exec_lo, s26
	s_and_saveexec_b32 s25, s7
	s_cbranch_execnz .LBB2_3366
	s_branch .LBB2_3367
.LBB2_3630:                             ;   in Loop: Header=BB2_2916 Depth=2
	s_mov_b32 s7, -1
	s_mov_b32 s27, exec_lo
                                        ; implicit-def: $sgpr25
	v_cmpx_eq_u16_e32 0x80, v115
; %bb.3631:                             ;   in Loop: Header=BB2_2916 Depth=2
	s_mov_b32 s25, 0x7f800001
	s_xor_b32 s7, exec_lo, -1
; %bb.3632:                             ;   in Loop: Header=BB2_2916 Depth=2
	s_or_b32 exec_lo, exec_lo, s27
	s_delay_alu instid0(SALU_CYCLE_1)
	s_and_b32 s7, s7, exec_lo
	s_or_saveexec_b32 s26, s26
	v_mov_b32_e32 v17, s25
	s_xor_b32 exec_lo, exec_lo, s26
	s_cbranch_execz .LBB2_3369
.LBB2_3633:                             ;   in Loop: Header=BB2_2916 Depth=2
	v_cmp_ne_u16_e32 vcc_lo, 0, v115
	v_mov_b32_e32 v17, 0
	s_and_not1_b32 s7, s7, exec_lo
	s_and_b32 s25, vcc_lo, exec_lo
	s_delay_alu instid0(SALU_CYCLE_1)
	s_or_b32 s7, s7, s25
	s_or_b32 exec_lo, exec_lo, s26
	s_and_saveexec_b32 s25, s7
	s_cbranch_execnz .LBB2_3370
	s_branch .LBB2_3371
.LBB2_3634:                             ;   in Loop: Header=BB2_2103 Depth=1
	s_or_b32 exec_lo, exec_lo, s23
.LBB2_3635:                             ;   in Loop: Header=BB2_2103 Depth=1
	s_delay_alu instid0(SALU_CYCLE_1) | instskip(SKIP_3) | instid1(VALU_DEP_1)
	s_or_b32 exec_lo, exec_lo, s22
	v_cmp_lt_i32_e32 vcc_lo, 0, v87
	s_mov_b32 s22, exec_lo
	v_cndmask_b32_e32 v10, 0, v54, vcc_lo
	v_sub_nc_u32_e32 v10, v10, v87
	s_delay_alu instid0(VALU_DEP_1)
	v_lshl_add_u32 v16, v10, 5, v96
.LBB2_3636:                             ;   in Loop: Header=BB2_2103 Depth=1
	s_or_b32 exec_lo, exec_lo, s10
.LBB2_3637:                             ;   in Loop: Header=BB2_2103 Depth=1
	s_and_saveexec_b32 s10, s22
	s_cbranch_execz .LBB2_4053
; %bb.3638:                             ;   in Loop: Header=BB2_2103 Depth=1
	s_delay_alu instid0(VALU_DEP_1) | instskip(SKIP_2) | instid1(VALU_DEP_2)
	v_ashrrev_i32_e32 v10, 31, v16
	v_lshrrev_b32_e32 v11, 8, v86
	s_mov_b32 s22, exec_lo
	v_lshrrev_b32_e32 v10, 27, v10
	s_delay_alu instid0(VALU_DEP_1) | instskip(NEXT) | instid1(VALU_DEP_1)
	v_add_nc_u32_e32 v10, v16, v10
	v_ashrrev_i32_e32 v17, 5, v10
	s_delay_alu instid0(VALU_DEP_1) | instskip(NEXT) | instid1(VALU_DEP_1)
	v_sub_nc_u32_e32 v48, v11, v17
	v_cmpx_lt_i32_e32 0, v48
	s_cbranch_execz .LBB2_4003
; %bb.3639:                             ;   in Loop: Header=BB2_2103 Depth=1
	s_cbranch_execnz .LBB2_4567
; %bb.3640:                             ;   in Loop: Header=BB2_2103 Depth=1
	ds_load_b128 v[11:14], v0
	s_waitcnt vmcnt(0)
	ds_load_b64 v[49:50], v0
	v_and_b32_e32 v10, 0xffffffe0, v10
	v_lshlrev_b32_e32 v15, 8, v17
	s_bitcmp1_b32 s21, 0
	s_mov_b32 s24, 0
	s_cselect_b32 s23, -1, 0
	v_sub_nc_u32_e32 v10, v16, v10
	s_delay_alu instid0(VALU_DEP_1) | instskip(SKIP_1) | instid1(VALU_DEP_1)
	v_add3_u32 v15, v85, v10, v15
	s_waitcnt vmcnt(0)
	v_ashrrev_i32_e32 v51, 31, v15
	s_waitcnt lgkmcnt(1)
	v_add_co_u32 v10, vcc_lo, v11, v15
	s_delay_alu instid0(VALU_DEP_2)
	v_add_co_ci_u32_e32 v11, vcc_lo, v12, v51, vcc_lo
	s_waitcnt lgkmcnt(0)
	v_add_co_u32 v49, vcc_lo, 0xe0, v49
	v_add_co_ci_u32_e32 v50, vcc_lo, 0, v50, vcc_lo
	v_add_co_u32 v12, vcc_lo, v13, v15
	v_add_co_ci_u32_e32 v13, vcc_lo, v14, v51, vcc_lo
	s_delay_alu instid0(VALU_DEP_4) | instskip(NEXT) | instid1(VALU_DEP_4)
	v_add_co_u32 v14, vcc_lo, v49, v15
	v_add_co_ci_u32_e32 v15, vcc_lo, v50, v51, vcc_lo
	s_branch .LBB2_3644
.LBB2_3641:                             ;   in Loop: Header=BB2_3644 Depth=2
	s_or_b32 exec_lo, exec_lo, s7
	s_delay_alu instid0(VALU_DEP_1) | instskip(NEXT) | instid1(VALU_DEP_2)
	v_lshrrev_b32_e32 v50, 20, v50
	v_cmp_gt_i32_e32 vcc_lo, 16, v49
	v_lshrrev_b32_e32 v53, 24, v97
	v_min_i32_e32 v97, 15, v49
	s_delay_alu instid0(VALU_DEP_2) | instskip(NEXT) | instid1(VALU_DEP_2)
	v_dual_cndmask_b32 v50, 7, v50 :: v_dual_and_b32 v53, 0x80, v53
	v_lshlrev_b32_e32 v97, 3, v97
	s_delay_alu instid0(VALU_DEP_2) | instskip(SKIP_1) | instid1(VALU_DEP_2)
	v_and_b32_e32 v100, 7, v50
	v_or_b32_e32 v49, v49, v50
	v_or3_b32 v50, v97, v53, v100
	s_delay_alu instid0(VALU_DEP_2) | instskip(NEXT) | instid1(VALU_DEP_2)
	v_cmp_ne_u32_e32 vcc_lo, 0, v49
	v_cndmask_b32_e32 v49, 0, v50, vcc_lo
.LBB2_3642:                             ;   in Loop: Header=BB2_3644 Depth=2
	s_or_b32 exec_lo, exec_lo, s26
.LBB2_3643:                             ;   in Loop: Header=BB2_3644 Depth=2
	s_delay_alu instid0(SALU_CYCLE_1)
	s_or_b32 exec_lo, exec_lo, s25
	v_add_co_u32 v102, vcc_lo, 0xffffff20, v14
	v_add_co_ci_u32_e32 v103, vcc_lo, -1, v15, vcc_lo
	v_add_co_u32 v112, vcc_lo, 0xffffff40, v14
	v_add_co_ci_u32_e32 v113, vcc_lo, -1, v15, vcc_lo
	v_add_co_u32 v50, vcc_lo, 0xffffff60, v14
	flat_store_b8 v[102:103], v51 glc slc dlc
	flat_store_b8 v[112:113], v87 glc slc dlc
	v_add_co_ci_u32_e32 v51, vcc_lo, -1, v15, vcc_lo
	v_add_co_u32 v102, vcc_lo, 0xffffff80, v14
	v_add_co_ci_u32_e32 v103, vcc_lo, -1, v15, vcc_lo
	v_add_co_u32 v112, vcc_lo, 0xffffffa0, v14
	;; [unrolled: 2-line block ×5, first 2 shown]
	v_sub_nc_u32_e32 v48, v48, v54
	v_add_co_ci_u32_e32 v11, vcc_lo, v11, v82, vcc_lo
	v_add_co_u32 v12, vcc_lo, v12, v81
	v_add_co_ci_u32_e32 v13, vcc_lo, v13, v82, vcc_lo
	flat_store_b8 v[50:51], v98 glc slc dlc
	flat_store_b8 v[102:103], v101 glc slc dlc
	;; [unrolled: 1-line block ×6, first 2 shown]
	v_cmp_gt_i32_e32 vcc_lo, 1, v48
	v_add_co_u32 v14, s7, v14, v81
	s_delay_alu instid0(VALU_DEP_1) | instskip(SKIP_1) | instid1(SALU_CYCLE_1)
	v_add_co_ci_u32_e64 v15, s7, v15, v82, s7
	s_or_b32 s24, vcc_lo, s24
	s_and_not1_b32 exec_lo, exec_lo, s24
	s_cbranch_execz .LBB2_4002
.LBB2_3644:                             ;   Parent Loop BB2_2103 Depth=1
                                        ; =>  This Inner Loop Header: Depth=2
	s_clause 0x7
	flat_load_u8 v113, v[10:11] slc dlc
	flat_load_u8 v112, v[10:11] offset:32 slc dlc
	flat_load_u8 v103, v[10:11] offset:64 slc dlc
	;; [unrolled: 1-line block ×7, first 2 shown]
	s_clause 0x7
	flat_load_u8 v51, v[12:13] slc dlc
	flat_load_u8 v87, v[12:13] offset:32 slc dlc
	flat_load_u8 v98, v[12:13] offset:64 slc dlc
	;; [unrolled: 1-line block ×7, first 2 shown]
	s_and_b32 vcc_lo, exec_lo, s23
	s_waitcnt vmcnt(15) lgkmcnt(15)
	v_and_b32_e32 v114, 0xff, v113
	s_delay_alu instid0(VALU_DEP_1)
	v_cmp_lt_i16_e64 s7, 0x7f, v114
	s_cbranch_vccz .LBB2_3654
; %bb.3645:                             ;   in Loop: Header=BB2_3644 Depth=2
	s_mov_b32 s25, 0
                                        ; implicit-def: $sgpr26
	s_delay_alu instid0(VALU_DEP_1) | instskip(NEXT) | instid1(SALU_CYCLE_1)
	s_and_saveexec_b32 s27, s7
	s_xor_b32 s7, exec_lo, s27
	s_cbranch_execnz .LBB2_3874
; %bb.3646:                             ;   in Loop: Header=BB2_3644 Depth=2
	s_or_saveexec_b32 s7, s7
	v_mov_b32_e32 v115, s26
	s_xor_b32 exec_lo, exec_lo, s7
	s_cbranch_execnz .LBB2_3877
.LBB2_3647:                             ;   in Loop: Header=BB2_3644 Depth=2
	s_or_b32 exec_lo, exec_lo, s7
	s_and_saveexec_b32 s7, s25
	s_cbranch_execz .LBB2_3649
.LBB2_3648:                             ;   in Loop: Header=BB2_3644 Depth=2
	v_lshrrev_b16 v118, 3, v113
	v_lshlrev_b32_e32 v119, 24, v113
	s_delay_alu instid0(VALU_DEP_2) | instskip(NEXT) | instid1(VALU_DEP_1)
	v_and_b32_e32 v118, 15, v118
	v_cmp_eq_u32_e32 vcc_lo, 0, v118
	v_and_b32_e32 v115, 7, v113
	s_delay_alu instid0(VALU_DEP_1) | instskip(NEXT) | instid1(VALU_DEP_1)
	v_clz_i32_u32_e32 v116, v115
	v_min_u32_e32 v116, 32, v116
	s_delay_alu instid0(VALU_DEP_1) | instskip(SKIP_1) | instid1(VALU_DEP_1)
	v_subrev_nc_u32_e32 v117, 28, v116
	v_sub_nc_u32_e32 v116, 29, v116
	v_dual_cndmask_b32 v116, v118, v116 :: v_dual_lshlrev_b32 v117, v117, v113
	s_delay_alu instid0(VALU_DEP_1) | instskip(NEXT) | instid1(VALU_DEP_2)
	v_and_b32_e32 v117, 7, v117
	v_lshl_add_u32 v116, v116, 23, 0x3b800000
	s_delay_alu instid0(VALU_DEP_2) | instskip(SKIP_1) | instid1(VALU_DEP_2)
	v_cndmask_b32_e32 v115, v115, v117, vcc_lo
	v_and_b32_e32 v117, 0x80000000, v119
	v_lshlrev_b32_e32 v115, 20, v115
	s_delay_alu instid0(VALU_DEP_1)
	v_or3_b32 v115, v117, v116, v115
.LBB2_3649:                             ;   in Loop: Header=BB2_3644 Depth=2
	s_or_b32 exec_lo, exec_lo, s7
	s_waitcnt vmcnt(7) lgkmcnt(7)
	v_and_b32_e32 v117, 0xff, v51
	s_mov_b32 s7, 0
	s_mov_b32 s26, exec_lo
                                        ; implicit-def: $sgpr25
	s_delay_alu instid0(VALU_DEP_1)
	v_cmpx_lt_i16_e32 0x7f, v117
	s_xor_b32 s26, exec_lo, s26
	s_cbranch_execnz .LBB2_3878
; %bb.3650:                             ;   in Loop: Header=BB2_3644 Depth=2
	s_or_saveexec_b32 s26, s26
	v_mov_b32_e32 v116, s25
	s_xor_b32 exec_lo, exec_lo, s26
	s_cbranch_execnz .LBB2_3881
.LBB2_3651:                             ;   in Loop: Header=BB2_3644 Depth=2
	s_or_b32 exec_lo, exec_lo, s26
	s_and_saveexec_b32 s25, s7
	s_cbranch_execz .LBB2_3653
.LBB2_3652:                             ;   in Loop: Header=BB2_3644 Depth=2
	v_lshrrev_b16 v119, 3, v51
	v_lshlrev_b32_e32 v128, 24, v51
	s_delay_alu instid0(VALU_DEP_2) | instskip(NEXT) | instid1(VALU_DEP_1)
	v_and_b32_e32 v119, 15, v119
	v_cmp_eq_u32_e32 vcc_lo, 0, v119
	v_and_b32_e32 v116, 7, v51
	s_delay_alu instid0(VALU_DEP_1) | instskip(NEXT) | instid1(VALU_DEP_1)
	v_clz_i32_u32_e32 v117, v116
	v_min_u32_e32 v117, 32, v117
	s_delay_alu instid0(VALU_DEP_1) | instskip(SKIP_1) | instid1(VALU_DEP_1)
	v_subrev_nc_u32_e32 v118, 28, v117
	v_sub_nc_u32_e32 v117, 29, v117
	v_dual_cndmask_b32 v117, v119, v117 :: v_dual_lshlrev_b32 v118, v118, v51
	s_delay_alu instid0(VALU_DEP_1) | instskip(NEXT) | instid1(VALU_DEP_2)
	v_and_b32_e32 v118, 7, v118
	v_lshl_add_u32 v117, v117, 23, 0x3b800000
	s_delay_alu instid0(VALU_DEP_2) | instskip(SKIP_1) | instid1(VALU_DEP_2)
	v_cndmask_b32_e32 v116, v116, v118, vcc_lo
	v_and_b32_e32 v118, 0x80000000, v128
	v_lshlrev_b32_e32 v116, 20, v116
	s_delay_alu instid0(VALU_DEP_1)
	v_or3_b32 v116, v118, v117, v116
.LBB2_3653:                             ;   in Loop: Header=BB2_3644 Depth=2
	s_or_b32 exec_lo, exec_lo, s25
	s_delay_alu instid0(VALU_DEP_1) | instskip(SKIP_1) | instid1(VALU_DEP_1)
	v_dual_max_f32 v116, v116, v116 :: v_dual_max_f32 v115, v115, v115
	s_mov_b32 s7, 0
	v_max_f32_e32 v115, v115, v116
	s_branch .LBB2_3655
.LBB2_3654:                             ;   in Loop: Header=BB2_3644 Depth=2
	s_mov_b32 s7, -1
                                        ; implicit-def: $vgpr115
.LBB2_3655:                             ;   in Loop: Header=BB2_3644 Depth=2
	s_delay_alu instid0(SALU_CYCLE_1)
	s_and_b32 vcc_lo, exec_lo, s7
	s_cbranch_vccz .LBB2_3665
; %bb.3656:                             ;   in Loop: Header=BB2_3644 Depth=2
	s_mov_b32 s7, 0
	s_mov_b32 s26, exec_lo
                                        ; implicit-def: $sgpr25
	v_cmpx_lt_i16_e32 0x7f, v114
	s_xor_b32 s26, exec_lo, s26
	s_cbranch_execnz .LBB2_3882
; %bb.3657:                             ;   in Loop: Header=BB2_3644 Depth=2
	s_or_saveexec_b32 s26, s26
	v_mov_b32_e32 v115, s25
	s_xor_b32 exec_lo, exec_lo, s26
	s_cbranch_execnz .LBB2_3885
.LBB2_3658:                             ;   in Loop: Header=BB2_3644 Depth=2
	s_or_b32 exec_lo, exec_lo, s26
	s_and_saveexec_b32 s25, s7
	s_cbranch_execz .LBB2_3660
.LBB2_3659:                             ;   in Loop: Header=BB2_3644 Depth=2
	v_lshrrev_b16 v117, 3, v113
	s_delay_alu instid0(VALU_DEP_1) | instskip(NEXT) | instid1(VALU_DEP_1)
	v_and_b32_e32 v117, 15, v117
	v_cmp_eq_u32_e32 vcc_lo, 0, v117
	v_and_b32_e32 v114, 7, v113
	s_delay_alu instid0(VALU_DEP_1) | instskip(NEXT) | instid1(VALU_DEP_1)
	v_clz_i32_u32_e32 v115, v114
	v_min_u32_e32 v115, 32, v115
	s_delay_alu instid0(VALU_DEP_1) | instskip(SKIP_1) | instid1(VALU_DEP_1)
	v_subrev_nc_u32_e32 v116, 28, v115
	v_sub_nc_u32_e32 v115, 29, v115
	v_dual_cndmask_b32 v115, v117, v115 :: v_dual_lshlrev_b32 v116, v116, v113
	v_lshlrev_b32_e32 v113, 24, v113
	s_delay_alu instid0(VALU_DEP_2) | instskip(NEXT) | instid1(VALU_DEP_3)
	v_and_b32_e32 v116, 7, v116
	v_lshl_add_u32 v115, v115, 23, 0x3b800000
	s_delay_alu instid0(VALU_DEP_2) | instskip(NEXT) | instid1(VALU_DEP_1)
	v_dual_cndmask_b32 v114, v114, v116 :: v_dual_and_b32 v113, 0x80000000, v113
	v_lshlrev_b32_e32 v114, 20, v114
	s_delay_alu instid0(VALU_DEP_1)
	v_or3_b32 v115, v113, v115, v114
.LBB2_3660:                             ;   in Loop: Header=BB2_3644 Depth=2
	s_or_b32 exec_lo, exec_lo, s25
	s_waitcnt vmcnt(7) lgkmcnt(7)
	v_and_b32_e32 v114, 0xff, v51
	s_mov_b32 s7, 0
	s_mov_b32 s26, exec_lo
                                        ; implicit-def: $sgpr25
	s_delay_alu instid0(VALU_DEP_1)
	v_cmpx_lt_i16_e32 0x7f, v114
	s_xor_b32 s26, exec_lo, s26
	s_cbranch_execnz .LBB2_3886
; %bb.3661:                             ;   in Loop: Header=BB2_3644 Depth=2
	s_or_saveexec_b32 s26, s26
	v_mov_b32_e32 v113, s25
	s_xor_b32 exec_lo, exec_lo, s26
	s_cbranch_execnz .LBB2_3889
.LBB2_3662:                             ;   in Loop: Header=BB2_3644 Depth=2
	s_or_b32 exec_lo, exec_lo, s26
	s_and_saveexec_b32 s25, s7
	s_cbranch_execz .LBB2_3664
.LBB2_3663:                             ;   in Loop: Header=BB2_3644 Depth=2
	v_lshrrev_b16 v117, 3, v51
	s_delay_alu instid0(VALU_DEP_1) | instskip(NEXT) | instid1(VALU_DEP_1)
	v_and_b32_e32 v117, 15, v117
	v_cmp_eq_u32_e32 vcc_lo, 0, v117
	v_and_b32_e32 v113, 7, v51
	s_delay_alu instid0(VALU_DEP_1) | instskip(NEXT) | instid1(VALU_DEP_1)
	v_clz_i32_u32_e32 v114, v113
	v_min_u32_e32 v114, 32, v114
	s_delay_alu instid0(VALU_DEP_1) | instskip(SKIP_1) | instid1(VALU_DEP_2)
	v_subrev_nc_u32_e32 v116, 28, v114
	v_sub_nc_u32_e32 v114, 29, v114
	v_lshlrev_b32_e32 v116, v116, v51
	s_delay_alu instid0(VALU_DEP_2) | instskip(NEXT) | instid1(VALU_DEP_2)
	v_dual_cndmask_b32 v114, v117, v114 :: v_dual_lshlrev_b32 v51, 24, v51
	v_and_b32_e32 v116, 7, v116
	s_delay_alu instid0(VALU_DEP_2) | instskip(NEXT) | instid1(VALU_DEP_3)
	v_lshl_add_u32 v114, v114, 23, 0x3b800000
	v_and_b32_e32 v51, 0x80000000, v51
	s_delay_alu instid0(VALU_DEP_3) | instskip(NEXT) | instid1(VALU_DEP_1)
	v_cndmask_b32_e32 v113, v113, v116, vcc_lo
	v_lshlrev_b32_e32 v113, 20, v113
	s_delay_alu instid0(VALU_DEP_1)
	v_or3_b32 v113, v51, v114, v113
.LBB2_3664:                             ;   in Loop: Header=BB2_3644 Depth=2
	s_or_b32 exec_lo, exec_lo, s25
	s_delay_alu instid0(VALU_DEP_1) | instskip(SKIP_1) | instid1(VALU_DEP_1)
	v_max_f32_e32 v51, v113, v113
	v_max_f32_e32 v113, v115, v115
	v_min_f32_e32 v115, v113, v51
.LBB2_3665:                             ;   in Loop: Header=BB2_3644 Depth=2
	s_waitcnt vmcnt(7) lgkmcnt(7)
	s_delay_alu instid0(VALU_DEP_1) | instskip(NEXT) | instid1(VALU_DEP_1)
	v_and_b32_e32 v51, 0x7f800000, v115
	v_cmp_ne_u32_e32 vcc_lo, 0x7f800000, v51
	v_mov_b32_e32 v51, 0x80
	s_and_saveexec_b32 s25, vcc_lo
	s_cbranch_execz .LBB2_3673
; %bb.3666:                             ;   in Loop: Header=BB2_3644 Depth=2
	v_mov_b32_e32 v51, 0
	s_mov_b32 s26, exec_lo
	v_cmpx_ne_u32_e32 0, v115
	s_cbranch_execz .LBB2_3672
; %bb.3667:                             ;   in Loop: Header=BB2_3644 Depth=2
	v_bfe_u32 v51, v115, 23, 8
	s_delay_alu instid0(VALU_DEP_1) | instskip(SKIP_1) | instid1(VALU_DEP_2)
	v_sub_nc_u32_e32 v114, 0x78, v51
	v_cmp_gt_u32_e32 vcc_lo, 0x79, v51
	v_dual_cndmask_b32 v114, 0, v114 :: v_dual_and_b32 v113, 0x7fffff, v115
	s_delay_alu instid0(VALU_DEP_1) | instskip(SKIP_2) | instid1(VALU_DEP_4)
	v_or_b32_e32 v116, 0x800000, v113
	v_cmp_eq_u32_e32 vcc_lo, 0, v51
	v_add_nc_u32_e32 v51, 0xffffff89, v51
	v_cndmask_b32_e64 v114, v114, 0x77, vcc_lo
	s_delay_alu instid0(VALU_DEP_4) | instskip(NEXT) | instid1(VALU_DEP_3)
	v_cndmask_b32_e32 v113, v116, v113, vcc_lo
	v_cndmask_b32_e64 v51, v51, 0xffffff8a, vcc_lo
	s_delay_alu instid0(VALU_DEP_3) | instskip(NEXT) | instid1(VALU_DEP_3)
	v_lshl_add_u32 v116, 0x100000, v114, -1
	v_lshrrev_b32_e32 v117, v114, v113
	v_lshlrev_b32_e64 v119, v114, 0x80000
	s_delay_alu instid0(VALU_DEP_4) | instskip(NEXT) | instid1(VALU_DEP_4)
	v_add_nc_u32_e32 v114, v114, v51
	v_and_b32_e32 v113, v116, v113
	s_delay_alu instid0(VALU_DEP_4) | instskip(NEXT) | instid1(VALU_DEP_2)
	v_bfe_u32 v118, v117, 20, 1
	v_cmp_eq_u32_e64 s7, v113, v119
	s_delay_alu instid0(VALU_DEP_2) | instskip(NEXT) | instid1(VALU_DEP_1)
	v_add_nc_u32_e32 v116, -1, v118
	v_cndmask_b32_e64 v113, 0, v116, s7
	v_lshrrev_b32_e32 v116, 23, v117
	s_mov_b32 s7, exec_lo
	s_delay_alu instid0(VALU_DEP_2) | instskip(NEXT) | instid1(VALU_DEP_2)
	v_add_nc_u32_e32 v113, v113, v117
	v_xor_b32_e32 v116, 1, v116
	s_delay_alu instid0(VALU_DEP_2) | instskip(NEXT) | instid1(VALU_DEP_1)
	v_and_b32_e32 v51, 0xfffff, v113
	v_add_nc_u32_e32 v113, v51, v117
                                        ; implicit-def: $vgpr51
	s_delay_alu instid0(VALU_DEP_3)
	v_cmpx_ne_u32_e64 v114, v116
	s_xor_b32 s7, exec_lo, s7
; %bb.3668:                             ;   in Loop: Header=BB2_3644 Depth=2
	s_delay_alu instid0(VALU_DEP_2) | instskip(SKIP_2) | instid1(VALU_DEP_2)
	v_cmp_lt_u32_e32 vcc_lo, 0xffffff, v113
	v_sub_nc_u32_e32 v51, v114, v116
	v_cndmask_b32_e64 v114, 0, 1, vcc_lo
	v_add_co_ci_u32_e32 v51, vcc_lo, 0, v51, vcc_lo
	s_delay_alu instid0(VALU_DEP_2)
	v_lshrrev_b32_e32 v113, v114, v113
; %bb.3669:                             ;   in Loop: Header=BB2_3644 Depth=2
	s_and_not1_saveexec_b32 s7, s7
; %bb.3670:                             ;   in Loop: Header=BB2_3644 Depth=2
	s_delay_alu instid0(VALU_DEP_1)
	v_bfe_u32 v51, v113, 23, 1
; %bb.3671:                             ;   in Loop: Header=BB2_3644 Depth=2
	s_or_b32 exec_lo, exec_lo, s7
	v_lshrrev_b32_e32 v113, 20, v113
	s_delay_alu instid0(VALU_DEP_2) | instskip(SKIP_2) | instid1(VALU_DEP_2)
	v_cmp_gt_i32_e32 vcc_lo, 16, v51
	v_lshrrev_b32_e32 v114, 24, v115
	v_min_i32_e32 v115, 15, v51
	v_dual_cndmask_b32 v113, 7, v113 :: v_dual_and_b32 v114, 0x80, v114
	s_delay_alu instid0(VALU_DEP_2) | instskip(NEXT) | instid1(VALU_DEP_2)
	v_lshlrev_b32_e32 v115, 3, v115
	v_and_b32_e32 v116, 7, v113
	v_or_b32_e32 v51, v51, v113
	s_delay_alu instid0(VALU_DEP_2) | instskip(NEXT) | instid1(VALU_DEP_2)
	v_or3_b32 v113, v115, v114, v116
	v_cmp_ne_u32_e32 vcc_lo, 0, v51
	s_delay_alu instid0(VALU_DEP_2)
	v_cndmask_b32_e32 v51, 0, v113, vcc_lo
.LBB2_3672:                             ;   in Loop: Header=BB2_3644 Depth=2
	s_or_b32 exec_lo, exec_lo, s26
.LBB2_3673:                             ;   in Loop: Header=BB2_3644 Depth=2
	s_delay_alu instid0(SALU_CYCLE_1) | instskip(SKIP_2) | instid1(VALU_DEP_1)
	s_or_b32 exec_lo, exec_lo, s25
	v_and_b32_e32 v113, 0xff, v112
	s_and_not1_b32 vcc_lo, exec_lo, s23
	v_cmp_lt_i16_e64 s7, 0x7f, v113
	s_cbranch_vccnz .LBB2_3683
; %bb.3674:                             ;   in Loop: Header=BB2_3644 Depth=2
	s_mov_b32 s25, 0
                                        ; implicit-def: $sgpr26
	s_delay_alu instid0(VALU_DEP_1) | instskip(NEXT) | instid1(SALU_CYCLE_1)
	s_and_saveexec_b32 s27, s7
	s_xor_b32 s7, exec_lo, s27
	s_cbranch_execnz .LBB2_3890
; %bb.3675:                             ;   in Loop: Header=BB2_3644 Depth=2
	s_or_saveexec_b32 s7, s7
	v_mov_b32_e32 v114, s26
	s_xor_b32 exec_lo, exec_lo, s7
	s_cbranch_execnz .LBB2_3893
.LBB2_3676:                             ;   in Loop: Header=BB2_3644 Depth=2
	s_or_b32 exec_lo, exec_lo, s7
	s_and_saveexec_b32 s7, s25
	s_cbranch_execz .LBB2_3678
.LBB2_3677:                             ;   in Loop: Header=BB2_3644 Depth=2
	v_lshrrev_b16 v117, 3, v112
	v_lshlrev_b32_e32 v118, 24, v112
	s_delay_alu instid0(VALU_DEP_2) | instskip(NEXT) | instid1(VALU_DEP_1)
	v_and_b32_e32 v117, 15, v117
	v_cmp_eq_u32_e32 vcc_lo, 0, v117
	v_and_b32_e32 v114, 7, v112
	s_delay_alu instid0(VALU_DEP_1) | instskip(NEXT) | instid1(VALU_DEP_1)
	v_clz_i32_u32_e32 v115, v114
	v_min_u32_e32 v115, 32, v115
	s_delay_alu instid0(VALU_DEP_1) | instskip(SKIP_1) | instid1(VALU_DEP_1)
	v_subrev_nc_u32_e32 v116, 28, v115
	v_sub_nc_u32_e32 v115, 29, v115
	v_dual_cndmask_b32 v115, v117, v115 :: v_dual_lshlrev_b32 v116, v116, v112
	s_delay_alu instid0(VALU_DEP_1) | instskip(NEXT) | instid1(VALU_DEP_2)
	v_and_b32_e32 v116, 7, v116
	v_lshl_add_u32 v115, v115, 23, 0x3b800000
	s_delay_alu instid0(VALU_DEP_2) | instskip(SKIP_1) | instid1(VALU_DEP_2)
	v_cndmask_b32_e32 v114, v114, v116, vcc_lo
	v_and_b32_e32 v116, 0x80000000, v118
	v_lshlrev_b32_e32 v114, 20, v114
	s_delay_alu instid0(VALU_DEP_1)
	v_or3_b32 v114, v116, v115, v114
.LBB2_3678:                             ;   in Loop: Header=BB2_3644 Depth=2
	s_or_b32 exec_lo, exec_lo, s7
	s_waitcnt vmcnt(6) lgkmcnt(6)
	v_and_b32_e32 v116, 0xff, v87
	s_mov_b32 s7, 0
	s_mov_b32 s26, exec_lo
                                        ; implicit-def: $sgpr25
	s_delay_alu instid0(VALU_DEP_1)
	v_cmpx_lt_i16_e32 0x7f, v116
	s_xor_b32 s26, exec_lo, s26
	s_cbranch_execnz .LBB2_3894
; %bb.3679:                             ;   in Loop: Header=BB2_3644 Depth=2
	s_or_saveexec_b32 s26, s26
	v_mov_b32_e32 v115, s25
	s_xor_b32 exec_lo, exec_lo, s26
	s_cbranch_execnz .LBB2_3897
.LBB2_3680:                             ;   in Loop: Header=BB2_3644 Depth=2
	s_or_b32 exec_lo, exec_lo, s26
	s_and_saveexec_b32 s25, s7
	s_cbranch_execz .LBB2_3682
.LBB2_3681:                             ;   in Loop: Header=BB2_3644 Depth=2
	v_lshrrev_b16 v118, 3, v87
	v_lshlrev_b32_e32 v119, 24, v87
	s_delay_alu instid0(VALU_DEP_2) | instskip(NEXT) | instid1(VALU_DEP_1)
	v_and_b32_e32 v118, 15, v118
	v_cmp_eq_u32_e32 vcc_lo, 0, v118
	v_and_b32_e32 v115, 7, v87
	s_delay_alu instid0(VALU_DEP_1) | instskip(NEXT) | instid1(VALU_DEP_1)
	v_clz_i32_u32_e32 v116, v115
	v_min_u32_e32 v116, 32, v116
	s_delay_alu instid0(VALU_DEP_1) | instskip(SKIP_1) | instid1(VALU_DEP_1)
	v_subrev_nc_u32_e32 v117, 28, v116
	v_sub_nc_u32_e32 v116, 29, v116
	v_dual_cndmask_b32 v116, v118, v116 :: v_dual_lshlrev_b32 v117, v117, v87
	s_delay_alu instid0(VALU_DEP_1) | instskip(NEXT) | instid1(VALU_DEP_2)
	v_and_b32_e32 v117, 7, v117
	v_lshl_add_u32 v116, v116, 23, 0x3b800000
	s_delay_alu instid0(VALU_DEP_2) | instskip(SKIP_1) | instid1(VALU_DEP_2)
	v_cndmask_b32_e32 v115, v115, v117, vcc_lo
	v_and_b32_e32 v117, 0x80000000, v119
	v_lshlrev_b32_e32 v115, 20, v115
	s_delay_alu instid0(VALU_DEP_1)
	v_or3_b32 v115, v117, v116, v115
.LBB2_3682:                             ;   in Loop: Header=BB2_3644 Depth=2
	s_or_b32 exec_lo, exec_lo, s25
	s_delay_alu instid0(VALU_DEP_1) | instskip(SKIP_1) | instid1(VALU_DEP_1)
	v_dual_max_f32 v115, v115, v115 :: v_dual_max_f32 v114, v114, v114
	s_mov_b32 s7, 0
	v_max_f32_e32 v114, v114, v115
	s_branch .LBB2_3684
.LBB2_3683:                             ;   in Loop: Header=BB2_3644 Depth=2
	s_mov_b32 s7, -1
                                        ; implicit-def: $vgpr114
.LBB2_3684:                             ;   in Loop: Header=BB2_3644 Depth=2
	s_delay_alu instid0(SALU_CYCLE_1)
	s_and_b32 vcc_lo, exec_lo, s7
	s_cbranch_vccz .LBB2_3694
; %bb.3685:                             ;   in Loop: Header=BB2_3644 Depth=2
	s_mov_b32 s7, 0
	s_mov_b32 s26, exec_lo
                                        ; implicit-def: $sgpr25
	v_cmpx_lt_i16_e32 0x7f, v113
	s_xor_b32 s26, exec_lo, s26
	s_cbranch_execnz .LBB2_3898
; %bb.3686:                             ;   in Loop: Header=BB2_3644 Depth=2
	s_or_saveexec_b32 s26, s26
	v_mov_b32_e32 v114, s25
	s_xor_b32 exec_lo, exec_lo, s26
	s_cbranch_execnz .LBB2_3901
.LBB2_3687:                             ;   in Loop: Header=BB2_3644 Depth=2
	s_or_b32 exec_lo, exec_lo, s26
	s_and_saveexec_b32 s25, s7
	s_cbranch_execz .LBB2_3689
.LBB2_3688:                             ;   in Loop: Header=BB2_3644 Depth=2
	v_lshrrev_b16 v116, 3, v112
	s_delay_alu instid0(VALU_DEP_1) | instskip(NEXT) | instid1(VALU_DEP_1)
	v_and_b32_e32 v116, 15, v116
	v_cmp_eq_u32_e32 vcc_lo, 0, v116
	v_and_b32_e32 v113, 7, v112
	s_delay_alu instid0(VALU_DEP_1) | instskip(NEXT) | instid1(VALU_DEP_1)
	v_clz_i32_u32_e32 v114, v113
	v_min_u32_e32 v114, 32, v114
	s_delay_alu instid0(VALU_DEP_1) | instskip(SKIP_1) | instid1(VALU_DEP_1)
	v_subrev_nc_u32_e32 v115, 28, v114
	v_sub_nc_u32_e32 v114, 29, v114
	v_dual_cndmask_b32 v114, v116, v114 :: v_dual_lshlrev_b32 v115, v115, v112
	v_lshlrev_b32_e32 v112, 24, v112
	s_delay_alu instid0(VALU_DEP_2) | instskip(NEXT) | instid1(VALU_DEP_3)
	v_and_b32_e32 v115, 7, v115
	v_lshl_add_u32 v114, v114, 23, 0x3b800000
	s_delay_alu instid0(VALU_DEP_2) | instskip(NEXT) | instid1(VALU_DEP_1)
	v_dual_cndmask_b32 v113, v113, v115 :: v_dual_and_b32 v112, 0x80000000, v112
	v_lshlrev_b32_e32 v113, 20, v113
	s_delay_alu instid0(VALU_DEP_1)
	v_or3_b32 v114, v112, v114, v113
.LBB2_3689:                             ;   in Loop: Header=BB2_3644 Depth=2
	s_or_b32 exec_lo, exec_lo, s25
	s_waitcnt vmcnt(6) lgkmcnt(6)
	v_and_b32_e32 v113, 0xff, v87
	s_mov_b32 s7, 0
	s_mov_b32 s26, exec_lo
                                        ; implicit-def: $sgpr25
	s_delay_alu instid0(VALU_DEP_1)
	v_cmpx_lt_i16_e32 0x7f, v113
	s_xor_b32 s26, exec_lo, s26
	s_cbranch_execnz .LBB2_3902
; %bb.3690:                             ;   in Loop: Header=BB2_3644 Depth=2
	s_or_saveexec_b32 s26, s26
	v_mov_b32_e32 v112, s25
	s_xor_b32 exec_lo, exec_lo, s26
	s_cbranch_execnz .LBB2_3905
.LBB2_3691:                             ;   in Loop: Header=BB2_3644 Depth=2
	s_or_b32 exec_lo, exec_lo, s26
	s_and_saveexec_b32 s25, s7
	s_cbranch_execz .LBB2_3693
.LBB2_3692:                             ;   in Loop: Header=BB2_3644 Depth=2
	v_lshrrev_b16 v116, 3, v87
	s_delay_alu instid0(VALU_DEP_1) | instskip(NEXT) | instid1(VALU_DEP_1)
	v_and_b32_e32 v116, 15, v116
	v_cmp_eq_u32_e32 vcc_lo, 0, v116
	v_and_b32_e32 v112, 7, v87
	s_delay_alu instid0(VALU_DEP_1) | instskip(NEXT) | instid1(VALU_DEP_1)
	v_clz_i32_u32_e32 v113, v112
	v_min_u32_e32 v113, 32, v113
	s_delay_alu instid0(VALU_DEP_1) | instskip(SKIP_1) | instid1(VALU_DEP_2)
	v_subrev_nc_u32_e32 v115, 28, v113
	v_sub_nc_u32_e32 v113, 29, v113
	v_lshlrev_b32_e32 v115, v115, v87
	s_delay_alu instid0(VALU_DEP_2) | instskip(SKIP_1) | instid1(VALU_DEP_3)
	v_cndmask_b32_e32 v113, v116, v113, vcc_lo
	v_lshlrev_b32_e32 v87, 24, v87
	v_and_b32_e32 v115, 7, v115
	s_delay_alu instid0(VALU_DEP_3) | instskip(NEXT) | instid1(VALU_DEP_3)
	v_lshl_add_u32 v113, v113, 23, 0x3b800000
	v_and_b32_e32 v87, 0x80000000, v87
	s_delay_alu instid0(VALU_DEP_3) | instskip(NEXT) | instid1(VALU_DEP_1)
	v_cndmask_b32_e32 v112, v112, v115, vcc_lo
	v_lshlrev_b32_e32 v112, 20, v112
	s_delay_alu instid0(VALU_DEP_1)
	v_or3_b32 v112, v87, v113, v112
.LBB2_3693:                             ;   in Loop: Header=BB2_3644 Depth=2
	s_or_b32 exec_lo, exec_lo, s25
	s_delay_alu instid0(VALU_DEP_1) | instskip(NEXT) | instid1(VALU_DEP_1)
	v_dual_max_f32 v87, v112, v112 :: v_dual_max_f32 v112, v114, v114
	v_min_f32_e32 v114, v112, v87
.LBB2_3694:                             ;   in Loop: Header=BB2_3644 Depth=2
	s_waitcnt vmcnt(6) lgkmcnt(6)
	s_delay_alu instid0(VALU_DEP_1) | instskip(NEXT) | instid1(VALU_DEP_1)
	v_and_b32_e32 v87, 0x7f800000, v114
	v_cmp_ne_u32_e32 vcc_lo, 0x7f800000, v87
	v_mov_b32_e32 v87, 0x80
	s_and_saveexec_b32 s25, vcc_lo
	s_cbranch_execz .LBB2_3702
; %bb.3695:                             ;   in Loop: Header=BB2_3644 Depth=2
	v_mov_b32_e32 v87, 0
	s_mov_b32 s26, exec_lo
	v_cmpx_ne_u32_e32 0, v114
	s_cbranch_execz .LBB2_3701
; %bb.3696:                             ;   in Loop: Header=BB2_3644 Depth=2
	v_bfe_u32 v87, v114, 23, 8
	s_delay_alu instid0(VALU_DEP_1) | instskip(SKIP_1) | instid1(VALU_DEP_2)
	v_sub_nc_u32_e32 v113, 0x78, v87
	v_cmp_gt_u32_e32 vcc_lo, 0x79, v87
	v_dual_cndmask_b32 v113, 0, v113 :: v_dual_and_b32 v112, 0x7fffff, v114
	s_delay_alu instid0(VALU_DEP_1) | instskip(SKIP_2) | instid1(VALU_DEP_4)
	v_or_b32_e32 v115, 0x800000, v112
	v_cmp_eq_u32_e32 vcc_lo, 0, v87
	v_add_nc_u32_e32 v87, 0xffffff89, v87
	v_cndmask_b32_e64 v113, v113, 0x77, vcc_lo
	s_delay_alu instid0(VALU_DEP_4) | instskip(NEXT) | instid1(VALU_DEP_3)
	v_cndmask_b32_e32 v112, v115, v112, vcc_lo
	v_cndmask_b32_e64 v87, v87, 0xffffff8a, vcc_lo
	s_delay_alu instid0(VALU_DEP_3) | instskip(NEXT) | instid1(VALU_DEP_3)
	v_lshl_add_u32 v115, 0x100000, v113, -1
	v_lshrrev_b32_e32 v116, v113, v112
	v_lshlrev_b32_e64 v118, v113, 0x80000
	s_delay_alu instid0(VALU_DEP_4) | instskip(NEXT) | instid1(VALU_DEP_4)
	v_add_nc_u32_e32 v113, v113, v87
	v_and_b32_e32 v112, v115, v112
	s_delay_alu instid0(VALU_DEP_4) | instskip(NEXT) | instid1(VALU_DEP_2)
	v_bfe_u32 v117, v116, 20, 1
	v_cmp_eq_u32_e64 s7, v112, v118
	s_delay_alu instid0(VALU_DEP_2) | instskip(NEXT) | instid1(VALU_DEP_1)
	v_add_nc_u32_e32 v115, -1, v117
	v_cndmask_b32_e64 v112, 0, v115, s7
	v_lshrrev_b32_e32 v115, 23, v116
	s_mov_b32 s7, exec_lo
	s_delay_alu instid0(VALU_DEP_2) | instskip(NEXT) | instid1(VALU_DEP_2)
	v_add_nc_u32_e32 v112, v112, v116
	v_xor_b32_e32 v115, 1, v115
	s_delay_alu instid0(VALU_DEP_2) | instskip(NEXT) | instid1(VALU_DEP_1)
	v_and_b32_e32 v87, 0xfffff, v112
	v_add_nc_u32_e32 v112, v87, v116
                                        ; implicit-def: $vgpr87
	s_delay_alu instid0(VALU_DEP_3)
	v_cmpx_ne_u32_e64 v113, v115
	s_xor_b32 s7, exec_lo, s7
; %bb.3697:                             ;   in Loop: Header=BB2_3644 Depth=2
	s_delay_alu instid0(VALU_DEP_2) | instskip(SKIP_2) | instid1(VALU_DEP_2)
	v_cmp_lt_u32_e32 vcc_lo, 0xffffff, v112
	v_sub_nc_u32_e32 v87, v113, v115
	v_cndmask_b32_e64 v113, 0, 1, vcc_lo
	v_add_co_ci_u32_e32 v87, vcc_lo, 0, v87, vcc_lo
	s_delay_alu instid0(VALU_DEP_2)
	v_lshrrev_b32_e32 v112, v113, v112
; %bb.3698:                             ;   in Loop: Header=BB2_3644 Depth=2
	s_and_not1_saveexec_b32 s7, s7
; %bb.3699:                             ;   in Loop: Header=BB2_3644 Depth=2
	s_delay_alu instid0(VALU_DEP_1)
	v_bfe_u32 v87, v112, 23, 1
; %bb.3700:                             ;   in Loop: Header=BB2_3644 Depth=2
	s_or_b32 exec_lo, exec_lo, s7
	v_lshrrev_b32_e32 v112, 20, v112
	s_delay_alu instid0(VALU_DEP_2) | instskip(SKIP_2) | instid1(VALU_DEP_2)
	v_cmp_gt_i32_e32 vcc_lo, 16, v87
	v_lshrrev_b32_e32 v113, 24, v114
	v_min_i32_e32 v114, 15, v87
	v_dual_cndmask_b32 v112, 7, v112 :: v_dual_and_b32 v113, 0x80, v113
	s_delay_alu instid0(VALU_DEP_1) | instskip(SKIP_1) | instid1(VALU_DEP_2)
	v_or_b32_e32 v87, v87, v112
	v_and_b32_e32 v115, 7, v112
	v_cmp_ne_u32_e32 vcc_lo, 0, v87
	v_lshlrev_b32_e32 v114, 3, v114
	s_delay_alu instid0(VALU_DEP_1) | instskip(NEXT) | instid1(VALU_DEP_1)
	v_or3_b32 v112, v114, v113, v115
	v_cndmask_b32_e32 v87, 0, v112, vcc_lo
.LBB2_3701:                             ;   in Loop: Header=BB2_3644 Depth=2
	s_or_b32 exec_lo, exec_lo, s26
.LBB2_3702:                             ;   in Loop: Header=BB2_3644 Depth=2
	s_delay_alu instid0(SALU_CYCLE_1) | instskip(SKIP_2) | instid1(VALU_DEP_1)
	s_or_b32 exec_lo, exec_lo, s25
	v_and_b32_e32 v112, 0xff, v103
	s_and_not1_b32 vcc_lo, exec_lo, s23
	v_cmp_lt_i16_e64 s7, 0x7f, v112
	s_cbranch_vccnz .LBB2_3712
; %bb.3703:                             ;   in Loop: Header=BB2_3644 Depth=2
	s_mov_b32 s25, 0
                                        ; implicit-def: $sgpr26
	s_delay_alu instid0(VALU_DEP_1) | instskip(NEXT) | instid1(SALU_CYCLE_1)
	s_and_saveexec_b32 s27, s7
	s_xor_b32 s7, exec_lo, s27
	s_cbranch_execnz .LBB2_3906
; %bb.3704:                             ;   in Loop: Header=BB2_3644 Depth=2
	s_or_saveexec_b32 s7, s7
	v_mov_b32_e32 v113, s26
	s_xor_b32 exec_lo, exec_lo, s7
	s_cbranch_execnz .LBB2_3909
.LBB2_3705:                             ;   in Loop: Header=BB2_3644 Depth=2
	s_or_b32 exec_lo, exec_lo, s7
	s_and_saveexec_b32 s7, s25
	s_cbranch_execz .LBB2_3707
.LBB2_3706:                             ;   in Loop: Header=BB2_3644 Depth=2
	v_lshrrev_b16 v116, 3, v103
	v_lshlrev_b32_e32 v117, 24, v103
	s_delay_alu instid0(VALU_DEP_2) | instskip(NEXT) | instid1(VALU_DEP_1)
	v_and_b32_e32 v116, 15, v116
	v_cmp_eq_u32_e32 vcc_lo, 0, v116
	v_and_b32_e32 v113, 7, v103
	s_delay_alu instid0(VALU_DEP_1) | instskip(NEXT) | instid1(VALU_DEP_1)
	v_clz_i32_u32_e32 v114, v113
	v_min_u32_e32 v114, 32, v114
	s_delay_alu instid0(VALU_DEP_1) | instskip(SKIP_1) | instid1(VALU_DEP_1)
	v_subrev_nc_u32_e32 v115, 28, v114
	v_sub_nc_u32_e32 v114, 29, v114
	v_dual_cndmask_b32 v114, v116, v114 :: v_dual_lshlrev_b32 v115, v115, v103
	s_delay_alu instid0(VALU_DEP_1) | instskip(NEXT) | instid1(VALU_DEP_2)
	v_and_b32_e32 v115, 7, v115
	v_lshl_add_u32 v114, v114, 23, 0x3b800000
	s_delay_alu instid0(VALU_DEP_2) | instskip(SKIP_1) | instid1(VALU_DEP_2)
	v_cndmask_b32_e32 v113, v113, v115, vcc_lo
	v_and_b32_e32 v115, 0x80000000, v117
	v_lshlrev_b32_e32 v113, 20, v113
	s_delay_alu instid0(VALU_DEP_1)
	v_or3_b32 v113, v115, v114, v113
.LBB2_3707:                             ;   in Loop: Header=BB2_3644 Depth=2
	s_or_b32 exec_lo, exec_lo, s7
	s_waitcnt vmcnt(5) lgkmcnt(5)
	v_and_b32_e32 v115, 0xff, v98
	s_mov_b32 s7, 0
	s_mov_b32 s26, exec_lo
                                        ; implicit-def: $sgpr25
	s_delay_alu instid0(VALU_DEP_1)
	v_cmpx_lt_i16_e32 0x7f, v115
	s_xor_b32 s26, exec_lo, s26
	s_cbranch_execnz .LBB2_3910
; %bb.3708:                             ;   in Loop: Header=BB2_3644 Depth=2
	s_or_saveexec_b32 s26, s26
	v_mov_b32_e32 v114, s25
	s_xor_b32 exec_lo, exec_lo, s26
	s_cbranch_execnz .LBB2_3913
.LBB2_3709:                             ;   in Loop: Header=BB2_3644 Depth=2
	s_or_b32 exec_lo, exec_lo, s26
	s_and_saveexec_b32 s25, s7
	s_cbranch_execz .LBB2_3711
.LBB2_3710:                             ;   in Loop: Header=BB2_3644 Depth=2
	v_lshrrev_b16 v117, 3, v98
	v_lshlrev_b32_e32 v118, 24, v98
	s_delay_alu instid0(VALU_DEP_2) | instskip(NEXT) | instid1(VALU_DEP_1)
	v_and_b32_e32 v117, 15, v117
	v_cmp_eq_u32_e32 vcc_lo, 0, v117
	v_and_b32_e32 v114, 7, v98
	s_delay_alu instid0(VALU_DEP_1) | instskip(NEXT) | instid1(VALU_DEP_1)
	v_clz_i32_u32_e32 v115, v114
	v_min_u32_e32 v115, 32, v115
	s_delay_alu instid0(VALU_DEP_1) | instskip(SKIP_1) | instid1(VALU_DEP_1)
	v_subrev_nc_u32_e32 v116, 28, v115
	v_sub_nc_u32_e32 v115, 29, v115
	v_dual_cndmask_b32 v115, v117, v115 :: v_dual_lshlrev_b32 v116, v116, v98
	s_delay_alu instid0(VALU_DEP_1) | instskip(NEXT) | instid1(VALU_DEP_2)
	v_and_b32_e32 v116, 7, v116
	v_lshl_add_u32 v115, v115, 23, 0x3b800000
	s_delay_alu instid0(VALU_DEP_2) | instskip(SKIP_1) | instid1(VALU_DEP_2)
	v_cndmask_b32_e32 v114, v114, v116, vcc_lo
	v_and_b32_e32 v116, 0x80000000, v118
	v_lshlrev_b32_e32 v114, 20, v114
	s_delay_alu instid0(VALU_DEP_1)
	v_or3_b32 v114, v116, v115, v114
.LBB2_3711:                             ;   in Loop: Header=BB2_3644 Depth=2
	s_or_b32 exec_lo, exec_lo, s25
	s_delay_alu instid0(VALU_DEP_1) | instskip(SKIP_1) | instid1(VALU_DEP_1)
	v_dual_max_f32 v114, v114, v114 :: v_dual_max_f32 v113, v113, v113
	s_mov_b32 s7, 0
	v_max_f32_e32 v113, v113, v114
	s_branch .LBB2_3713
.LBB2_3712:                             ;   in Loop: Header=BB2_3644 Depth=2
	s_mov_b32 s7, -1
                                        ; implicit-def: $vgpr113
.LBB2_3713:                             ;   in Loop: Header=BB2_3644 Depth=2
	s_delay_alu instid0(SALU_CYCLE_1)
	s_and_b32 vcc_lo, exec_lo, s7
	s_cbranch_vccz .LBB2_3723
; %bb.3714:                             ;   in Loop: Header=BB2_3644 Depth=2
	s_mov_b32 s7, 0
	s_mov_b32 s26, exec_lo
                                        ; implicit-def: $sgpr25
	v_cmpx_lt_i16_e32 0x7f, v112
	s_xor_b32 s26, exec_lo, s26
	s_cbranch_execnz .LBB2_3914
; %bb.3715:                             ;   in Loop: Header=BB2_3644 Depth=2
	s_or_saveexec_b32 s26, s26
	v_mov_b32_e32 v113, s25
	s_xor_b32 exec_lo, exec_lo, s26
	s_cbranch_execnz .LBB2_3917
.LBB2_3716:                             ;   in Loop: Header=BB2_3644 Depth=2
	s_or_b32 exec_lo, exec_lo, s26
	s_and_saveexec_b32 s25, s7
	s_cbranch_execz .LBB2_3718
.LBB2_3717:                             ;   in Loop: Header=BB2_3644 Depth=2
	v_lshrrev_b16 v115, 3, v103
	s_delay_alu instid0(VALU_DEP_1) | instskip(NEXT) | instid1(VALU_DEP_1)
	v_and_b32_e32 v115, 15, v115
	v_cmp_eq_u32_e32 vcc_lo, 0, v115
	v_and_b32_e32 v112, 7, v103
	s_delay_alu instid0(VALU_DEP_1) | instskip(NEXT) | instid1(VALU_DEP_1)
	v_clz_i32_u32_e32 v113, v112
	v_min_u32_e32 v113, 32, v113
	s_delay_alu instid0(VALU_DEP_1) | instskip(SKIP_1) | instid1(VALU_DEP_1)
	v_subrev_nc_u32_e32 v114, 28, v113
	v_sub_nc_u32_e32 v113, 29, v113
	v_dual_cndmask_b32 v113, v115, v113 :: v_dual_lshlrev_b32 v114, v114, v103
	v_lshlrev_b32_e32 v103, 24, v103
	s_delay_alu instid0(VALU_DEP_2) | instskip(NEXT) | instid1(VALU_DEP_3)
	v_and_b32_e32 v114, 7, v114
	v_lshl_add_u32 v113, v113, 23, 0x3b800000
	s_delay_alu instid0(VALU_DEP_2) | instskip(NEXT) | instid1(VALU_DEP_1)
	v_dual_cndmask_b32 v112, v112, v114 :: v_dual_and_b32 v103, 0x80000000, v103
	v_lshlrev_b32_e32 v112, 20, v112
	s_delay_alu instid0(VALU_DEP_1)
	v_or3_b32 v113, v103, v113, v112
.LBB2_3718:                             ;   in Loop: Header=BB2_3644 Depth=2
	s_or_b32 exec_lo, exec_lo, s25
	s_waitcnt vmcnt(5) lgkmcnt(5)
	v_and_b32_e32 v112, 0xff, v98
	s_mov_b32 s7, 0
	s_mov_b32 s26, exec_lo
                                        ; implicit-def: $sgpr25
	s_delay_alu instid0(VALU_DEP_1)
	v_cmpx_lt_i16_e32 0x7f, v112
	s_xor_b32 s26, exec_lo, s26
	s_cbranch_execnz .LBB2_3918
; %bb.3719:                             ;   in Loop: Header=BB2_3644 Depth=2
	s_or_saveexec_b32 s26, s26
	v_mov_b32_e32 v103, s25
	s_xor_b32 exec_lo, exec_lo, s26
	s_cbranch_execnz .LBB2_3921
.LBB2_3720:                             ;   in Loop: Header=BB2_3644 Depth=2
	s_or_b32 exec_lo, exec_lo, s26
	s_and_saveexec_b32 s25, s7
	s_cbranch_execz .LBB2_3722
.LBB2_3721:                             ;   in Loop: Header=BB2_3644 Depth=2
	v_lshrrev_b16 v115, 3, v98
	s_delay_alu instid0(VALU_DEP_1) | instskip(NEXT) | instid1(VALU_DEP_1)
	v_and_b32_e32 v115, 15, v115
	v_cmp_eq_u32_e32 vcc_lo, 0, v115
	v_and_b32_e32 v103, 7, v98
	s_delay_alu instid0(VALU_DEP_1) | instskip(NEXT) | instid1(VALU_DEP_1)
	v_clz_i32_u32_e32 v112, v103
	v_min_u32_e32 v112, 32, v112
	s_delay_alu instid0(VALU_DEP_1) | instskip(SKIP_1) | instid1(VALU_DEP_2)
	v_subrev_nc_u32_e32 v114, 28, v112
	v_sub_nc_u32_e32 v112, 29, v112
	v_lshlrev_b32_e32 v114, v114, v98
	s_delay_alu instid0(VALU_DEP_2) | instskip(SKIP_1) | instid1(VALU_DEP_3)
	v_cndmask_b32_e32 v112, v115, v112, vcc_lo
	v_lshlrev_b32_e32 v98, 24, v98
	v_and_b32_e32 v114, 7, v114
	s_delay_alu instid0(VALU_DEP_3) | instskip(NEXT) | instid1(VALU_DEP_3)
	v_lshl_add_u32 v112, v112, 23, 0x3b800000
	v_and_b32_e32 v98, 0x80000000, v98
	s_delay_alu instid0(VALU_DEP_3) | instskip(NEXT) | instid1(VALU_DEP_1)
	v_cndmask_b32_e32 v103, v103, v114, vcc_lo
	v_lshlrev_b32_e32 v103, 20, v103
	s_delay_alu instid0(VALU_DEP_1)
	v_or3_b32 v103, v98, v112, v103
.LBB2_3722:                             ;   in Loop: Header=BB2_3644 Depth=2
	s_or_b32 exec_lo, exec_lo, s25
	s_delay_alu instid0(VALU_DEP_1) | instskip(NEXT) | instid1(VALU_DEP_1)
	v_dual_max_f32 v98, v103, v103 :: v_dual_max_f32 v103, v113, v113
	v_min_f32_e32 v113, v103, v98
.LBB2_3723:                             ;   in Loop: Header=BB2_3644 Depth=2
	s_waitcnt vmcnt(5) lgkmcnt(5)
	s_delay_alu instid0(VALU_DEP_1) | instskip(NEXT) | instid1(VALU_DEP_1)
	v_and_b32_e32 v98, 0x7f800000, v113
	v_cmp_ne_u32_e32 vcc_lo, 0x7f800000, v98
	v_mov_b32_e32 v98, 0x80
	s_and_saveexec_b32 s25, vcc_lo
	s_cbranch_execz .LBB2_3731
; %bb.3724:                             ;   in Loop: Header=BB2_3644 Depth=2
	v_mov_b32_e32 v98, 0
	s_mov_b32 s26, exec_lo
	v_cmpx_ne_u32_e32 0, v113
	s_cbranch_execz .LBB2_3730
; %bb.3725:                             ;   in Loop: Header=BB2_3644 Depth=2
	v_bfe_u32 v98, v113, 23, 8
	s_delay_alu instid0(VALU_DEP_1) | instskip(SKIP_1) | instid1(VALU_DEP_2)
	v_sub_nc_u32_e32 v112, 0x78, v98
	v_cmp_gt_u32_e32 vcc_lo, 0x79, v98
	v_dual_cndmask_b32 v112, 0, v112 :: v_dual_and_b32 v103, 0x7fffff, v113
	s_delay_alu instid0(VALU_DEP_1) | instskip(SKIP_2) | instid1(VALU_DEP_4)
	v_or_b32_e32 v114, 0x800000, v103
	v_cmp_eq_u32_e32 vcc_lo, 0, v98
	v_add_nc_u32_e32 v98, 0xffffff89, v98
	v_cndmask_b32_e64 v112, v112, 0x77, vcc_lo
	s_delay_alu instid0(VALU_DEP_4) | instskip(NEXT) | instid1(VALU_DEP_3)
	v_cndmask_b32_e32 v103, v114, v103, vcc_lo
	v_cndmask_b32_e64 v98, v98, 0xffffff8a, vcc_lo
	s_delay_alu instid0(VALU_DEP_3) | instskip(NEXT) | instid1(VALU_DEP_3)
	v_lshl_add_u32 v114, 0x100000, v112, -1
	v_lshrrev_b32_e32 v115, v112, v103
	v_lshlrev_b32_e64 v117, v112, 0x80000
	s_delay_alu instid0(VALU_DEP_4) | instskip(NEXT) | instid1(VALU_DEP_4)
	v_add_nc_u32_e32 v112, v112, v98
	v_and_b32_e32 v103, v114, v103
	s_delay_alu instid0(VALU_DEP_4) | instskip(NEXT) | instid1(VALU_DEP_2)
	v_bfe_u32 v116, v115, 20, 1
	v_cmp_eq_u32_e64 s7, v103, v117
	s_delay_alu instid0(VALU_DEP_2) | instskip(NEXT) | instid1(VALU_DEP_1)
	v_add_nc_u32_e32 v114, -1, v116
	v_cndmask_b32_e64 v103, 0, v114, s7
	v_lshrrev_b32_e32 v114, 23, v115
	s_mov_b32 s7, exec_lo
	s_delay_alu instid0(VALU_DEP_2) | instskip(NEXT) | instid1(VALU_DEP_2)
	v_add_nc_u32_e32 v103, v103, v115
	v_xor_b32_e32 v114, 1, v114
	s_delay_alu instid0(VALU_DEP_2) | instskip(NEXT) | instid1(VALU_DEP_1)
	v_and_b32_e32 v98, 0xfffff, v103
	v_add_nc_u32_e32 v103, v98, v115
                                        ; implicit-def: $vgpr98
	s_delay_alu instid0(VALU_DEP_3)
	v_cmpx_ne_u32_e64 v112, v114
	s_xor_b32 s7, exec_lo, s7
; %bb.3726:                             ;   in Loop: Header=BB2_3644 Depth=2
	s_delay_alu instid0(VALU_DEP_2) | instskip(SKIP_2) | instid1(VALU_DEP_2)
	v_cmp_lt_u32_e32 vcc_lo, 0xffffff, v103
	v_sub_nc_u32_e32 v98, v112, v114
	v_cndmask_b32_e64 v112, 0, 1, vcc_lo
	v_add_co_ci_u32_e32 v98, vcc_lo, 0, v98, vcc_lo
	s_delay_alu instid0(VALU_DEP_2)
	v_lshrrev_b32_e32 v103, v112, v103
; %bb.3727:                             ;   in Loop: Header=BB2_3644 Depth=2
	s_and_not1_saveexec_b32 s7, s7
; %bb.3728:                             ;   in Loop: Header=BB2_3644 Depth=2
	s_delay_alu instid0(VALU_DEP_1)
	v_bfe_u32 v98, v103, 23, 1
; %bb.3729:                             ;   in Loop: Header=BB2_3644 Depth=2
	s_or_b32 exec_lo, exec_lo, s7
	v_lshrrev_b32_e32 v103, 20, v103
	s_delay_alu instid0(VALU_DEP_2) | instskip(SKIP_2) | instid1(VALU_DEP_2)
	v_cmp_gt_i32_e32 vcc_lo, 16, v98
	v_lshrrev_b32_e32 v112, 24, v113
	v_min_i32_e32 v113, 15, v98
	v_dual_cndmask_b32 v103, 7, v103 :: v_dual_and_b32 v112, 0x80, v112
	s_delay_alu instid0(VALU_DEP_1) | instskip(SKIP_1) | instid1(VALU_DEP_2)
	v_or_b32_e32 v98, v98, v103
	v_and_b32_e32 v114, 7, v103
	v_cmp_ne_u32_e32 vcc_lo, 0, v98
	v_lshlrev_b32_e32 v113, 3, v113
	s_delay_alu instid0(VALU_DEP_1) | instskip(NEXT) | instid1(VALU_DEP_1)
	v_or3_b32 v103, v113, v112, v114
	v_cndmask_b32_e32 v98, 0, v103, vcc_lo
.LBB2_3730:                             ;   in Loop: Header=BB2_3644 Depth=2
	s_or_b32 exec_lo, exec_lo, s26
.LBB2_3731:                             ;   in Loop: Header=BB2_3644 Depth=2
	s_delay_alu instid0(SALU_CYCLE_1) | instskip(SKIP_2) | instid1(VALU_DEP_1)
	s_or_b32 exec_lo, exec_lo, s25
	v_and_b32_e32 v103, 0xff, v102
	s_and_not1_b32 vcc_lo, exec_lo, s23
	v_cmp_lt_i16_e64 s7, 0x7f, v103
	s_cbranch_vccnz .LBB2_3741
; %bb.3732:                             ;   in Loop: Header=BB2_3644 Depth=2
	s_mov_b32 s25, 0
                                        ; implicit-def: $sgpr26
	s_delay_alu instid0(VALU_DEP_1) | instskip(NEXT) | instid1(SALU_CYCLE_1)
	s_and_saveexec_b32 s27, s7
	s_xor_b32 s7, exec_lo, s27
	s_cbranch_execnz .LBB2_3922
; %bb.3733:                             ;   in Loop: Header=BB2_3644 Depth=2
	s_or_saveexec_b32 s7, s7
	v_mov_b32_e32 v112, s26
	s_xor_b32 exec_lo, exec_lo, s7
	s_cbranch_execnz .LBB2_3925
.LBB2_3734:                             ;   in Loop: Header=BB2_3644 Depth=2
	s_or_b32 exec_lo, exec_lo, s7
	s_and_saveexec_b32 s7, s25
	s_cbranch_execz .LBB2_3736
.LBB2_3735:                             ;   in Loop: Header=BB2_3644 Depth=2
	v_lshrrev_b16 v115, 3, v102
	v_lshlrev_b32_e32 v116, 24, v102
	s_delay_alu instid0(VALU_DEP_2) | instskip(NEXT) | instid1(VALU_DEP_1)
	v_and_b32_e32 v115, 15, v115
	v_cmp_eq_u32_e32 vcc_lo, 0, v115
	v_and_b32_e32 v112, 7, v102
	s_delay_alu instid0(VALU_DEP_1) | instskip(NEXT) | instid1(VALU_DEP_1)
	v_clz_i32_u32_e32 v113, v112
	v_min_u32_e32 v113, 32, v113
	s_delay_alu instid0(VALU_DEP_1) | instskip(SKIP_1) | instid1(VALU_DEP_1)
	v_subrev_nc_u32_e32 v114, 28, v113
	v_sub_nc_u32_e32 v113, 29, v113
	v_dual_cndmask_b32 v113, v115, v113 :: v_dual_lshlrev_b32 v114, v114, v102
	s_delay_alu instid0(VALU_DEP_1) | instskip(NEXT) | instid1(VALU_DEP_2)
	v_and_b32_e32 v114, 7, v114
	v_lshl_add_u32 v113, v113, 23, 0x3b800000
	s_delay_alu instid0(VALU_DEP_2) | instskip(SKIP_1) | instid1(VALU_DEP_2)
	v_cndmask_b32_e32 v112, v112, v114, vcc_lo
	v_and_b32_e32 v114, 0x80000000, v116
	v_lshlrev_b32_e32 v112, 20, v112
	s_delay_alu instid0(VALU_DEP_1)
	v_or3_b32 v112, v114, v113, v112
.LBB2_3736:                             ;   in Loop: Header=BB2_3644 Depth=2
	s_or_b32 exec_lo, exec_lo, s7
	s_waitcnt vmcnt(4) lgkmcnt(4)
	v_and_b32_e32 v114, 0xff, v101
	s_mov_b32 s7, 0
	s_mov_b32 s26, exec_lo
                                        ; implicit-def: $sgpr25
	s_delay_alu instid0(VALU_DEP_1)
	v_cmpx_lt_i16_e32 0x7f, v114
	s_xor_b32 s26, exec_lo, s26
	s_cbranch_execnz .LBB2_3926
; %bb.3737:                             ;   in Loop: Header=BB2_3644 Depth=2
	s_or_saveexec_b32 s26, s26
	v_mov_b32_e32 v113, s25
	s_xor_b32 exec_lo, exec_lo, s26
	s_cbranch_execnz .LBB2_3929
.LBB2_3738:                             ;   in Loop: Header=BB2_3644 Depth=2
	s_or_b32 exec_lo, exec_lo, s26
	s_and_saveexec_b32 s25, s7
	s_cbranch_execz .LBB2_3740
.LBB2_3739:                             ;   in Loop: Header=BB2_3644 Depth=2
	v_lshrrev_b16 v116, 3, v101
	v_lshlrev_b32_e32 v117, 24, v101
	s_delay_alu instid0(VALU_DEP_2) | instskip(NEXT) | instid1(VALU_DEP_1)
	v_and_b32_e32 v116, 15, v116
	v_cmp_eq_u32_e32 vcc_lo, 0, v116
	v_and_b32_e32 v113, 7, v101
	s_delay_alu instid0(VALU_DEP_1) | instskip(NEXT) | instid1(VALU_DEP_1)
	v_clz_i32_u32_e32 v114, v113
	v_min_u32_e32 v114, 32, v114
	s_delay_alu instid0(VALU_DEP_1) | instskip(SKIP_1) | instid1(VALU_DEP_1)
	v_subrev_nc_u32_e32 v115, 28, v114
	v_sub_nc_u32_e32 v114, 29, v114
	v_dual_cndmask_b32 v114, v116, v114 :: v_dual_lshlrev_b32 v115, v115, v101
	s_delay_alu instid0(VALU_DEP_1) | instskip(NEXT) | instid1(VALU_DEP_2)
	v_and_b32_e32 v115, 7, v115
	v_lshl_add_u32 v114, v114, 23, 0x3b800000
	s_delay_alu instid0(VALU_DEP_2) | instskip(SKIP_1) | instid1(VALU_DEP_2)
	v_cndmask_b32_e32 v113, v113, v115, vcc_lo
	v_and_b32_e32 v115, 0x80000000, v117
	v_lshlrev_b32_e32 v113, 20, v113
	s_delay_alu instid0(VALU_DEP_1)
	v_or3_b32 v113, v115, v114, v113
.LBB2_3740:                             ;   in Loop: Header=BB2_3644 Depth=2
	s_or_b32 exec_lo, exec_lo, s25
	s_delay_alu instid0(VALU_DEP_1) | instskip(SKIP_1) | instid1(VALU_DEP_1)
	v_dual_max_f32 v113, v113, v113 :: v_dual_max_f32 v112, v112, v112
	s_mov_b32 s7, 0
	v_max_f32_e32 v112, v112, v113
	s_branch .LBB2_3742
.LBB2_3741:                             ;   in Loop: Header=BB2_3644 Depth=2
	s_mov_b32 s7, -1
                                        ; implicit-def: $vgpr112
.LBB2_3742:                             ;   in Loop: Header=BB2_3644 Depth=2
	s_delay_alu instid0(SALU_CYCLE_1)
	s_and_b32 vcc_lo, exec_lo, s7
	s_cbranch_vccz .LBB2_3752
; %bb.3743:                             ;   in Loop: Header=BB2_3644 Depth=2
	s_mov_b32 s7, 0
	s_mov_b32 s26, exec_lo
                                        ; implicit-def: $sgpr25
	v_cmpx_lt_i16_e32 0x7f, v103
	s_xor_b32 s26, exec_lo, s26
	s_cbranch_execnz .LBB2_3930
; %bb.3744:                             ;   in Loop: Header=BB2_3644 Depth=2
	s_or_saveexec_b32 s26, s26
	v_mov_b32_e32 v112, s25
	s_xor_b32 exec_lo, exec_lo, s26
	s_cbranch_execnz .LBB2_3933
.LBB2_3745:                             ;   in Loop: Header=BB2_3644 Depth=2
	s_or_b32 exec_lo, exec_lo, s26
	s_and_saveexec_b32 s25, s7
	s_cbranch_execz .LBB2_3747
.LBB2_3746:                             ;   in Loop: Header=BB2_3644 Depth=2
	v_lshrrev_b16 v114, 3, v102
	s_delay_alu instid0(VALU_DEP_1) | instskip(NEXT) | instid1(VALU_DEP_1)
	v_and_b32_e32 v114, 15, v114
	v_cmp_eq_u32_e32 vcc_lo, 0, v114
	v_and_b32_e32 v103, 7, v102
	s_delay_alu instid0(VALU_DEP_1) | instskip(NEXT) | instid1(VALU_DEP_1)
	v_clz_i32_u32_e32 v112, v103
	v_min_u32_e32 v112, 32, v112
	s_delay_alu instid0(VALU_DEP_1) | instskip(SKIP_1) | instid1(VALU_DEP_1)
	v_subrev_nc_u32_e32 v113, 28, v112
	v_sub_nc_u32_e32 v112, 29, v112
	v_dual_cndmask_b32 v112, v114, v112 :: v_dual_lshlrev_b32 v113, v113, v102
	v_lshlrev_b32_e32 v102, 24, v102
	s_delay_alu instid0(VALU_DEP_2) | instskip(NEXT) | instid1(VALU_DEP_3)
	v_and_b32_e32 v113, 7, v113
	v_lshl_add_u32 v112, v112, 23, 0x3b800000
	s_delay_alu instid0(VALU_DEP_2) | instskip(NEXT) | instid1(VALU_DEP_1)
	v_dual_cndmask_b32 v103, v103, v113 :: v_dual_and_b32 v102, 0x80000000, v102
	v_lshlrev_b32_e32 v103, 20, v103
	s_delay_alu instid0(VALU_DEP_1)
	v_or3_b32 v112, v102, v112, v103
.LBB2_3747:                             ;   in Loop: Header=BB2_3644 Depth=2
	s_or_b32 exec_lo, exec_lo, s25
	s_waitcnt vmcnt(4) lgkmcnt(4)
	v_and_b32_e32 v103, 0xff, v101
	s_mov_b32 s7, 0
	s_mov_b32 s26, exec_lo
                                        ; implicit-def: $sgpr25
	s_delay_alu instid0(VALU_DEP_1)
	v_cmpx_lt_i16_e32 0x7f, v103
	s_xor_b32 s26, exec_lo, s26
	s_cbranch_execnz .LBB2_3934
; %bb.3748:                             ;   in Loop: Header=BB2_3644 Depth=2
	s_or_saveexec_b32 s26, s26
	v_mov_b32_e32 v102, s25
	s_xor_b32 exec_lo, exec_lo, s26
	s_cbranch_execnz .LBB2_3937
.LBB2_3749:                             ;   in Loop: Header=BB2_3644 Depth=2
	s_or_b32 exec_lo, exec_lo, s26
	s_and_saveexec_b32 s25, s7
	s_cbranch_execz .LBB2_3751
.LBB2_3750:                             ;   in Loop: Header=BB2_3644 Depth=2
	v_lshrrev_b16 v114, 3, v101
	s_delay_alu instid0(VALU_DEP_1) | instskip(NEXT) | instid1(VALU_DEP_1)
	v_and_b32_e32 v114, 15, v114
	v_cmp_eq_u32_e32 vcc_lo, 0, v114
	v_and_b32_e32 v102, 7, v101
	s_delay_alu instid0(VALU_DEP_1) | instskip(NEXT) | instid1(VALU_DEP_1)
	v_clz_i32_u32_e32 v103, v102
	v_min_u32_e32 v103, 32, v103
	s_delay_alu instid0(VALU_DEP_1) | instskip(SKIP_1) | instid1(VALU_DEP_2)
	v_subrev_nc_u32_e32 v113, 28, v103
	v_sub_nc_u32_e32 v103, 29, v103
	v_lshlrev_b32_e32 v113, v113, v101
	s_delay_alu instid0(VALU_DEP_2) | instskip(SKIP_1) | instid1(VALU_DEP_3)
	v_cndmask_b32_e32 v103, v114, v103, vcc_lo
	v_lshlrev_b32_e32 v101, 24, v101
	v_and_b32_e32 v113, 7, v113
	s_delay_alu instid0(VALU_DEP_3) | instskip(NEXT) | instid1(VALU_DEP_3)
	v_lshl_add_u32 v103, v103, 23, 0x3b800000
	v_and_b32_e32 v101, 0x80000000, v101
	s_delay_alu instid0(VALU_DEP_3) | instskip(NEXT) | instid1(VALU_DEP_1)
	v_cndmask_b32_e32 v102, v102, v113, vcc_lo
	v_lshlrev_b32_e32 v102, 20, v102
	s_delay_alu instid0(VALU_DEP_1)
	v_or3_b32 v102, v101, v103, v102
.LBB2_3751:                             ;   in Loop: Header=BB2_3644 Depth=2
	s_or_b32 exec_lo, exec_lo, s25
	s_delay_alu instid0(VALU_DEP_1) | instskip(NEXT) | instid1(VALU_DEP_1)
	v_dual_max_f32 v101, v102, v102 :: v_dual_max_f32 v102, v112, v112
	v_min_f32_e32 v112, v102, v101
.LBB2_3752:                             ;   in Loop: Header=BB2_3644 Depth=2
	s_waitcnt vmcnt(4) lgkmcnt(4)
	s_delay_alu instid0(VALU_DEP_1) | instskip(NEXT) | instid1(VALU_DEP_1)
	v_and_b32_e32 v101, 0x7f800000, v112
	v_cmp_ne_u32_e32 vcc_lo, 0x7f800000, v101
	v_mov_b32_e32 v101, 0x80
	s_and_saveexec_b32 s25, vcc_lo
	s_cbranch_execz .LBB2_3760
; %bb.3753:                             ;   in Loop: Header=BB2_3644 Depth=2
	v_mov_b32_e32 v101, 0
	s_mov_b32 s26, exec_lo
	v_cmpx_ne_u32_e32 0, v112
	s_cbranch_execz .LBB2_3759
; %bb.3754:                             ;   in Loop: Header=BB2_3644 Depth=2
	v_bfe_u32 v101, v112, 23, 8
	s_delay_alu instid0(VALU_DEP_1) | instskip(SKIP_1) | instid1(VALU_DEP_2)
	v_sub_nc_u32_e32 v103, 0x78, v101
	v_cmp_gt_u32_e32 vcc_lo, 0x79, v101
	v_dual_cndmask_b32 v103, 0, v103 :: v_dual_and_b32 v102, 0x7fffff, v112
	s_delay_alu instid0(VALU_DEP_1) | instskip(SKIP_2) | instid1(VALU_DEP_4)
	v_or_b32_e32 v113, 0x800000, v102
	v_cmp_eq_u32_e32 vcc_lo, 0, v101
	v_add_nc_u32_e32 v101, 0xffffff89, v101
	v_cndmask_b32_e64 v103, v103, 0x77, vcc_lo
	s_delay_alu instid0(VALU_DEP_4) | instskip(NEXT) | instid1(VALU_DEP_3)
	v_cndmask_b32_e32 v102, v113, v102, vcc_lo
	v_cndmask_b32_e64 v101, v101, 0xffffff8a, vcc_lo
	s_delay_alu instid0(VALU_DEP_3) | instskip(NEXT) | instid1(VALU_DEP_3)
	v_lshl_add_u32 v113, 0x100000, v103, -1
	v_lshrrev_b32_e32 v114, v103, v102
	v_lshlrev_b32_e64 v116, v103, 0x80000
	s_delay_alu instid0(VALU_DEP_4) | instskip(NEXT) | instid1(VALU_DEP_4)
	v_add_nc_u32_e32 v103, v103, v101
	v_and_b32_e32 v102, v113, v102
	s_delay_alu instid0(VALU_DEP_4) | instskip(NEXT) | instid1(VALU_DEP_2)
	v_bfe_u32 v115, v114, 20, 1
	v_cmp_eq_u32_e64 s7, v102, v116
	s_delay_alu instid0(VALU_DEP_2) | instskip(NEXT) | instid1(VALU_DEP_1)
	v_add_nc_u32_e32 v113, -1, v115
	v_cndmask_b32_e64 v102, 0, v113, s7
	v_lshrrev_b32_e32 v113, 23, v114
	s_mov_b32 s7, exec_lo
	s_delay_alu instid0(VALU_DEP_2) | instskip(NEXT) | instid1(VALU_DEP_2)
	v_add_nc_u32_e32 v102, v102, v114
	v_xor_b32_e32 v113, 1, v113
	s_delay_alu instid0(VALU_DEP_2) | instskip(NEXT) | instid1(VALU_DEP_1)
	v_and_b32_e32 v101, 0xfffff, v102
	v_add_nc_u32_e32 v102, v101, v114
                                        ; implicit-def: $vgpr101
	s_delay_alu instid0(VALU_DEP_3)
	v_cmpx_ne_u32_e64 v103, v113
	s_xor_b32 s7, exec_lo, s7
; %bb.3755:                             ;   in Loop: Header=BB2_3644 Depth=2
	s_delay_alu instid0(VALU_DEP_2) | instskip(SKIP_2) | instid1(VALU_DEP_2)
	v_cmp_lt_u32_e32 vcc_lo, 0xffffff, v102
	v_sub_nc_u32_e32 v101, v103, v113
	v_cndmask_b32_e64 v103, 0, 1, vcc_lo
	v_add_co_ci_u32_e32 v101, vcc_lo, 0, v101, vcc_lo
	s_delay_alu instid0(VALU_DEP_2)
	v_lshrrev_b32_e32 v102, v103, v102
; %bb.3756:                             ;   in Loop: Header=BB2_3644 Depth=2
	s_and_not1_saveexec_b32 s7, s7
; %bb.3757:                             ;   in Loop: Header=BB2_3644 Depth=2
	s_delay_alu instid0(VALU_DEP_1)
	v_bfe_u32 v101, v102, 23, 1
; %bb.3758:                             ;   in Loop: Header=BB2_3644 Depth=2
	s_or_b32 exec_lo, exec_lo, s7
	v_lshrrev_b32_e32 v102, 20, v102
	s_delay_alu instid0(VALU_DEP_2) | instskip(SKIP_2) | instid1(VALU_DEP_2)
	v_cmp_gt_i32_e32 vcc_lo, 16, v101
	v_lshrrev_b32_e32 v103, 24, v112
	v_min_i32_e32 v112, 15, v101
	v_dual_cndmask_b32 v102, 7, v102 :: v_dual_and_b32 v103, 0x80, v103
	s_delay_alu instid0(VALU_DEP_1) | instskip(SKIP_1) | instid1(VALU_DEP_2)
	v_or_b32_e32 v101, v101, v102
	v_and_b32_e32 v113, 7, v102
	v_cmp_ne_u32_e32 vcc_lo, 0, v101
	v_lshlrev_b32_e32 v112, 3, v112
	s_delay_alu instid0(VALU_DEP_1) | instskip(NEXT) | instid1(VALU_DEP_1)
	v_or3_b32 v102, v112, v103, v113
	v_cndmask_b32_e32 v101, 0, v102, vcc_lo
.LBB2_3759:                             ;   in Loop: Header=BB2_3644 Depth=2
	s_or_b32 exec_lo, exec_lo, s26
.LBB2_3760:                             ;   in Loop: Header=BB2_3644 Depth=2
	s_delay_alu instid0(SALU_CYCLE_1) | instskip(SKIP_2) | instid1(VALU_DEP_1)
	s_or_b32 exec_lo, exec_lo, s25
	v_and_b32_e32 v102, 0xff, v100
	s_and_not1_b32 vcc_lo, exec_lo, s23
	v_cmp_lt_i16_e64 s7, 0x7f, v102
	s_cbranch_vccnz .LBB2_3770
; %bb.3761:                             ;   in Loop: Header=BB2_3644 Depth=2
	s_mov_b32 s25, 0
                                        ; implicit-def: $sgpr26
	s_delay_alu instid0(VALU_DEP_1) | instskip(NEXT) | instid1(SALU_CYCLE_1)
	s_and_saveexec_b32 s27, s7
	s_xor_b32 s7, exec_lo, s27
	s_cbranch_execnz .LBB2_3938
; %bb.3762:                             ;   in Loop: Header=BB2_3644 Depth=2
	s_or_saveexec_b32 s7, s7
	v_mov_b32_e32 v103, s26
	s_xor_b32 exec_lo, exec_lo, s7
	s_cbranch_execnz .LBB2_3941
.LBB2_3763:                             ;   in Loop: Header=BB2_3644 Depth=2
	s_or_b32 exec_lo, exec_lo, s7
	s_and_saveexec_b32 s7, s25
	s_cbranch_execz .LBB2_3765
.LBB2_3764:                             ;   in Loop: Header=BB2_3644 Depth=2
	v_and_b32_e32 v103, 7, v100
	v_lshrrev_b16 v114, 3, v100
	v_lshlrev_b32_e32 v115, 24, v100
	s_delay_alu instid0(VALU_DEP_3) | instskip(NEXT) | instid1(VALU_DEP_1)
	v_clz_i32_u32_e32 v112, v103
	v_min_u32_e32 v112, 32, v112
	s_delay_alu instid0(VALU_DEP_1) | instskip(SKIP_1) | instid1(VALU_DEP_2)
	v_subrev_nc_u32_e32 v113, 28, v112
	v_sub_nc_u32_e32 v112, 29, v112
	v_lshlrev_b32_e32 v113, v113, v100
	s_delay_alu instid0(VALU_DEP_1) | instskip(SKIP_1) | instid1(VALU_DEP_1)
	v_and_b32_e32 v113, 7, v113
	v_and_b32_e32 v114, 15, v114
	v_cmp_eq_u32_e32 vcc_lo, 0, v114
	s_delay_alu instid0(VALU_DEP_3) | instskip(SKIP_1) | instid1(VALU_DEP_2)
	v_dual_cndmask_b32 v103, v103, v113 :: v_dual_cndmask_b32 v112, v114, v112
	v_and_b32_e32 v113, 0x80000000, v115
	v_lshlrev_b32_e32 v103, 20, v103
	s_delay_alu instid0(VALU_DEP_3) | instskip(NEXT) | instid1(VALU_DEP_1)
	v_lshl_add_u32 v112, v112, 23, 0x3b800000
	v_or3_b32 v103, v113, v112, v103
.LBB2_3765:                             ;   in Loop: Header=BB2_3644 Depth=2
	s_or_b32 exec_lo, exec_lo, s7
	s_waitcnt vmcnt(3) lgkmcnt(3)
	v_and_b32_e32 v113, 0xff, v99
	s_mov_b32 s7, 0
	s_mov_b32 s26, exec_lo
                                        ; implicit-def: $sgpr25
	s_delay_alu instid0(VALU_DEP_1)
	v_cmpx_lt_i16_e32 0x7f, v113
	s_xor_b32 s26, exec_lo, s26
	s_cbranch_execnz .LBB2_3942
; %bb.3766:                             ;   in Loop: Header=BB2_3644 Depth=2
	s_or_saveexec_b32 s26, s26
	v_mov_b32_e32 v112, s25
	s_xor_b32 exec_lo, exec_lo, s26
	s_cbranch_execnz .LBB2_3945
.LBB2_3767:                             ;   in Loop: Header=BB2_3644 Depth=2
	s_or_b32 exec_lo, exec_lo, s26
	s_and_saveexec_b32 s25, s7
	s_cbranch_execz .LBB2_3769
.LBB2_3768:                             ;   in Loop: Header=BB2_3644 Depth=2
	v_lshrrev_b16 v115, 3, v99
	v_lshlrev_b32_e32 v116, 24, v99
	s_delay_alu instid0(VALU_DEP_2) | instskip(NEXT) | instid1(VALU_DEP_1)
	v_and_b32_e32 v115, 15, v115
	v_cmp_eq_u32_e32 vcc_lo, 0, v115
	v_and_b32_e32 v112, 7, v99
	s_delay_alu instid0(VALU_DEP_1) | instskip(NEXT) | instid1(VALU_DEP_1)
	v_clz_i32_u32_e32 v113, v112
	v_min_u32_e32 v113, 32, v113
	s_delay_alu instid0(VALU_DEP_1) | instskip(SKIP_1) | instid1(VALU_DEP_1)
	v_subrev_nc_u32_e32 v114, 28, v113
	v_sub_nc_u32_e32 v113, 29, v113
	v_dual_cndmask_b32 v113, v115, v113 :: v_dual_lshlrev_b32 v114, v114, v99
	s_delay_alu instid0(VALU_DEP_1) | instskip(NEXT) | instid1(VALU_DEP_2)
	v_and_b32_e32 v114, 7, v114
	v_lshl_add_u32 v113, v113, 23, 0x3b800000
	s_delay_alu instid0(VALU_DEP_2) | instskip(SKIP_1) | instid1(VALU_DEP_2)
	v_cndmask_b32_e32 v112, v112, v114, vcc_lo
	v_and_b32_e32 v114, 0x80000000, v116
	v_lshlrev_b32_e32 v112, 20, v112
	s_delay_alu instid0(VALU_DEP_1)
	v_or3_b32 v112, v114, v113, v112
.LBB2_3769:                             ;   in Loop: Header=BB2_3644 Depth=2
	s_or_b32 exec_lo, exec_lo, s25
	s_delay_alu instid0(VALU_DEP_1) | instskip(SKIP_1) | instid1(VALU_DEP_1)
	v_dual_max_f32 v112, v112, v112 :: v_dual_max_f32 v103, v103, v103
	s_mov_b32 s7, 0
	v_max_f32_e32 v103, v103, v112
	s_branch .LBB2_3771
.LBB2_3770:                             ;   in Loop: Header=BB2_3644 Depth=2
	s_mov_b32 s7, -1
                                        ; implicit-def: $vgpr103
.LBB2_3771:                             ;   in Loop: Header=BB2_3644 Depth=2
	s_delay_alu instid0(SALU_CYCLE_1)
	s_and_b32 vcc_lo, exec_lo, s7
	s_cbranch_vccz .LBB2_3781
; %bb.3772:                             ;   in Loop: Header=BB2_3644 Depth=2
	s_mov_b32 s7, 0
	s_mov_b32 s26, exec_lo
                                        ; implicit-def: $sgpr25
	v_cmpx_lt_i16_e32 0x7f, v102
	s_xor_b32 s26, exec_lo, s26
	s_cbranch_execnz .LBB2_3946
; %bb.3773:                             ;   in Loop: Header=BB2_3644 Depth=2
	s_or_saveexec_b32 s26, s26
	v_mov_b32_e32 v103, s25
	s_xor_b32 exec_lo, exec_lo, s26
	s_cbranch_execnz .LBB2_3949
.LBB2_3774:                             ;   in Loop: Header=BB2_3644 Depth=2
	s_or_b32 exec_lo, exec_lo, s26
	s_and_saveexec_b32 s25, s7
	s_cbranch_execz .LBB2_3776
.LBB2_3775:                             ;   in Loop: Header=BB2_3644 Depth=2
	v_lshrrev_b16 v113, 3, v100
	s_delay_alu instid0(VALU_DEP_1) | instskip(NEXT) | instid1(VALU_DEP_1)
	v_and_b32_e32 v113, 15, v113
	v_cmp_eq_u32_e32 vcc_lo, 0, v113
	v_and_b32_e32 v102, 7, v100
	s_delay_alu instid0(VALU_DEP_1) | instskip(NEXT) | instid1(VALU_DEP_1)
	v_clz_i32_u32_e32 v103, v102
	v_min_u32_e32 v103, 32, v103
	s_delay_alu instid0(VALU_DEP_1) | instskip(SKIP_1) | instid1(VALU_DEP_1)
	v_subrev_nc_u32_e32 v112, 28, v103
	v_sub_nc_u32_e32 v103, 29, v103
	v_dual_cndmask_b32 v103, v113, v103 :: v_dual_lshlrev_b32 v112, v112, v100
	v_lshlrev_b32_e32 v100, 24, v100
	s_delay_alu instid0(VALU_DEP_2) | instskip(NEXT) | instid1(VALU_DEP_3)
	v_and_b32_e32 v112, 7, v112
	v_lshl_add_u32 v103, v103, 23, 0x3b800000
	s_delay_alu instid0(VALU_DEP_3) | instskip(NEXT) | instid1(VALU_DEP_3)
	v_and_b32_e32 v100, 0x80000000, v100
	v_cndmask_b32_e32 v102, v102, v112, vcc_lo
	s_delay_alu instid0(VALU_DEP_1) | instskip(NEXT) | instid1(VALU_DEP_1)
	v_lshlrev_b32_e32 v102, 20, v102
	v_or3_b32 v103, v100, v103, v102
.LBB2_3776:                             ;   in Loop: Header=BB2_3644 Depth=2
	s_or_b32 exec_lo, exec_lo, s25
	s_waitcnt vmcnt(3) lgkmcnt(3)
	v_and_b32_e32 v102, 0xff, v99
	s_mov_b32 s7, 0
	s_mov_b32 s26, exec_lo
                                        ; implicit-def: $sgpr25
	s_delay_alu instid0(VALU_DEP_1)
	v_cmpx_lt_i16_e32 0x7f, v102
	s_xor_b32 s26, exec_lo, s26
	s_cbranch_execnz .LBB2_3950
; %bb.3777:                             ;   in Loop: Header=BB2_3644 Depth=2
	s_or_saveexec_b32 s26, s26
	v_mov_b32_e32 v100, s25
	s_xor_b32 exec_lo, exec_lo, s26
	s_cbranch_execnz .LBB2_3953
.LBB2_3778:                             ;   in Loop: Header=BB2_3644 Depth=2
	s_or_b32 exec_lo, exec_lo, s26
	s_and_saveexec_b32 s25, s7
	s_cbranch_execz .LBB2_3780
.LBB2_3779:                             ;   in Loop: Header=BB2_3644 Depth=2
	v_and_b32_e32 v100, 7, v99
	v_lshrrev_b16 v113, 3, v99
	s_delay_alu instid0(VALU_DEP_2) | instskip(NEXT) | instid1(VALU_DEP_1)
	v_clz_i32_u32_e32 v102, v100
	v_min_u32_e32 v102, 32, v102
	s_delay_alu instid0(VALU_DEP_1) | instskip(SKIP_1) | instid1(VALU_DEP_2)
	v_subrev_nc_u32_e32 v112, 28, v102
	v_sub_nc_u32_e32 v102, 29, v102
	v_lshlrev_b32_e32 v112, v112, v99
	s_delay_alu instid0(VALU_DEP_1) | instskip(SKIP_1) | instid1(VALU_DEP_1)
	v_and_b32_e32 v112, 7, v112
	v_and_b32_e32 v113, 15, v113
	v_cmp_eq_u32_e32 vcc_lo, 0, v113
	s_delay_alu instid0(VALU_DEP_3) | instskip(SKIP_1) | instid1(VALU_DEP_2)
	v_dual_cndmask_b32 v100, v100, v112 :: v_dual_lshlrev_b32 v99, 24, v99
	v_cndmask_b32_e32 v102, v113, v102, vcc_lo
	v_lshlrev_b32_e32 v100, 20, v100
	s_delay_alu instid0(VALU_DEP_3) | instskip(NEXT) | instid1(VALU_DEP_3)
	v_and_b32_e32 v99, 0x80000000, v99
	v_lshl_add_u32 v102, v102, 23, 0x3b800000
	s_delay_alu instid0(VALU_DEP_1)
	v_or3_b32 v100, v99, v102, v100
.LBB2_3780:                             ;   in Loop: Header=BB2_3644 Depth=2
	s_or_b32 exec_lo, exec_lo, s25
	s_delay_alu instid0(VALU_DEP_1) | instskip(NEXT) | instid1(VALU_DEP_1)
	v_dual_max_f32 v99, v100, v100 :: v_dual_max_f32 v100, v103, v103
	v_min_f32_e32 v103, v100, v99
.LBB2_3781:                             ;   in Loop: Header=BB2_3644 Depth=2
	s_waitcnt vmcnt(3) lgkmcnt(3)
	s_delay_alu instid0(VALU_DEP_1) | instskip(NEXT) | instid1(VALU_DEP_1)
	v_and_b32_e32 v99, 0x7f800000, v103
	v_cmp_ne_u32_e32 vcc_lo, 0x7f800000, v99
	v_mov_b32_e32 v99, 0x80
	s_and_saveexec_b32 s25, vcc_lo
	s_cbranch_execz .LBB2_3789
; %bb.3782:                             ;   in Loop: Header=BB2_3644 Depth=2
	v_mov_b32_e32 v99, 0
	s_mov_b32 s26, exec_lo
	v_cmpx_ne_u32_e32 0, v103
	s_cbranch_execz .LBB2_3788
; %bb.3783:                             ;   in Loop: Header=BB2_3644 Depth=2
	v_bfe_u32 v99, v103, 23, 8
	v_and_b32_e32 v100, 0x7fffff, v103
	s_delay_alu instid0(VALU_DEP_2) | instskip(SKIP_1) | instid1(VALU_DEP_3)
	v_sub_nc_u32_e32 v102, 0x78, v99
	v_cmp_gt_u32_e32 vcc_lo, 0x79, v99
	v_or_b32_e32 v112, 0x800000, v100
	s_delay_alu instid0(VALU_DEP_3) | instskip(SKIP_2) | instid1(VALU_DEP_3)
	v_cndmask_b32_e32 v102, 0, v102, vcc_lo
	v_cmp_eq_u32_e32 vcc_lo, 0, v99
	v_add_nc_u32_e32 v99, 0xffffff89, v99
	v_cndmask_b32_e64 v102, v102, 0x77, vcc_lo
	v_cndmask_b32_e32 v100, v112, v100, vcc_lo
	s_delay_alu instid0(VALU_DEP_3) | instskip(NEXT) | instid1(VALU_DEP_3)
	v_cndmask_b32_e64 v99, v99, 0xffffff8a, vcc_lo
	v_lshl_add_u32 v112, 0x100000, v102, -1
	s_delay_alu instid0(VALU_DEP_3) | instskip(SKIP_1) | instid1(VALU_DEP_4)
	v_lshrrev_b32_e32 v113, v102, v100
	v_lshlrev_b32_e64 v115, v102, 0x80000
	v_add_nc_u32_e32 v102, v102, v99
	s_delay_alu instid0(VALU_DEP_4) | instskip(NEXT) | instid1(VALU_DEP_4)
	v_and_b32_e32 v100, v112, v100
	v_bfe_u32 v114, v113, 20, 1
	s_delay_alu instid0(VALU_DEP_2) | instskip(NEXT) | instid1(VALU_DEP_2)
	v_cmp_eq_u32_e64 s7, v100, v115
	v_add_nc_u32_e32 v112, -1, v114
	s_delay_alu instid0(VALU_DEP_1) | instskip(SKIP_2) | instid1(VALU_DEP_2)
	v_cndmask_b32_e64 v100, 0, v112, s7
	v_lshrrev_b32_e32 v112, 23, v113
	s_mov_b32 s7, exec_lo
	v_add_nc_u32_e32 v100, v100, v113
	s_delay_alu instid0(VALU_DEP_2) | instskip(NEXT) | instid1(VALU_DEP_2)
	v_xor_b32_e32 v112, 1, v112
	v_and_b32_e32 v99, 0xfffff, v100
	s_delay_alu instid0(VALU_DEP_1) | instskip(NEXT) | instid1(VALU_DEP_3)
	v_add_nc_u32_e32 v100, v99, v113
                                        ; implicit-def: $vgpr99
	v_cmpx_ne_u32_e64 v102, v112
	s_xor_b32 s7, exec_lo, s7
; %bb.3784:                             ;   in Loop: Header=BB2_3644 Depth=2
	s_delay_alu instid0(VALU_DEP_2) | instskip(SKIP_2) | instid1(VALU_DEP_2)
	v_cmp_lt_u32_e32 vcc_lo, 0xffffff, v100
	v_sub_nc_u32_e32 v99, v102, v112
	v_cndmask_b32_e64 v102, 0, 1, vcc_lo
	v_add_co_ci_u32_e32 v99, vcc_lo, 0, v99, vcc_lo
	s_delay_alu instid0(VALU_DEP_2)
	v_lshrrev_b32_e32 v100, v102, v100
; %bb.3785:                             ;   in Loop: Header=BB2_3644 Depth=2
	s_and_not1_saveexec_b32 s7, s7
; %bb.3786:                             ;   in Loop: Header=BB2_3644 Depth=2
	s_delay_alu instid0(VALU_DEP_1)
	v_bfe_u32 v99, v100, 23, 1
; %bb.3787:                             ;   in Loop: Header=BB2_3644 Depth=2
	s_or_b32 exec_lo, exec_lo, s7
	v_lshrrev_b32_e32 v100, 20, v100
	s_delay_alu instid0(VALU_DEP_2) | instskip(SKIP_2) | instid1(VALU_DEP_1)
	v_cmp_gt_i32_e32 vcc_lo, 16, v99
	v_lshrrev_b32_e32 v102, 24, v103
	v_min_i32_e32 v103, 15, v99
	v_dual_cndmask_b32 v100, 7, v100 :: v_dual_lshlrev_b32 v103, 3, v103
	s_delay_alu instid0(VALU_DEP_1) | instskip(SKIP_1) | instid1(VALU_DEP_2)
	v_or_b32_e32 v99, v99, v100
	v_and_b32_e32 v112, 7, v100
	v_cmp_ne_u32_e32 vcc_lo, 0, v99
	v_and_b32_e32 v102, 0x80, v102
	s_delay_alu instid0(VALU_DEP_1) | instskip(NEXT) | instid1(VALU_DEP_1)
	v_or3_b32 v100, v103, v102, v112
	v_cndmask_b32_e32 v99, 0, v100, vcc_lo
.LBB2_3788:                             ;   in Loop: Header=BB2_3644 Depth=2
	s_or_b32 exec_lo, exec_lo, s26
.LBB2_3789:                             ;   in Loop: Header=BB2_3644 Depth=2
	s_delay_alu instid0(SALU_CYCLE_1) | instskip(SKIP_2) | instid1(VALU_DEP_1)
	s_or_b32 exec_lo, exec_lo, s25
	v_and_b32_e32 v100, 0xff, v97
	s_and_not1_b32 vcc_lo, exec_lo, s23
	v_cmp_lt_i16_e64 s7, 0x7f, v100
	s_cbranch_vccnz .LBB2_3799
; %bb.3790:                             ;   in Loop: Header=BB2_3644 Depth=2
	s_mov_b32 s25, 0
                                        ; implicit-def: $sgpr26
	s_delay_alu instid0(VALU_DEP_1) | instskip(NEXT) | instid1(SALU_CYCLE_1)
	s_and_saveexec_b32 s27, s7
	s_xor_b32 s7, exec_lo, s27
	s_cbranch_execnz .LBB2_3954
; %bb.3791:                             ;   in Loop: Header=BB2_3644 Depth=2
	s_or_saveexec_b32 s7, s7
	v_mov_b32_e32 v102, s26
	s_xor_b32 exec_lo, exec_lo, s7
	s_cbranch_execnz .LBB2_3957
.LBB2_3792:                             ;   in Loop: Header=BB2_3644 Depth=2
	s_or_b32 exec_lo, exec_lo, s7
	s_and_saveexec_b32 s7, s25
	s_cbranch_execz .LBB2_3794
.LBB2_3793:                             ;   in Loop: Header=BB2_3644 Depth=2
	v_lshrrev_b16 v113, 3, v97
	v_lshlrev_b32_e32 v114, 24, v97
	s_delay_alu instid0(VALU_DEP_2) | instskip(NEXT) | instid1(VALU_DEP_1)
	v_and_b32_e32 v113, 15, v113
	v_cmp_eq_u32_e32 vcc_lo, 0, v113
	v_and_b32_e32 v102, 7, v97
	s_delay_alu instid0(VALU_DEP_1) | instskip(NEXT) | instid1(VALU_DEP_1)
	v_clz_i32_u32_e32 v103, v102
	v_min_u32_e32 v103, 32, v103
	s_delay_alu instid0(VALU_DEP_1) | instskip(SKIP_1) | instid1(VALU_DEP_1)
	v_subrev_nc_u32_e32 v112, 28, v103
	v_sub_nc_u32_e32 v103, 29, v103
	v_dual_cndmask_b32 v103, v113, v103 :: v_dual_lshlrev_b32 v112, v112, v97
	s_delay_alu instid0(VALU_DEP_1) | instskip(NEXT) | instid1(VALU_DEP_2)
	v_and_b32_e32 v112, 7, v112
	v_lshl_add_u32 v103, v103, 23, 0x3b800000
	s_delay_alu instid0(VALU_DEP_2) | instskip(SKIP_1) | instid1(VALU_DEP_2)
	v_cndmask_b32_e32 v102, v102, v112, vcc_lo
	v_and_b32_e32 v112, 0x80000000, v114
	v_lshlrev_b32_e32 v102, 20, v102
	s_delay_alu instid0(VALU_DEP_1)
	v_or3_b32 v102, v112, v103, v102
.LBB2_3794:                             ;   in Loop: Header=BB2_3644 Depth=2
	s_or_b32 exec_lo, exec_lo, s7
	s_waitcnt vmcnt(2) lgkmcnt(2)
	v_and_b32_e32 v112, 0xff, v96
	s_mov_b32 s7, 0
	s_mov_b32 s26, exec_lo
                                        ; implicit-def: $sgpr25
	s_delay_alu instid0(VALU_DEP_1)
	v_cmpx_lt_i16_e32 0x7f, v112
	s_xor_b32 s26, exec_lo, s26
	s_cbranch_execnz .LBB2_3958
; %bb.3795:                             ;   in Loop: Header=BB2_3644 Depth=2
	s_or_saveexec_b32 s26, s26
	v_mov_b32_e32 v103, s25
	s_xor_b32 exec_lo, exec_lo, s26
	s_cbranch_execnz .LBB2_3961
.LBB2_3796:                             ;   in Loop: Header=BB2_3644 Depth=2
	s_or_b32 exec_lo, exec_lo, s26
	s_and_saveexec_b32 s25, s7
	s_cbranch_execz .LBB2_3798
.LBB2_3797:                             ;   in Loop: Header=BB2_3644 Depth=2
	v_and_b32_e32 v103, 7, v96
	v_lshrrev_b16 v114, 3, v96
	v_lshlrev_b32_e32 v115, 24, v96
	s_delay_alu instid0(VALU_DEP_3) | instskip(NEXT) | instid1(VALU_DEP_1)
	v_clz_i32_u32_e32 v112, v103
	v_min_u32_e32 v112, 32, v112
	s_delay_alu instid0(VALU_DEP_1) | instskip(SKIP_1) | instid1(VALU_DEP_2)
	v_subrev_nc_u32_e32 v113, 28, v112
	v_sub_nc_u32_e32 v112, 29, v112
	v_lshlrev_b32_e32 v113, v113, v96
	s_delay_alu instid0(VALU_DEP_1) | instskip(SKIP_1) | instid1(VALU_DEP_1)
	v_and_b32_e32 v113, 7, v113
	v_and_b32_e32 v114, 15, v114
	v_cmp_eq_u32_e32 vcc_lo, 0, v114
	s_delay_alu instid0(VALU_DEP_3) | instskip(SKIP_1) | instid1(VALU_DEP_2)
	v_dual_cndmask_b32 v103, v103, v113 :: v_dual_cndmask_b32 v112, v114, v112
	v_and_b32_e32 v113, 0x80000000, v115
	v_lshlrev_b32_e32 v103, 20, v103
	s_delay_alu instid0(VALU_DEP_3) | instskip(NEXT) | instid1(VALU_DEP_1)
	v_lshl_add_u32 v112, v112, 23, 0x3b800000
	v_or3_b32 v103, v113, v112, v103
.LBB2_3798:                             ;   in Loop: Header=BB2_3644 Depth=2
	s_or_b32 exec_lo, exec_lo, s25
	s_delay_alu instid0(VALU_DEP_1) | instskip(SKIP_1) | instid1(VALU_DEP_1)
	v_dual_max_f32 v103, v103, v103 :: v_dual_max_f32 v102, v102, v102
	s_mov_b32 s7, 0
	v_max_f32_e32 v102, v102, v103
	s_branch .LBB2_3800
.LBB2_3799:                             ;   in Loop: Header=BB2_3644 Depth=2
	s_mov_b32 s7, -1
                                        ; implicit-def: $vgpr102
.LBB2_3800:                             ;   in Loop: Header=BB2_3644 Depth=2
	s_delay_alu instid0(SALU_CYCLE_1)
	s_and_b32 vcc_lo, exec_lo, s7
	s_cbranch_vccz .LBB2_3810
; %bb.3801:                             ;   in Loop: Header=BB2_3644 Depth=2
	s_mov_b32 s7, 0
	s_mov_b32 s26, exec_lo
                                        ; implicit-def: $sgpr25
	v_cmpx_lt_i16_e32 0x7f, v100
	s_xor_b32 s26, exec_lo, s26
	s_cbranch_execnz .LBB2_3962
; %bb.3802:                             ;   in Loop: Header=BB2_3644 Depth=2
	s_or_saveexec_b32 s26, s26
	v_mov_b32_e32 v102, s25
	s_xor_b32 exec_lo, exec_lo, s26
	s_cbranch_execnz .LBB2_3965
.LBB2_3803:                             ;   in Loop: Header=BB2_3644 Depth=2
	s_or_b32 exec_lo, exec_lo, s26
	s_and_saveexec_b32 s25, s7
	s_cbranch_execz .LBB2_3805
.LBB2_3804:                             ;   in Loop: Header=BB2_3644 Depth=2
	v_and_b32_e32 v100, 7, v97
	v_lshrrev_b16 v112, 3, v97
	s_delay_alu instid0(VALU_DEP_2) | instskip(NEXT) | instid1(VALU_DEP_2)
	v_clz_i32_u32_e32 v102, v100
	v_and_b32_e32 v112, 15, v112
	s_delay_alu instid0(VALU_DEP_2) | instskip(NEXT) | instid1(VALU_DEP_2)
	v_min_u32_e32 v102, 32, v102
	v_cmp_eq_u32_e32 vcc_lo, 0, v112
	s_delay_alu instid0(VALU_DEP_2) | instskip(SKIP_1) | instid1(VALU_DEP_1)
	v_subrev_nc_u32_e32 v103, 28, v102
	v_sub_nc_u32_e32 v102, 29, v102
	v_dual_cndmask_b32 v102, v112, v102 :: v_dual_lshlrev_b32 v103, v103, v97
	s_delay_alu instid0(VALU_DEP_1) | instskip(SKIP_1) | instid1(VALU_DEP_3)
	v_and_b32_e32 v103, 7, v103
	v_lshlrev_b32_e32 v97, 24, v97
	v_lshl_add_u32 v102, v102, 23, 0x3b800000
	s_delay_alu instid0(VALU_DEP_2) | instskip(NEXT) | instid1(VALU_DEP_1)
	v_dual_cndmask_b32 v100, v100, v103 :: v_dual_and_b32 v97, 0x80000000, v97
	v_lshlrev_b32_e32 v100, 20, v100
	s_delay_alu instid0(VALU_DEP_1)
	v_or3_b32 v102, v97, v102, v100
.LBB2_3805:                             ;   in Loop: Header=BB2_3644 Depth=2
	s_or_b32 exec_lo, exec_lo, s25
	s_waitcnt vmcnt(2) lgkmcnt(2)
	v_and_b32_e32 v100, 0xff, v96
	s_mov_b32 s7, 0
	s_mov_b32 s26, exec_lo
                                        ; implicit-def: $sgpr25
	s_delay_alu instid0(VALU_DEP_1)
	v_cmpx_lt_i16_e32 0x7f, v100
	s_xor_b32 s26, exec_lo, s26
	s_cbranch_execnz .LBB2_3966
; %bb.3806:                             ;   in Loop: Header=BB2_3644 Depth=2
	s_or_saveexec_b32 s26, s26
	v_mov_b32_e32 v97, s25
	s_xor_b32 exec_lo, exec_lo, s26
	s_cbranch_execnz .LBB2_3969
.LBB2_3807:                             ;   in Loop: Header=BB2_3644 Depth=2
	s_or_b32 exec_lo, exec_lo, s26
	s_and_saveexec_b32 s25, s7
	s_cbranch_execz .LBB2_3809
.LBB2_3808:                             ;   in Loop: Header=BB2_3644 Depth=2
	v_and_b32_e32 v97, 7, v96
	v_lshrrev_b16 v112, 3, v96
	s_delay_alu instid0(VALU_DEP_2) | instskip(NEXT) | instid1(VALU_DEP_1)
	v_clz_i32_u32_e32 v100, v97
	v_min_u32_e32 v100, 32, v100
	s_delay_alu instid0(VALU_DEP_1) | instskip(SKIP_1) | instid1(VALU_DEP_2)
	v_subrev_nc_u32_e32 v103, 28, v100
	v_sub_nc_u32_e32 v100, 29, v100
	v_lshlrev_b32_e32 v103, v103, v96
	v_lshlrev_b32_e32 v96, 24, v96
	s_delay_alu instid0(VALU_DEP_2) | instskip(SKIP_1) | instid1(VALU_DEP_3)
	v_and_b32_e32 v103, 7, v103
	v_and_b32_e32 v112, 15, v112
	;; [unrolled: 1-line block ×3, first 2 shown]
	s_delay_alu instid0(VALU_DEP_2) | instskip(NEXT) | instid1(VALU_DEP_4)
	v_cmp_eq_u32_e32 vcc_lo, 0, v112
	v_dual_cndmask_b32 v97, v97, v103 :: v_dual_cndmask_b32 v100, v112, v100
	s_delay_alu instid0(VALU_DEP_1) | instskip(NEXT) | instid1(VALU_DEP_2)
	v_lshlrev_b32_e32 v97, 20, v97
	v_lshl_add_u32 v100, v100, 23, 0x3b800000
	s_delay_alu instid0(VALU_DEP_1)
	v_or3_b32 v97, v96, v100, v97
.LBB2_3809:                             ;   in Loop: Header=BB2_3644 Depth=2
	s_or_b32 exec_lo, exec_lo, s25
	s_delay_alu instid0(VALU_DEP_1) | instskip(NEXT) | instid1(VALU_DEP_1)
	v_dual_max_f32 v96, v97, v97 :: v_dual_max_f32 v97, v102, v102
	v_min_f32_e32 v102, v97, v96
.LBB2_3810:                             ;   in Loop: Header=BB2_3644 Depth=2
	s_waitcnt vmcnt(2) lgkmcnt(2)
	s_delay_alu instid0(VALU_DEP_1) | instskip(NEXT) | instid1(VALU_DEP_1)
	v_and_b32_e32 v96, 0x7f800000, v102
	v_cmp_ne_u32_e32 vcc_lo, 0x7f800000, v96
	v_mov_b32_e32 v96, 0x80
	s_and_saveexec_b32 s25, vcc_lo
	s_cbranch_execz .LBB2_3818
; %bb.3811:                             ;   in Loop: Header=BB2_3644 Depth=2
	v_mov_b32_e32 v96, 0
	s_mov_b32 s26, exec_lo
	v_cmpx_ne_u32_e32 0, v102
	s_cbranch_execz .LBB2_3817
; %bb.3812:                             ;   in Loop: Header=BB2_3644 Depth=2
	v_bfe_u32 v96, v102, 23, 8
	s_delay_alu instid0(VALU_DEP_1) | instskip(SKIP_1) | instid1(VALU_DEP_2)
	v_sub_nc_u32_e32 v100, 0x78, v96
	v_cmp_gt_u32_e32 vcc_lo, 0x79, v96
	v_dual_cndmask_b32 v100, 0, v100 :: v_dual_and_b32 v97, 0x7fffff, v102
	s_delay_alu instid0(VALU_DEP_1) | instskip(SKIP_2) | instid1(VALU_DEP_4)
	v_or_b32_e32 v103, 0x800000, v97
	v_cmp_eq_u32_e32 vcc_lo, 0, v96
	v_add_nc_u32_e32 v96, 0xffffff89, v96
	v_cndmask_b32_e64 v100, v100, 0x77, vcc_lo
	s_delay_alu instid0(VALU_DEP_4) | instskip(NEXT) | instid1(VALU_DEP_3)
	v_cndmask_b32_e32 v97, v103, v97, vcc_lo
	v_cndmask_b32_e64 v96, v96, 0xffffff8a, vcc_lo
	s_delay_alu instid0(VALU_DEP_3) | instskip(NEXT) | instid1(VALU_DEP_3)
	v_lshl_add_u32 v103, 0x100000, v100, -1
	v_lshrrev_b32_e32 v112, v100, v97
	v_lshlrev_b32_e64 v114, v100, 0x80000
	s_delay_alu instid0(VALU_DEP_4) | instskip(NEXT) | instid1(VALU_DEP_4)
	v_add_nc_u32_e32 v100, v100, v96
	v_and_b32_e32 v97, v103, v97
	s_delay_alu instid0(VALU_DEP_4) | instskip(NEXT) | instid1(VALU_DEP_2)
	v_bfe_u32 v113, v112, 20, 1
	v_cmp_eq_u32_e64 s7, v97, v114
	s_delay_alu instid0(VALU_DEP_2) | instskip(NEXT) | instid1(VALU_DEP_1)
	v_add_nc_u32_e32 v103, -1, v113
	v_cndmask_b32_e64 v97, 0, v103, s7
	v_lshrrev_b32_e32 v103, 23, v112
	s_mov_b32 s7, exec_lo
	s_delay_alu instid0(VALU_DEP_2) | instskip(NEXT) | instid1(VALU_DEP_2)
	v_add_nc_u32_e32 v97, v97, v112
	v_xor_b32_e32 v103, 1, v103
	s_delay_alu instid0(VALU_DEP_2) | instskip(NEXT) | instid1(VALU_DEP_1)
	v_and_b32_e32 v96, 0xfffff, v97
	v_add_nc_u32_e32 v97, v96, v112
                                        ; implicit-def: $vgpr96
	s_delay_alu instid0(VALU_DEP_3)
	v_cmpx_ne_u32_e64 v100, v103
	s_xor_b32 s7, exec_lo, s7
; %bb.3813:                             ;   in Loop: Header=BB2_3644 Depth=2
	s_delay_alu instid0(VALU_DEP_2) | instskip(SKIP_2) | instid1(VALU_DEP_2)
	v_cmp_lt_u32_e32 vcc_lo, 0xffffff, v97
	v_sub_nc_u32_e32 v96, v100, v103
	v_cndmask_b32_e64 v100, 0, 1, vcc_lo
	v_add_co_ci_u32_e32 v96, vcc_lo, 0, v96, vcc_lo
	s_delay_alu instid0(VALU_DEP_2)
	v_lshrrev_b32_e32 v97, v100, v97
; %bb.3814:                             ;   in Loop: Header=BB2_3644 Depth=2
	s_and_not1_saveexec_b32 s7, s7
; %bb.3815:                             ;   in Loop: Header=BB2_3644 Depth=2
	s_delay_alu instid0(VALU_DEP_1)
	v_bfe_u32 v96, v97, 23, 1
; %bb.3816:                             ;   in Loop: Header=BB2_3644 Depth=2
	s_or_b32 exec_lo, exec_lo, s7
	v_lshrrev_b32_e32 v97, 20, v97
	s_delay_alu instid0(VALU_DEP_2) | instskip(SKIP_2) | instid1(VALU_DEP_2)
	v_cmp_gt_i32_e32 vcc_lo, 16, v96
	v_lshrrev_b32_e32 v100, 24, v102
	v_min_i32_e32 v102, 15, v96
	v_dual_cndmask_b32 v97, 7, v97 :: v_dual_and_b32 v100, 0x80, v100
	s_delay_alu instid0(VALU_DEP_2) | instskip(NEXT) | instid1(VALU_DEP_2)
	v_lshlrev_b32_e32 v102, 3, v102
	v_and_b32_e32 v103, 7, v97
	v_or_b32_e32 v96, v96, v97
	s_delay_alu instid0(VALU_DEP_2) | instskip(NEXT) | instid1(VALU_DEP_2)
	v_or3_b32 v97, v102, v100, v103
	v_cmp_ne_u32_e32 vcc_lo, 0, v96
	s_delay_alu instid0(VALU_DEP_2)
	v_cndmask_b32_e32 v96, 0, v97, vcc_lo
.LBB2_3817:                             ;   in Loop: Header=BB2_3644 Depth=2
	s_or_b32 exec_lo, exec_lo, s26
.LBB2_3818:                             ;   in Loop: Header=BB2_3644 Depth=2
	s_delay_alu instid0(SALU_CYCLE_1) | instskip(SKIP_2) | instid1(VALU_DEP_1)
	s_or_b32 exec_lo, exec_lo, s25
	v_and_b32_e32 v97, 0xff, v53
	s_and_not1_b32 vcc_lo, exec_lo, s23
	v_cmp_lt_i16_e64 s7, 0x7f, v97
	s_cbranch_vccnz .LBB2_3828
; %bb.3819:                             ;   in Loop: Header=BB2_3644 Depth=2
	s_mov_b32 s25, 0
                                        ; implicit-def: $sgpr26
	s_delay_alu instid0(VALU_DEP_1) | instskip(NEXT) | instid1(SALU_CYCLE_1)
	s_and_saveexec_b32 s27, s7
	s_xor_b32 s7, exec_lo, s27
	s_cbranch_execnz .LBB2_3970
; %bb.3820:                             ;   in Loop: Header=BB2_3644 Depth=2
	s_or_saveexec_b32 s7, s7
	v_mov_b32_e32 v100, s26
	s_xor_b32 exec_lo, exec_lo, s7
	s_cbranch_execnz .LBB2_3973
.LBB2_3821:                             ;   in Loop: Header=BB2_3644 Depth=2
	s_or_b32 exec_lo, exec_lo, s7
	s_and_saveexec_b32 s7, s25
	s_cbranch_execz .LBB2_3823
.LBB2_3822:                             ;   in Loop: Header=BB2_3644 Depth=2
	v_and_b32_e32 v100, 7, v53
	v_lshrrev_b16 v112, 3, v53
	s_delay_alu instid0(VALU_DEP_2) | instskip(NEXT) | instid1(VALU_DEP_2)
	v_clz_i32_u32_e32 v102, v100
	v_and_b32_e32 v112, 15, v112
	s_delay_alu instid0(VALU_DEP_2) | instskip(NEXT) | instid1(VALU_DEP_2)
	v_min_u32_e32 v102, 32, v102
	v_cmp_eq_u32_e32 vcc_lo, 0, v112
	s_delay_alu instid0(VALU_DEP_2) | instskip(SKIP_1) | instid1(VALU_DEP_1)
	v_subrev_nc_u32_e32 v103, 28, v102
	v_sub_nc_u32_e32 v102, 29, v102
	v_dual_cndmask_b32 v102, v112, v102 :: v_dual_lshlrev_b32 v103, v103, v53
	s_delay_alu instid0(VALU_DEP_1) | instskip(SKIP_1) | instid1(VALU_DEP_3)
	v_and_b32_e32 v103, 7, v103
	v_lshlrev_b32_e32 v113, 24, v53
	v_lshl_add_u32 v102, v102, 23, 0x3b800000
	s_delay_alu instid0(VALU_DEP_2) | instskip(NEXT) | instid1(VALU_DEP_1)
	v_dual_cndmask_b32 v100, v100, v103 :: v_dual_and_b32 v103, 0x80000000, v113
	v_lshlrev_b32_e32 v100, 20, v100
	s_delay_alu instid0(VALU_DEP_1)
	v_or3_b32 v100, v103, v102, v100
.LBB2_3823:                             ;   in Loop: Header=BB2_3644 Depth=2
	s_or_b32 exec_lo, exec_lo, s7
	s_waitcnt vmcnt(1) lgkmcnt(1)
	v_and_b32_e32 v103, 0xff, v52
	s_mov_b32 s7, 0
	s_mov_b32 s26, exec_lo
                                        ; implicit-def: $sgpr25
	s_delay_alu instid0(VALU_DEP_1)
	v_cmpx_lt_i16_e32 0x7f, v103
	s_xor_b32 s26, exec_lo, s26
	s_cbranch_execnz .LBB2_3974
; %bb.3824:                             ;   in Loop: Header=BB2_3644 Depth=2
	s_or_saveexec_b32 s26, s26
	v_mov_b32_e32 v102, s25
	s_xor_b32 exec_lo, exec_lo, s26
	s_cbranch_execnz .LBB2_3977
.LBB2_3825:                             ;   in Loop: Header=BB2_3644 Depth=2
	s_or_b32 exec_lo, exec_lo, s26
	s_and_saveexec_b32 s25, s7
	s_cbranch_execz .LBB2_3827
.LBB2_3826:                             ;   in Loop: Header=BB2_3644 Depth=2
	v_lshrrev_b16 v113, 3, v52
	v_lshlrev_b32_e32 v114, 24, v52
	s_delay_alu instid0(VALU_DEP_2) | instskip(NEXT) | instid1(VALU_DEP_1)
	v_and_b32_e32 v113, 15, v113
	v_cmp_eq_u32_e32 vcc_lo, 0, v113
	v_and_b32_e32 v102, 7, v52
	s_delay_alu instid0(VALU_DEP_1) | instskip(NEXT) | instid1(VALU_DEP_1)
	v_clz_i32_u32_e32 v103, v102
	v_min_u32_e32 v103, 32, v103
	s_delay_alu instid0(VALU_DEP_1) | instskip(SKIP_1) | instid1(VALU_DEP_1)
	v_subrev_nc_u32_e32 v112, 28, v103
	v_sub_nc_u32_e32 v103, 29, v103
	v_dual_cndmask_b32 v103, v113, v103 :: v_dual_lshlrev_b32 v112, v112, v52
	s_delay_alu instid0(VALU_DEP_1) | instskip(NEXT) | instid1(VALU_DEP_2)
	v_and_b32_e32 v112, 7, v112
	v_lshl_add_u32 v103, v103, 23, 0x3b800000
	s_delay_alu instid0(VALU_DEP_2) | instskip(SKIP_1) | instid1(VALU_DEP_2)
	v_cndmask_b32_e32 v102, v102, v112, vcc_lo
	v_and_b32_e32 v112, 0x80000000, v114
	v_lshlrev_b32_e32 v102, 20, v102
	s_delay_alu instid0(VALU_DEP_1)
	v_or3_b32 v102, v112, v103, v102
.LBB2_3827:                             ;   in Loop: Header=BB2_3644 Depth=2
	s_or_b32 exec_lo, exec_lo, s25
	s_delay_alu instid0(VALU_DEP_1) | instskip(SKIP_2) | instid1(VALU_DEP_1)
	v_max_f32_e32 v102, v102, v102
	v_max_f32_e32 v100, v100, v100
	s_mov_b32 s7, 0
	v_max_f32_e32 v100, v100, v102
	s_branch .LBB2_3829
.LBB2_3828:                             ;   in Loop: Header=BB2_3644 Depth=2
	s_mov_b32 s7, -1
                                        ; implicit-def: $vgpr100
.LBB2_3829:                             ;   in Loop: Header=BB2_3644 Depth=2
	s_delay_alu instid0(SALU_CYCLE_1)
	s_and_b32 vcc_lo, exec_lo, s7
	s_cbranch_vccz .LBB2_3839
; %bb.3830:                             ;   in Loop: Header=BB2_3644 Depth=2
	s_mov_b32 s7, 0
	s_mov_b32 s26, exec_lo
                                        ; implicit-def: $sgpr25
	v_cmpx_lt_i16_e32 0x7f, v97
	s_xor_b32 s26, exec_lo, s26
	s_cbranch_execnz .LBB2_3978
; %bb.3831:                             ;   in Loop: Header=BB2_3644 Depth=2
	s_or_saveexec_b32 s26, s26
	v_mov_b32_e32 v100, s25
	s_xor_b32 exec_lo, exec_lo, s26
	s_cbranch_execnz .LBB2_3981
.LBB2_3832:                             ;   in Loop: Header=BB2_3644 Depth=2
	s_or_b32 exec_lo, exec_lo, s26
	s_and_saveexec_b32 s25, s7
	s_cbranch_execz .LBB2_3834
.LBB2_3833:                             ;   in Loop: Header=BB2_3644 Depth=2
	v_lshrrev_b16 v103, 3, v53
	s_delay_alu instid0(VALU_DEP_1) | instskip(NEXT) | instid1(VALU_DEP_1)
	v_and_b32_e32 v103, 15, v103
	v_cmp_eq_u32_e32 vcc_lo, 0, v103
	v_and_b32_e32 v97, 7, v53
	s_delay_alu instid0(VALU_DEP_1) | instskip(NEXT) | instid1(VALU_DEP_1)
	v_clz_i32_u32_e32 v100, v97
	v_min_u32_e32 v100, 32, v100
	s_delay_alu instid0(VALU_DEP_1) | instskip(SKIP_1) | instid1(VALU_DEP_2)
	v_subrev_nc_u32_e32 v102, 28, v100
	v_sub_nc_u32_e32 v100, 29, v100
	v_lshlrev_b32_e32 v102, v102, v53
	s_delay_alu instid0(VALU_DEP_2) | instskip(NEXT) | instid1(VALU_DEP_2)
	v_dual_cndmask_b32 v100, v103, v100 :: v_dual_lshlrev_b32 v53, 24, v53
	v_and_b32_e32 v102, 7, v102
	s_delay_alu instid0(VALU_DEP_2) | instskip(NEXT) | instid1(VALU_DEP_3)
	v_lshl_add_u32 v100, v100, 23, 0x3b800000
	v_and_b32_e32 v53, 0x80000000, v53
	s_delay_alu instid0(VALU_DEP_3) | instskip(NEXT) | instid1(VALU_DEP_1)
	v_cndmask_b32_e32 v97, v97, v102, vcc_lo
	v_lshlrev_b32_e32 v97, 20, v97
	s_delay_alu instid0(VALU_DEP_1)
	v_or3_b32 v100, v53, v100, v97
.LBB2_3834:                             ;   in Loop: Header=BB2_3644 Depth=2
	s_or_b32 exec_lo, exec_lo, s25
	s_waitcnt vmcnt(1) lgkmcnt(1)
	v_and_b32_e32 v97, 0xff, v52
	s_mov_b32 s7, 0
	s_mov_b32 s26, exec_lo
                                        ; implicit-def: $sgpr25
	s_delay_alu instid0(VALU_DEP_1)
	v_cmpx_lt_i16_e32 0x7f, v97
	s_xor_b32 s26, exec_lo, s26
	s_cbranch_execnz .LBB2_3982
; %bb.3835:                             ;   in Loop: Header=BB2_3644 Depth=2
	s_or_saveexec_b32 s26, s26
	v_mov_b32_e32 v53, s25
	s_xor_b32 exec_lo, exec_lo, s26
	s_cbranch_execnz .LBB2_3985
.LBB2_3836:                             ;   in Loop: Header=BB2_3644 Depth=2
	s_or_b32 exec_lo, exec_lo, s26
	s_and_saveexec_b32 s25, s7
	s_cbranch_execz .LBB2_3838
.LBB2_3837:                             ;   in Loop: Header=BB2_3644 Depth=2
	v_and_b32_e32 v53, 7, v52
	v_lshrrev_b16 v103, 3, v52
	s_delay_alu instid0(VALU_DEP_2) | instskip(NEXT) | instid1(VALU_DEP_2)
	v_clz_i32_u32_e32 v97, v53
	v_and_b32_e32 v103, 15, v103
	s_delay_alu instid0(VALU_DEP_2) | instskip(NEXT) | instid1(VALU_DEP_2)
	v_min_u32_e32 v97, 32, v97
	v_cmp_eq_u32_e32 vcc_lo, 0, v103
	s_delay_alu instid0(VALU_DEP_2) | instskip(SKIP_1) | instid1(VALU_DEP_1)
	v_subrev_nc_u32_e32 v102, 28, v97
	v_sub_nc_u32_e32 v97, 29, v97
	v_dual_cndmask_b32 v97, v103, v97 :: v_dual_lshlrev_b32 v102, v102, v52
	s_delay_alu instid0(VALU_DEP_1) | instskip(SKIP_1) | instid1(VALU_DEP_3)
	v_and_b32_e32 v102, 7, v102
	v_lshlrev_b32_e32 v52, 24, v52
	v_lshl_add_u32 v97, v97, 23, 0x3b800000
	s_delay_alu instid0(VALU_DEP_2) | instskip(NEXT) | instid1(VALU_DEP_1)
	v_dual_cndmask_b32 v53, v53, v102 :: v_dual_and_b32 v52, 0x80000000, v52
	v_lshlrev_b32_e32 v53, 20, v53
	s_delay_alu instid0(VALU_DEP_1)
	v_or3_b32 v53, v52, v97, v53
.LBB2_3838:                             ;   in Loop: Header=BB2_3644 Depth=2
	s_or_b32 exec_lo, exec_lo, s25
	s_delay_alu instid0(VALU_DEP_1) | instskip(NEXT) | instid1(VALU_DEP_1)
	v_dual_max_f32 v52, v53, v53 :: v_dual_max_f32 v53, v100, v100
	v_min_f32_e32 v100, v53, v52
.LBB2_3839:                             ;   in Loop: Header=BB2_3644 Depth=2
	s_waitcnt vmcnt(1) lgkmcnt(1)
	s_delay_alu instid0(VALU_DEP_1) | instskip(NEXT) | instid1(VALU_DEP_1)
	v_and_b32_e32 v52, 0x7f800000, v100
	v_cmp_ne_u32_e32 vcc_lo, 0x7f800000, v52
	v_mov_b32_e32 v52, 0x80
	s_and_saveexec_b32 s25, vcc_lo
	s_cbranch_execz .LBB2_3847
; %bb.3840:                             ;   in Loop: Header=BB2_3644 Depth=2
	v_mov_b32_e32 v52, 0
	s_mov_b32 s26, exec_lo
	v_cmpx_ne_u32_e32 0, v100
	s_cbranch_execz .LBB2_3846
; %bb.3841:                             ;   in Loop: Header=BB2_3644 Depth=2
	v_bfe_u32 v52, v100, 23, 8
	v_and_b32_e32 v53, 0x7fffff, v100
	s_delay_alu instid0(VALU_DEP_2) | instskip(SKIP_1) | instid1(VALU_DEP_3)
	v_sub_nc_u32_e32 v97, 0x78, v52
	v_cmp_gt_u32_e32 vcc_lo, 0x79, v52
	v_or_b32_e32 v102, 0x800000, v53
	s_delay_alu instid0(VALU_DEP_3) | instskip(SKIP_2) | instid1(VALU_DEP_3)
	v_cndmask_b32_e32 v97, 0, v97, vcc_lo
	v_cmp_eq_u32_e32 vcc_lo, 0, v52
	v_add_nc_u32_e32 v52, 0xffffff89, v52
	v_cndmask_b32_e64 v97, v97, 0x77, vcc_lo
	v_cndmask_b32_e32 v53, v102, v53, vcc_lo
	s_delay_alu instid0(VALU_DEP_3) | instskip(NEXT) | instid1(VALU_DEP_3)
	v_cndmask_b32_e64 v52, v52, 0xffffff8a, vcc_lo
	v_lshl_add_u32 v102, 0x100000, v97, -1
	s_delay_alu instid0(VALU_DEP_3) | instskip(SKIP_1) | instid1(VALU_DEP_4)
	v_lshrrev_b32_e32 v103, v97, v53
	v_lshlrev_b32_e64 v113, v97, 0x80000
	v_add_nc_u32_e32 v97, v97, v52
	s_delay_alu instid0(VALU_DEP_4) | instskip(NEXT) | instid1(VALU_DEP_4)
	v_and_b32_e32 v53, v102, v53
	v_bfe_u32 v112, v103, 20, 1
	s_delay_alu instid0(VALU_DEP_2) | instskip(NEXT) | instid1(VALU_DEP_2)
	v_cmp_eq_u32_e64 s7, v53, v113
	v_add_nc_u32_e32 v102, -1, v112
	s_delay_alu instid0(VALU_DEP_1) | instskip(SKIP_2) | instid1(VALU_DEP_2)
	v_cndmask_b32_e64 v53, 0, v102, s7
	v_lshrrev_b32_e32 v102, 23, v103
	s_mov_b32 s7, exec_lo
	v_add_nc_u32_e32 v53, v53, v103
	s_delay_alu instid0(VALU_DEP_2) | instskip(NEXT) | instid1(VALU_DEP_2)
	v_xor_b32_e32 v102, 1, v102
	v_and_b32_e32 v52, 0xfffff, v53
	s_delay_alu instid0(VALU_DEP_1) | instskip(NEXT) | instid1(VALU_DEP_3)
	v_add_nc_u32_e32 v53, v52, v103
                                        ; implicit-def: $vgpr52
	v_cmpx_ne_u32_e64 v97, v102
	s_xor_b32 s7, exec_lo, s7
; %bb.3842:                             ;   in Loop: Header=BB2_3644 Depth=2
	s_delay_alu instid0(VALU_DEP_2) | instskip(SKIP_2) | instid1(VALU_DEP_2)
	v_cmp_lt_u32_e32 vcc_lo, 0xffffff, v53
	v_sub_nc_u32_e32 v52, v97, v102
	v_cndmask_b32_e64 v97, 0, 1, vcc_lo
	v_add_co_ci_u32_e32 v52, vcc_lo, 0, v52, vcc_lo
	s_delay_alu instid0(VALU_DEP_2)
	v_lshrrev_b32_e32 v53, v97, v53
; %bb.3843:                             ;   in Loop: Header=BB2_3644 Depth=2
	s_and_not1_saveexec_b32 s7, s7
; %bb.3844:                             ;   in Loop: Header=BB2_3644 Depth=2
	s_delay_alu instid0(VALU_DEP_1)
	v_bfe_u32 v52, v53, 23, 1
; %bb.3845:                             ;   in Loop: Header=BB2_3644 Depth=2
	s_or_b32 exec_lo, exec_lo, s7
	v_lshrrev_b32_e32 v53, 20, v53
	s_delay_alu instid0(VALU_DEP_2) | instskip(SKIP_2) | instid1(VALU_DEP_4)
	v_cmp_gt_i32_e32 vcc_lo, 16, v52
	v_lshrrev_b32_e32 v97, 24, v100
	v_min_i32_e32 v100, 15, v52
	v_cndmask_b32_e32 v53, 7, v53, vcc_lo
	s_delay_alu instid0(VALU_DEP_3) | instskip(NEXT) | instid1(VALU_DEP_3)
	v_and_b32_e32 v97, 0x80, v97
	v_lshlrev_b32_e32 v100, 3, v100
	s_delay_alu instid0(VALU_DEP_3) | instskip(SKIP_1) | instid1(VALU_DEP_2)
	v_and_b32_e32 v102, 7, v53
	v_or_b32_e32 v52, v52, v53
	v_or3_b32 v53, v100, v97, v102
	s_delay_alu instid0(VALU_DEP_2) | instskip(NEXT) | instid1(VALU_DEP_2)
	v_cmp_ne_u32_e32 vcc_lo, 0, v52
	v_cndmask_b32_e32 v52, 0, v53, vcc_lo
.LBB2_3846:                             ;   in Loop: Header=BB2_3644 Depth=2
	s_or_b32 exec_lo, exec_lo, s26
.LBB2_3847:                             ;   in Loop: Header=BB2_3644 Depth=2
	s_delay_alu instid0(SALU_CYCLE_1) | instskip(SKIP_2) | instid1(VALU_DEP_1)
	s_or_b32 exec_lo, exec_lo, s25
	v_and_b32_e32 v53, 0xff, v50
	s_and_not1_b32 vcc_lo, exec_lo, s23
	v_cmp_lt_i16_e64 s7, 0x7f, v53
	s_cbranch_vccnz .LBB2_3857
; %bb.3848:                             ;   in Loop: Header=BB2_3644 Depth=2
	s_mov_b32 s25, 0
                                        ; implicit-def: $sgpr26
	s_delay_alu instid0(VALU_DEP_1) | instskip(NEXT) | instid1(SALU_CYCLE_1)
	s_and_saveexec_b32 s27, s7
	s_xor_b32 s7, exec_lo, s27
	s_cbranch_execnz .LBB2_3986
; %bb.3849:                             ;   in Loop: Header=BB2_3644 Depth=2
	s_or_saveexec_b32 s7, s7
	v_mov_b32_e32 v97, s26
	s_xor_b32 exec_lo, exec_lo, s7
	s_cbranch_execnz .LBB2_3989
.LBB2_3850:                             ;   in Loop: Header=BB2_3644 Depth=2
	s_or_b32 exec_lo, exec_lo, s7
	s_and_saveexec_b32 s7, s25
	s_cbranch_execz .LBB2_3852
.LBB2_3851:                             ;   in Loop: Header=BB2_3644 Depth=2
	v_lshrrev_b16 v103, 3, v50
	v_lshlrev_b32_e32 v112, 24, v50
	s_delay_alu instid0(VALU_DEP_2) | instskip(NEXT) | instid1(VALU_DEP_1)
	v_and_b32_e32 v103, 15, v103
	v_cmp_eq_u32_e32 vcc_lo, 0, v103
	v_and_b32_e32 v97, 7, v50
	s_delay_alu instid0(VALU_DEP_1) | instskip(NEXT) | instid1(VALU_DEP_1)
	v_clz_i32_u32_e32 v100, v97
	v_min_u32_e32 v100, 32, v100
	s_delay_alu instid0(VALU_DEP_1) | instskip(SKIP_1) | instid1(VALU_DEP_2)
	v_subrev_nc_u32_e32 v102, 28, v100
	v_sub_nc_u32_e32 v100, 29, v100
	v_lshlrev_b32_e32 v102, v102, v50
	s_delay_alu instid0(VALU_DEP_2) | instskip(NEXT) | instid1(VALU_DEP_2)
	v_cndmask_b32_e32 v100, v103, v100, vcc_lo
	v_and_b32_e32 v102, 7, v102
	s_delay_alu instid0(VALU_DEP_2) | instskip(NEXT) | instid1(VALU_DEP_2)
	v_lshl_add_u32 v100, v100, 23, 0x3b800000
	v_dual_cndmask_b32 v97, v97, v102 :: v_dual_and_b32 v102, 0x80000000, v112
	s_delay_alu instid0(VALU_DEP_1) | instskip(NEXT) | instid1(VALU_DEP_1)
	v_lshlrev_b32_e32 v97, 20, v97
	v_or3_b32 v97, v102, v100, v97
.LBB2_3852:                             ;   in Loop: Header=BB2_3644 Depth=2
	s_or_b32 exec_lo, exec_lo, s7
	s_waitcnt vmcnt(0) lgkmcnt(0)
	v_and_b32_e32 v102, 0xff, v49
	s_mov_b32 s7, 0
	s_mov_b32 s26, exec_lo
                                        ; implicit-def: $sgpr25
	s_delay_alu instid0(VALU_DEP_1)
	v_cmpx_lt_i16_e32 0x7f, v102
	s_xor_b32 s26, exec_lo, s26
	s_cbranch_execnz .LBB2_3990
; %bb.3853:                             ;   in Loop: Header=BB2_3644 Depth=2
	s_or_saveexec_b32 s26, s26
	v_mov_b32_e32 v100, s25
	s_xor_b32 exec_lo, exec_lo, s26
	s_cbranch_execnz .LBB2_3993
.LBB2_3854:                             ;   in Loop: Header=BB2_3644 Depth=2
	s_or_b32 exec_lo, exec_lo, s26
	s_and_saveexec_b32 s25, s7
	s_cbranch_execz .LBB2_3856
.LBB2_3855:                             ;   in Loop: Header=BB2_3644 Depth=2
	v_and_b32_e32 v100, 7, v49
	v_lshrrev_b16 v112, 3, v49
	s_delay_alu instid0(VALU_DEP_2) | instskip(NEXT) | instid1(VALU_DEP_2)
	v_clz_i32_u32_e32 v102, v100
	v_and_b32_e32 v112, 15, v112
	s_delay_alu instid0(VALU_DEP_2) | instskip(NEXT) | instid1(VALU_DEP_2)
	v_min_u32_e32 v102, 32, v102
	v_cmp_eq_u32_e32 vcc_lo, 0, v112
	s_delay_alu instid0(VALU_DEP_2) | instskip(SKIP_1) | instid1(VALU_DEP_1)
	v_subrev_nc_u32_e32 v103, 28, v102
	v_sub_nc_u32_e32 v102, 29, v102
	v_dual_cndmask_b32 v102, v112, v102 :: v_dual_lshlrev_b32 v103, v103, v49
	s_delay_alu instid0(VALU_DEP_1) | instskip(SKIP_1) | instid1(VALU_DEP_3)
	v_and_b32_e32 v103, 7, v103
	v_lshlrev_b32_e32 v113, 24, v49
	v_lshl_add_u32 v102, v102, 23, 0x3b800000
	s_delay_alu instid0(VALU_DEP_2) | instskip(NEXT) | instid1(VALU_DEP_1)
	v_dual_cndmask_b32 v100, v100, v103 :: v_dual_and_b32 v103, 0x80000000, v113
	v_lshlrev_b32_e32 v100, 20, v100
	s_delay_alu instid0(VALU_DEP_1)
	v_or3_b32 v100, v103, v102, v100
.LBB2_3856:                             ;   in Loop: Header=BB2_3644 Depth=2
	s_or_b32 exec_lo, exec_lo, s25
	s_delay_alu instid0(VALU_DEP_1) | instskip(SKIP_1) | instid1(VALU_DEP_1)
	v_dual_max_f32 v100, v100, v100 :: v_dual_max_f32 v97, v97, v97
	s_mov_b32 s7, 0
	v_max_f32_e32 v97, v97, v100
	s_branch .LBB2_3858
.LBB2_3857:                             ;   in Loop: Header=BB2_3644 Depth=2
	s_mov_b32 s7, -1
                                        ; implicit-def: $vgpr97
.LBB2_3858:                             ;   in Loop: Header=BB2_3644 Depth=2
	s_delay_alu instid0(SALU_CYCLE_1)
	s_and_b32 vcc_lo, exec_lo, s7
	s_cbranch_vccz .LBB2_3868
; %bb.3859:                             ;   in Loop: Header=BB2_3644 Depth=2
	s_mov_b32 s7, 0
	s_mov_b32 s26, exec_lo
                                        ; implicit-def: $sgpr25
	v_cmpx_lt_i16_e32 0x7f, v53
	s_xor_b32 s26, exec_lo, s26
	s_cbranch_execnz .LBB2_3994
; %bb.3860:                             ;   in Loop: Header=BB2_3644 Depth=2
	s_or_saveexec_b32 s26, s26
	v_mov_b32_e32 v97, s25
	s_xor_b32 exec_lo, exec_lo, s26
	s_cbranch_execnz .LBB2_3997
.LBB2_3861:                             ;   in Loop: Header=BB2_3644 Depth=2
	s_or_b32 exec_lo, exec_lo, s26
	s_and_saveexec_b32 s25, s7
	s_cbranch_execz .LBB2_3863
.LBB2_3862:                             ;   in Loop: Header=BB2_3644 Depth=2
	v_and_b32_e32 v53, 7, v50
	v_lshrrev_b16 v102, 3, v50
	s_delay_alu instid0(VALU_DEP_2) | instskip(NEXT) | instid1(VALU_DEP_2)
	v_clz_i32_u32_e32 v97, v53
	v_and_b32_e32 v102, 15, v102
	s_delay_alu instid0(VALU_DEP_2) | instskip(NEXT) | instid1(VALU_DEP_2)
	v_min_u32_e32 v97, 32, v97
	v_cmp_eq_u32_e32 vcc_lo, 0, v102
	s_delay_alu instid0(VALU_DEP_2) | instskip(SKIP_1) | instid1(VALU_DEP_1)
	v_subrev_nc_u32_e32 v100, 28, v97
	v_sub_nc_u32_e32 v97, 29, v97
	v_dual_cndmask_b32 v97, v102, v97 :: v_dual_lshlrev_b32 v100, v100, v50
	v_lshlrev_b32_e32 v50, 24, v50
	s_delay_alu instid0(VALU_DEP_2) | instskip(NEXT) | instid1(VALU_DEP_3)
	v_and_b32_e32 v100, 7, v100
	v_lshl_add_u32 v97, v97, 23, 0x3b800000
	s_delay_alu instid0(VALU_DEP_2) | instskip(NEXT) | instid1(VALU_DEP_1)
	v_dual_cndmask_b32 v53, v53, v100 :: v_dual_and_b32 v50, 0x80000000, v50
	v_lshlrev_b32_e32 v53, 20, v53
	s_delay_alu instid0(VALU_DEP_1)
	v_or3_b32 v97, v50, v97, v53
.LBB2_3863:                             ;   in Loop: Header=BB2_3644 Depth=2
	s_or_b32 exec_lo, exec_lo, s25
	s_waitcnt vmcnt(0) lgkmcnt(0)
	v_and_b32_e32 v53, 0xff, v49
	s_mov_b32 s7, 0
	s_mov_b32 s26, exec_lo
                                        ; implicit-def: $sgpr25
	s_delay_alu instid0(VALU_DEP_1)
	v_cmpx_lt_i16_e32 0x7f, v53
	s_xor_b32 s26, exec_lo, s26
	s_cbranch_execnz .LBB2_3998
; %bb.3864:                             ;   in Loop: Header=BB2_3644 Depth=2
	s_or_saveexec_b32 s26, s26
	v_mov_b32_e32 v50, s25
	s_xor_b32 exec_lo, exec_lo, s26
	s_cbranch_execnz .LBB2_4001
.LBB2_3865:                             ;   in Loop: Header=BB2_3644 Depth=2
	s_or_b32 exec_lo, exec_lo, s26
	s_and_saveexec_b32 s25, s7
	s_cbranch_execz .LBB2_3867
.LBB2_3866:                             ;   in Loop: Header=BB2_3644 Depth=2
	v_and_b32_e32 v50, 7, v49
	v_lshrrev_b16 v102, 3, v49
	s_delay_alu instid0(VALU_DEP_2) | instskip(NEXT) | instid1(VALU_DEP_2)
	v_clz_i32_u32_e32 v53, v50
	v_and_b32_e32 v102, 15, v102
	s_delay_alu instid0(VALU_DEP_2) | instskip(NEXT) | instid1(VALU_DEP_2)
	v_min_u32_e32 v53, 32, v53
	v_cmp_eq_u32_e32 vcc_lo, 0, v102
	s_delay_alu instid0(VALU_DEP_2) | instskip(SKIP_1) | instid1(VALU_DEP_2)
	v_subrev_nc_u32_e32 v100, 28, v53
	v_sub_nc_u32_e32 v53, 29, v53
	v_lshlrev_b32_e32 v100, v100, v49
	s_delay_alu instid0(VALU_DEP_1) | instskip(SKIP_1) | instid1(VALU_DEP_2)
	v_dual_cndmask_b32 v53, v102, v53 :: v_dual_and_b32 v100, 7, v100
	v_lshlrev_b32_e32 v49, 24, v49
	v_lshl_add_u32 v53, v53, 23, 0x3b800000
	s_delay_alu instid0(VALU_DEP_2) | instskip(NEXT) | instid1(VALU_DEP_1)
	v_dual_cndmask_b32 v50, v50, v100 :: v_dual_and_b32 v49, 0x80000000, v49
	v_lshlrev_b32_e32 v50, 20, v50
	s_delay_alu instid0(VALU_DEP_1)
	v_or3_b32 v50, v49, v53, v50
.LBB2_3867:                             ;   in Loop: Header=BB2_3644 Depth=2
	s_or_b32 exec_lo, exec_lo, s25
	s_delay_alu instid0(VALU_DEP_1) | instskip(NEXT) | instid1(VALU_DEP_1)
	v_dual_max_f32 v49, v50, v50 :: v_dual_max_f32 v50, v97, v97
	v_min_f32_e32 v97, v50, v49
.LBB2_3868:                             ;   in Loop: Header=BB2_3644 Depth=2
	s_waitcnt vmcnt(0) lgkmcnt(0)
	s_delay_alu instid0(VALU_DEP_1) | instskip(NEXT) | instid1(VALU_DEP_1)
	v_and_b32_e32 v49, 0x7f800000, v97
	v_cmp_ne_u32_e32 vcc_lo, 0x7f800000, v49
	v_mov_b32_e32 v49, 0x80
	s_and_saveexec_b32 s25, vcc_lo
	s_cbranch_execz .LBB2_3643
; %bb.3869:                             ;   in Loop: Header=BB2_3644 Depth=2
	v_mov_b32_e32 v49, 0
	s_mov_b32 s26, exec_lo
	v_cmpx_ne_u32_e32 0, v97
	s_cbranch_execz .LBB2_3642
; %bb.3870:                             ;   in Loop: Header=BB2_3644 Depth=2
	v_bfe_u32 v49, v97, 23, 8
	v_and_b32_e32 v50, 0x7fffff, v97
	s_delay_alu instid0(VALU_DEP_2) | instskip(SKIP_1) | instid1(VALU_DEP_3)
	v_sub_nc_u32_e32 v53, 0x78, v49
	v_cmp_gt_u32_e32 vcc_lo, 0x79, v49
	v_or_b32_e32 v100, 0x800000, v50
	s_delay_alu instid0(VALU_DEP_3) | instskip(SKIP_1) | instid1(VALU_DEP_3)
	v_cndmask_b32_e32 v53, 0, v53, vcc_lo
	v_cmp_eq_u32_e32 vcc_lo, 0, v49
	v_dual_cndmask_b32 v50, v100, v50 :: v_dual_add_nc_u32 v49, 0xffffff89, v49
	s_delay_alu instid0(VALU_DEP_3) | instskip(NEXT) | instid1(VALU_DEP_2)
	v_cndmask_b32_e64 v53, v53, 0x77, vcc_lo
	v_cndmask_b32_e64 v49, v49, 0xffffff8a, vcc_lo
	s_delay_alu instid0(VALU_DEP_2) | instskip(SKIP_2) | instid1(VALU_DEP_4)
	v_lshrrev_b32_e32 v102, v53, v50
	v_lshl_add_u32 v100, 0x100000, v53, -1
	v_lshlrev_b32_e64 v112, v53, 0x80000
	v_add_nc_u32_e32 v53, v53, v49
	s_delay_alu instid0(VALU_DEP_4) | instskip(NEXT) | instid1(VALU_DEP_4)
	v_bfe_u32 v103, v102, 20, 1
	v_and_b32_e32 v50, v100, v50
	s_delay_alu instid0(VALU_DEP_2) | instskip(NEXT) | instid1(VALU_DEP_2)
	v_add_nc_u32_e32 v100, -1, v103
	v_cmp_eq_u32_e64 s7, v50, v112
	s_delay_alu instid0(VALU_DEP_1) | instskip(SKIP_2) | instid1(VALU_DEP_2)
	v_cndmask_b32_e64 v50, 0, v100, s7
	v_lshrrev_b32_e32 v100, 23, v102
	s_mov_b32 s7, exec_lo
	v_add_nc_u32_e32 v50, v50, v102
	s_delay_alu instid0(VALU_DEP_2) | instskip(NEXT) | instid1(VALU_DEP_2)
	v_xor_b32_e32 v100, 1, v100
	v_and_b32_e32 v49, 0xfffff, v50
	s_delay_alu instid0(VALU_DEP_1) | instskip(NEXT) | instid1(VALU_DEP_3)
	v_add_nc_u32_e32 v50, v49, v102
                                        ; implicit-def: $vgpr49
	v_cmpx_ne_u32_e64 v53, v100
	s_xor_b32 s7, exec_lo, s7
; %bb.3871:                             ;   in Loop: Header=BB2_3644 Depth=2
	s_delay_alu instid0(VALU_DEP_2) | instskip(SKIP_2) | instid1(VALU_DEP_2)
	v_cmp_lt_u32_e32 vcc_lo, 0xffffff, v50
	v_sub_nc_u32_e32 v49, v53, v100
	v_cndmask_b32_e64 v53, 0, 1, vcc_lo
	v_add_co_ci_u32_e32 v49, vcc_lo, 0, v49, vcc_lo
	s_delay_alu instid0(VALU_DEP_2)
	v_lshrrev_b32_e32 v50, v53, v50
; %bb.3872:                             ;   in Loop: Header=BB2_3644 Depth=2
	s_and_not1_saveexec_b32 s7, s7
	s_cbranch_execz .LBB2_3641
; %bb.3873:                             ;   in Loop: Header=BB2_3644 Depth=2
	s_delay_alu instid0(VALU_DEP_1)
	v_bfe_u32 v49, v50, 23, 1
	s_branch .LBB2_3641
.LBB2_3874:                             ;   in Loop: Header=BB2_3644 Depth=2
	s_mov_b32 s25, -1
	s_mov_b32 s27, exec_lo
                                        ; implicit-def: $sgpr26
	v_cmpx_eq_u16_e32 0x80, v114
; %bb.3875:                             ;   in Loop: Header=BB2_3644 Depth=2
	s_mov_b32 s26, 0x7f800001
	s_xor_b32 s25, exec_lo, -1
; %bb.3876:                             ;   in Loop: Header=BB2_3644 Depth=2
	s_or_b32 exec_lo, exec_lo, s27
	s_delay_alu instid0(SALU_CYCLE_1)
	s_and_b32 s25, s25, exec_lo
	s_or_saveexec_b32 s7, s7
	v_mov_b32_e32 v115, s26
	s_xor_b32 exec_lo, exec_lo, s7
	s_cbranch_execz .LBB2_3647
.LBB2_3877:                             ;   in Loop: Header=BB2_3644 Depth=2
	v_cmp_ne_u16_e32 vcc_lo, 0, v114
	v_mov_b32_e32 v115, 0
	s_and_not1_b32 s25, s25, exec_lo
	s_and_b32 s26, vcc_lo, exec_lo
	s_delay_alu instid0(SALU_CYCLE_1)
	s_or_b32 s25, s25, s26
	s_or_b32 exec_lo, exec_lo, s7
	s_and_saveexec_b32 s7, s25
	s_cbranch_execnz .LBB2_3648
	s_branch .LBB2_3649
.LBB2_3878:                             ;   in Loop: Header=BB2_3644 Depth=2
	s_mov_b32 s7, -1
	s_mov_b32 s27, exec_lo
                                        ; implicit-def: $sgpr25
	v_cmpx_eq_u16_e32 0x80, v117
; %bb.3879:                             ;   in Loop: Header=BB2_3644 Depth=2
	s_mov_b32 s25, 0x7f800001
	s_xor_b32 s7, exec_lo, -1
; %bb.3880:                             ;   in Loop: Header=BB2_3644 Depth=2
	s_or_b32 exec_lo, exec_lo, s27
	s_delay_alu instid0(SALU_CYCLE_1)
	s_and_b32 s7, s7, exec_lo
                                        ; implicit-def: $vgpr117
	s_or_saveexec_b32 s26, s26
	v_mov_b32_e32 v116, s25
	s_xor_b32 exec_lo, exec_lo, s26
	s_cbranch_execz .LBB2_3651
.LBB2_3881:                             ;   in Loop: Header=BB2_3644 Depth=2
	v_cmp_ne_u16_e32 vcc_lo, 0, v117
	v_mov_b32_e32 v116, 0
	s_and_not1_b32 s7, s7, exec_lo
	s_and_b32 s25, vcc_lo, exec_lo
	s_delay_alu instid0(SALU_CYCLE_1)
	s_or_b32 s7, s7, s25
	s_or_b32 exec_lo, exec_lo, s26
	s_and_saveexec_b32 s25, s7
	s_cbranch_execnz .LBB2_3652
	s_branch .LBB2_3653
.LBB2_3882:                             ;   in Loop: Header=BB2_3644 Depth=2
	s_mov_b32 s7, -1
	s_mov_b32 s27, exec_lo
                                        ; implicit-def: $sgpr25
	v_cmpx_eq_u16_e32 0x80, v114
; %bb.3883:                             ;   in Loop: Header=BB2_3644 Depth=2
	s_mov_b32 s25, 0x7f800001
	s_xor_b32 s7, exec_lo, -1
; %bb.3884:                             ;   in Loop: Header=BB2_3644 Depth=2
	s_or_b32 exec_lo, exec_lo, s27
	s_delay_alu instid0(SALU_CYCLE_1)
	s_and_b32 s7, s7, exec_lo
                                        ; implicit-def: $vgpr114
	s_or_saveexec_b32 s26, s26
	v_mov_b32_e32 v115, s25
	s_xor_b32 exec_lo, exec_lo, s26
	s_cbranch_execz .LBB2_3658
.LBB2_3885:                             ;   in Loop: Header=BB2_3644 Depth=2
	v_cmp_ne_u16_e32 vcc_lo, 0, v114
	v_mov_b32_e32 v115, 0
	s_and_not1_b32 s7, s7, exec_lo
	s_and_b32 s25, vcc_lo, exec_lo
	s_delay_alu instid0(SALU_CYCLE_1)
	s_or_b32 s7, s7, s25
	s_or_b32 exec_lo, exec_lo, s26
	s_and_saveexec_b32 s25, s7
	s_cbranch_execnz .LBB2_3659
	s_branch .LBB2_3660
.LBB2_3886:                             ;   in Loop: Header=BB2_3644 Depth=2
	s_mov_b32 s7, -1
	s_mov_b32 s27, exec_lo
                                        ; implicit-def: $sgpr25
	v_cmpx_eq_u16_e32 0x80, v114
; %bb.3887:                             ;   in Loop: Header=BB2_3644 Depth=2
	s_mov_b32 s25, 0x7f800001
	s_xor_b32 s7, exec_lo, -1
; %bb.3888:                             ;   in Loop: Header=BB2_3644 Depth=2
	s_or_b32 exec_lo, exec_lo, s27
	s_delay_alu instid0(SALU_CYCLE_1)
	s_and_b32 s7, s7, exec_lo
                                        ; implicit-def: $vgpr114
	s_or_saveexec_b32 s26, s26
	v_mov_b32_e32 v113, s25
	s_xor_b32 exec_lo, exec_lo, s26
	s_cbranch_execz .LBB2_3662
.LBB2_3889:                             ;   in Loop: Header=BB2_3644 Depth=2
	v_cmp_ne_u16_e32 vcc_lo, 0, v114
	v_mov_b32_e32 v113, 0
	s_and_not1_b32 s7, s7, exec_lo
	s_and_b32 s25, vcc_lo, exec_lo
	s_delay_alu instid0(SALU_CYCLE_1)
	s_or_b32 s7, s7, s25
	s_or_b32 exec_lo, exec_lo, s26
	s_and_saveexec_b32 s25, s7
	s_cbranch_execnz .LBB2_3663
	s_branch .LBB2_3664
.LBB2_3890:                             ;   in Loop: Header=BB2_3644 Depth=2
	s_mov_b32 s25, -1
	s_mov_b32 s27, exec_lo
                                        ; implicit-def: $sgpr26
	v_cmpx_eq_u16_e32 0x80, v113
; %bb.3891:                             ;   in Loop: Header=BB2_3644 Depth=2
	s_mov_b32 s26, 0x7f800001
	s_xor_b32 s25, exec_lo, -1
; %bb.3892:                             ;   in Loop: Header=BB2_3644 Depth=2
	s_or_b32 exec_lo, exec_lo, s27
	s_delay_alu instid0(SALU_CYCLE_1)
	s_and_b32 s25, s25, exec_lo
	s_or_saveexec_b32 s7, s7
	v_mov_b32_e32 v114, s26
	s_xor_b32 exec_lo, exec_lo, s7
	s_cbranch_execz .LBB2_3676
.LBB2_3893:                             ;   in Loop: Header=BB2_3644 Depth=2
	v_cmp_ne_u16_e32 vcc_lo, 0, v113
	v_mov_b32_e32 v114, 0
	s_and_not1_b32 s25, s25, exec_lo
	s_and_b32 s26, vcc_lo, exec_lo
	s_delay_alu instid0(SALU_CYCLE_1)
	s_or_b32 s25, s25, s26
	s_or_b32 exec_lo, exec_lo, s7
	s_and_saveexec_b32 s7, s25
	s_cbranch_execnz .LBB2_3677
	s_branch .LBB2_3678
.LBB2_3894:                             ;   in Loop: Header=BB2_3644 Depth=2
	s_mov_b32 s7, -1
	s_mov_b32 s27, exec_lo
                                        ; implicit-def: $sgpr25
	v_cmpx_eq_u16_e32 0x80, v116
; %bb.3895:                             ;   in Loop: Header=BB2_3644 Depth=2
	s_mov_b32 s25, 0x7f800001
	s_xor_b32 s7, exec_lo, -1
; %bb.3896:                             ;   in Loop: Header=BB2_3644 Depth=2
	s_or_b32 exec_lo, exec_lo, s27
	s_delay_alu instid0(SALU_CYCLE_1)
	s_and_b32 s7, s7, exec_lo
                                        ; implicit-def: $vgpr116
	s_or_saveexec_b32 s26, s26
	v_mov_b32_e32 v115, s25
	s_xor_b32 exec_lo, exec_lo, s26
	s_cbranch_execz .LBB2_3680
.LBB2_3897:                             ;   in Loop: Header=BB2_3644 Depth=2
	v_cmp_ne_u16_e32 vcc_lo, 0, v116
	v_mov_b32_e32 v115, 0
	s_and_not1_b32 s7, s7, exec_lo
	s_and_b32 s25, vcc_lo, exec_lo
	s_delay_alu instid0(SALU_CYCLE_1)
	s_or_b32 s7, s7, s25
	s_or_b32 exec_lo, exec_lo, s26
	s_and_saveexec_b32 s25, s7
	s_cbranch_execnz .LBB2_3681
	s_branch .LBB2_3682
.LBB2_3898:                             ;   in Loop: Header=BB2_3644 Depth=2
	s_mov_b32 s7, -1
	s_mov_b32 s27, exec_lo
                                        ; implicit-def: $sgpr25
	v_cmpx_eq_u16_e32 0x80, v113
; %bb.3899:                             ;   in Loop: Header=BB2_3644 Depth=2
	s_mov_b32 s25, 0x7f800001
	s_xor_b32 s7, exec_lo, -1
; %bb.3900:                             ;   in Loop: Header=BB2_3644 Depth=2
	s_or_b32 exec_lo, exec_lo, s27
	s_delay_alu instid0(SALU_CYCLE_1)
	s_and_b32 s7, s7, exec_lo
                                        ; implicit-def: $vgpr113
	s_or_saveexec_b32 s26, s26
	v_mov_b32_e32 v114, s25
	s_xor_b32 exec_lo, exec_lo, s26
	s_cbranch_execz .LBB2_3687
.LBB2_3901:                             ;   in Loop: Header=BB2_3644 Depth=2
	v_cmp_ne_u16_e32 vcc_lo, 0, v113
	v_mov_b32_e32 v114, 0
	s_and_not1_b32 s7, s7, exec_lo
	s_and_b32 s25, vcc_lo, exec_lo
	s_delay_alu instid0(SALU_CYCLE_1)
	s_or_b32 s7, s7, s25
	s_or_b32 exec_lo, exec_lo, s26
	s_and_saveexec_b32 s25, s7
	s_cbranch_execnz .LBB2_3688
	s_branch .LBB2_3689
.LBB2_3902:                             ;   in Loop: Header=BB2_3644 Depth=2
	s_mov_b32 s7, -1
	s_mov_b32 s27, exec_lo
                                        ; implicit-def: $sgpr25
	v_cmpx_eq_u16_e32 0x80, v113
; %bb.3903:                             ;   in Loop: Header=BB2_3644 Depth=2
	s_mov_b32 s25, 0x7f800001
	s_xor_b32 s7, exec_lo, -1
; %bb.3904:                             ;   in Loop: Header=BB2_3644 Depth=2
	s_or_b32 exec_lo, exec_lo, s27
	s_delay_alu instid0(SALU_CYCLE_1)
	s_and_b32 s7, s7, exec_lo
                                        ; implicit-def: $vgpr113
	s_or_saveexec_b32 s26, s26
	v_mov_b32_e32 v112, s25
	s_xor_b32 exec_lo, exec_lo, s26
	s_cbranch_execz .LBB2_3691
.LBB2_3905:                             ;   in Loop: Header=BB2_3644 Depth=2
	v_cmp_ne_u16_e32 vcc_lo, 0, v113
	v_mov_b32_e32 v112, 0
	s_and_not1_b32 s7, s7, exec_lo
	s_and_b32 s25, vcc_lo, exec_lo
	s_delay_alu instid0(SALU_CYCLE_1)
	s_or_b32 s7, s7, s25
	s_or_b32 exec_lo, exec_lo, s26
	s_and_saveexec_b32 s25, s7
	s_cbranch_execnz .LBB2_3692
	s_branch .LBB2_3693
.LBB2_3906:                             ;   in Loop: Header=BB2_3644 Depth=2
	s_mov_b32 s25, -1
	s_mov_b32 s27, exec_lo
                                        ; implicit-def: $sgpr26
	v_cmpx_eq_u16_e32 0x80, v112
; %bb.3907:                             ;   in Loop: Header=BB2_3644 Depth=2
	s_mov_b32 s26, 0x7f800001
	s_xor_b32 s25, exec_lo, -1
; %bb.3908:                             ;   in Loop: Header=BB2_3644 Depth=2
	s_or_b32 exec_lo, exec_lo, s27
	s_delay_alu instid0(SALU_CYCLE_1)
	s_and_b32 s25, s25, exec_lo
	s_or_saveexec_b32 s7, s7
	v_mov_b32_e32 v113, s26
	s_xor_b32 exec_lo, exec_lo, s7
	s_cbranch_execz .LBB2_3705
.LBB2_3909:                             ;   in Loop: Header=BB2_3644 Depth=2
	v_cmp_ne_u16_e32 vcc_lo, 0, v112
	v_mov_b32_e32 v113, 0
	s_and_not1_b32 s25, s25, exec_lo
	s_and_b32 s26, vcc_lo, exec_lo
	s_delay_alu instid0(SALU_CYCLE_1)
	s_or_b32 s25, s25, s26
	s_or_b32 exec_lo, exec_lo, s7
	s_and_saveexec_b32 s7, s25
	s_cbranch_execnz .LBB2_3706
	s_branch .LBB2_3707
.LBB2_3910:                             ;   in Loop: Header=BB2_3644 Depth=2
	s_mov_b32 s7, -1
	s_mov_b32 s27, exec_lo
                                        ; implicit-def: $sgpr25
	v_cmpx_eq_u16_e32 0x80, v115
; %bb.3911:                             ;   in Loop: Header=BB2_3644 Depth=2
	s_mov_b32 s25, 0x7f800001
	s_xor_b32 s7, exec_lo, -1
; %bb.3912:                             ;   in Loop: Header=BB2_3644 Depth=2
	s_or_b32 exec_lo, exec_lo, s27
	s_delay_alu instid0(SALU_CYCLE_1)
	s_and_b32 s7, s7, exec_lo
                                        ; implicit-def: $vgpr115
	s_or_saveexec_b32 s26, s26
	v_mov_b32_e32 v114, s25
	s_xor_b32 exec_lo, exec_lo, s26
	s_cbranch_execz .LBB2_3709
.LBB2_3913:                             ;   in Loop: Header=BB2_3644 Depth=2
	v_cmp_ne_u16_e32 vcc_lo, 0, v115
	v_mov_b32_e32 v114, 0
	s_and_not1_b32 s7, s7, exec_lo
	s_and_b32 s25, vcc_lo, exec_lo
	s_delay_alu instid0(SALU_CYCLE_1)
	s_or_b32 s7, s7, s25
	s_or_b32 exec_lo, exec_lo, s26
	s_and_saveexec_b32 s25, s7
	s_cbranch_execnz .LBB2_3710
	s_branch .LBB2_3711
.LBB2_3914:                             ;   in Loop: Header=BB2_3644 Depth=2
	s_mov_b32 s7, -1
	s_mov_b32 s27, exec_lo
                                        ; implicit-def: $sgpr25
	v_cmpx_eq_u16_e32 0x80, v112
; %bb.3915:                             ;   in Loop: Header=BB2_3644 Depth=2
	s_mov_b32 s25, 0x7f800001
	s_xor_b32 s7, exec_lo, -1
; %bb.3916:                             ;   in Loop: Header=BB2_3644 Depth=2
	s_or_b32 exec_lo, exec_lo, s27
	s_delay_alu instid0(SALU_CYCLE_1)
	s_and_b32 s7, s7, exec_lo
                                        ; implicit-def: $vgpr112
	s_or_saveexec_b32 s26, s26
	v_mov_b32_e32 v113, s25
	s_xor_b32 exec_lo, exec_lo, s26
	s_cbranch_execz .LBB2_3716
.LBB2_3917:                             ;   in Loop: Header=BB2_3644 Depth=2
	v_cmp_ne_u16_e32 vcc_lo, 0, v112
	v_mov_b32_e32 v113, 0
	s_and_not1_b32 s7, s7, exec_lo
	s_and_b32 s25, vcc_lo, exec_lo
	s_delay_alu instid0(SALU_CYCLE_1)
	s_or_b32 s7, s7, s25
	s_or_b32 exec_lo, exec_lo, s26
	s_and_saveexec_b32 s25, s7
	s_cbranch_execnz .LBB2_3717
	s_branch .LBB2_3718
.LBB2_3918:                             ;   in Loop: Header=BB2_3644 Depth=2
	s_mov_b32 s7, -1
	s_mov_b32 s27, exec_lo
                                        ; implicit-def: $sgpr25
	v_cmpx_eq_u16_e32 0x80, v112
; %bb.3919:                             ;   in Loop: Header=BB2_3644 Depth=2
	s_mov_b32 s25, 0x7f800001
	s_xor_b32 s7, exec_lo, -1
; %bb.3920:                             ;   in Loop: Header=BB2_3644 Depth=2
	s_or_b32 exec_lo, exec_lo, s27
	s_delay_alu instid0(SALU_CYCLE_1)
	s_and_b32 s7, s7, exec_lo
                                        ; implicit-def: $vgpr112
	s_or_saveexec_b32 s26, s26
	v_mov_b32_e32 v103, s25
	s_xor_b32 exec_lo, exec_lo, s26
	s_cbranch_execz .LBB2_3720
.LBB2_3921:                             ;   in Loop: Header=BB2_3644 Depth=2
	v_cmp_ne_u16_e32 vcc_lo, 0, v112
	v_mov_b32_e32 v103, 0
	s_and_not1_b32 s7, s7, exec_lo
	s_and_b32 s25, vcc_lo, exec_lo
	s_delay_alu instid0(SALU_CYCLE_1)
	s_or_b32 s7, s7, s25
	s_or_b32 exec_lo, exec_lo, s26
	s_and_saveexec_b32 s25, s7
	s_cbranch_execnz .LBB2_3721
	s_branch .LBB2_3722
.LBB2_3922:                             ;   in Loop: Header=BB2_3644 Depth=2
	s_mov_b32 s25, -1
	s_mov_b32 s27, exec_lo
                                        ; implicit-def: $sgpr26
	v_cmpx_eq_u16_e32 0x80, v103
; %bb.3923:                             ;   in Loop: Header=BB2_3644 Depth=2
	s_mov_b32 s26, 0x7f800001
	s_xor_b32 s25, exec_lo, -1
; %bb.3924:                             ;   in Loop: Header=BB2_3644 Depth=2
	s_or_b32 exec_lo, exec_lo, s27
	s_delay_alu instid0(SALU_CYCLE_1)
	s_and_b32 s25, s25, exec_lo
	s_or_saveexec_b32 s7, s7
	v_mov_b32_e32 v112, s26
	s_xor_b32 exec_lo, exec_lo, s7
	s_cbranch_execz .LBB2_3734
.LBB2_3925:                             ;   in Loop: Header=BB2_3644 Depth=2
	v_cmp_ne_u16_e32 vcc_lo, 0, v103
	v_mov_b32_e32 v112, 0
	s_and_not1_b32 s25, s25, exec_lo
	s_and_b32 s26, vcc_lo, exec_lo
	s_delay_alu instid0(SALU_CYCLE_1)
	s_or_b32 s25, s25, s26
	s_or_b32 exec_lo, exec_lo, s7
	s_and_saveexec_b32 s7, s25
	s_cbranch_execnz .LBB2_3735
	s_branch .LBB2_3736
.LBB2_3926:                             ;   in Loop: Header=BB2_3644 Depth=2
	s_mov_b32 s7, -1
	s_mov_b32 s27, exec_lo
                                        ; implicit-def: $sgpr25
	v_cmpx_eq_u16_e32 0x80, v114
; %bb.3927:                             ;   in Loop: Header=BB2_3644 Depth=2
	s_mov_b32 s25, 0x7f800001
	s_xor_b32 s7, exec_lo, -1
; %bb.3928:                             ;   in Loop: Header=BB2_3644 Depth=2
	s_or_b32 exec_lo, exec_lo, s27
	s_delay_alu instid0(SALU_CYCLE_1)
	s_and_b32 s7, s7, exec_lo
                                        ; implicit-def: $vgpr114
	s_or_saveexec_b32 s26, s26
	v_mov_b32_e32 v113, s25
	s_xor_b32 exec_lo, exec_lo, s26
	s_cbranch_execz .LBB2_3738
.LBB2_3929:                             ;   in Loop: Header=BB2_3644 Depth=2
	v_cmp_ne_u16_e32 vcc_lo, 0, v114
	v_mov_b32_e32 v113, 0
	s_and_not1_b32 s7, s7, exec_lo
	s_and_b32 s25, vcc_lo, exec_lo
	s_delay_alu instid0(SALU_CYCLE_1)
	s_or_b32 s7, s7, s25
	s_or_b32 exec_lo, exec_lo, s26
	s_and_saveexec_b32 s25, s7
	s_cbranch_execnz .LBB2_3739
	s_branch .LBB2_3740
.LBB2_3930:                             ;   in Loop: Header=BB2_3644 Depth=2
	s_mov_b32 s7, -1
	s_mov_b32 s27, exec_lo
                                        ; implicit-def: $sgpr25
	v_cmpx_eq_u16_e32 0x80, v103
; %bb.3931:                             ;   in Loop: Header=BB2_3644 Depth=2
	s_mov_b32 s25, 0x7f800001
	s_xor_b32 s7, exec_lo, -1
; %bb.3932:                             ;   in Loop: Header=BB2_3644 Depth=2
	s_or_b32 exec_lo, exec_lo, s27
	s_delay_alu instid0(SALU_CYCLE_1)
	s_and_b32 s7, s7, exec_lo
                                        ; implicit-def: $vgpr103
	s_or_saveexec_b32 s26, s26
	v_mov_b32_e32 v112, s25
	s_xor_b32 exec_lo, exec_lo, s26
	s_cbranch_execz .LBB2_3745
.LBB2_3933:                             ;   in Loop: Header=BB2_3644 Depth=2
	v_cmp_ne_u16_e32 vcc_lo, 0, v103
	v_mov_b32_e32 v112, 0
	s_and_not1_b32 s7, s7, exec_lo
	s_and_b32 s25, vcc_lo, exec_lo
	s_delay_alu instid0(SALU_CYCLE_1)
	s_or_b32 s7, s7, s25
	s_or_b32 exec_lo, exec_lo, s26
	s_and_saveexec_b32 s25, s7
	s_cbranch_execnz .LBB2_3746
	s_branch .LBB2_3747
.LBB2_3934:                             ;   in Loop: Header=BB2_3644 Depth=2
	s_mov_b32 s7, -1
	s_mov_b32 s27, exec_lo
                                        ; implicit-def: $sgpr25
	v_cmpx_eq_u16_e32 0x80, v103
; %bb.3935:                             ;   in Loop: Header=BB2_3644 Depth=2
	s_mov_b32 s25, 0x7f800001
	s_xor_b32 s7, exec_lo, -1
; %bb.3936:                             ;   in Loop: Header=BB2_3644 Depth=2
	s_or_b32 exec_lo, exec_lo, s27
	s_delay_alu instid0(SALU_CYCLE_1)
	s_and_b32 s7, s7, exec_lo
                                        ; implicit-def: $vgpr103
	s_or_saveexec_b32 s26, s26
	v_mov_b32_e32 v102, s25
	s_xor_b32 exec_lo, exec_lo, s26
	s_cbranch_execz .LBB2_3749
.LBB2_3937:                             ;   in Loop: Header=BB2_3644 Depth=2
	v_cmp_ne_u16_e32 vcc_lo, 0, v103
	v_mov_b32_e32 v102, 0
	s_and_not1_b32 s7, s7, exec_lo
	s_and_b32 s25, vcc_lo, exec_lo
	s_delay_alu instid0(SALU_CYCLE_1)
	s_or_b32 s7, s7, s25
	s_or_b32 exec_lo, exec_lo, s26
	s_and_saveexec_b32 s25, s7
	s_cbranch_execnz .LBB2_3750
	s_branch .LBB2_3751
.LBB2_3938:                             ;   in Loop: Header=BB2_3644 Depth=2
	s_mov_b32 s25, -1
	s_mov_b32 s27, exec_lo
                                        ; implicit-def: $sgpr26
	v_cmpx_eq_u16_e32 0x80, v102
; %bb.3939:                             ;   in Loop: Header=BB2_3644 Depth=2
	s_mov_b32 s26, 0x7f800001
	s_xor_b32 s25, exec_lo, -1
; %bb.3940:                             ;   in Loop: Header=BB2_3644 Depth=2
	s_or_b32 exec_lo, exec_lo, s27
	s_delay_alu instid0(SALU_CYCLE_1)
	s_and_b32 s25, s25, exec_lo
	s_or_saveexec_b32 s7, s7
	v_mov_b32_e32 v103, s26
	s_xor_b32 exec_lo, exec_lo, s7
	s_cbranch_execz .LBB2_3763
.LBB2_3941:                             ;   in Loop: Header=BB2_3644 Depth=2
	v_cmp_ne_u16_e32 vcc_lo, 0, v102
	v_mov_b32_e32 v103, 0
	s_and_not1_b32 s25, s25, exec_lo
	s_and_b32 s26, vcc_lo, exec_lo
	s_delay_alu instid0(SALU_CYCLE_1)
	s_or_b32 s25, s25, s26
	s_or_b32 exec_lo, exec_lo, s7
	s_and_saveexec_b32 s7, s25
	s_cbranch_execnz .LBB2_3764
	s_branch .LBB2_3765
.LBB2_3942:                             ;   in Loop: Header=BB2_3644 Depth=2
	s_mov_b32 s7, -1
	s_mov_b32 s27, exec_lo
                                        ; implicit-def: $sgpr25
	v_cmpx_eq_u16_e32 0x80, v113
; %bb.3943:                             ;   in Loop: Header=BB2_3644 Depth=2
	s_mov_b32 s25, 0x7f800001
	s_xor_b32 s7, exec_lo, -1
; %bb.3944:                             ;   in Loop: Header=BB2_3644 Depth=2
	s_or_b32 exec_lo, exec_lo, s27
	s_delay_alu instid0(SALU_CYCLE_1)
	s_and_b32 s7, s7, exec_lo
                                        ; implicit-def: $vgpr113
	s_or_saveexec_b32 s26, s26
	v_mov_b32_e32 v112, s25
	s_xor_b32 exec_lo, exec_lo, s26
	s_cbranch_execz .LBB2_3767
.LBB2_3945:                             ;   in Loop: Header=BB2_3644 Depth=2
	v_cmp_ne_u16_e32 vcc_lo, 0, v113
	v_mov_b32_e32 v112, 0
	s_and_not1_b32 s7, s7, exec_lo
	s_and_b32 s25, vcc_lo, exec_lo
	s_delay_alu instid0(SALU_CYCLE_1)
	s_or_b32 s7, s7, s25
	s_or_b32 exec_lo, exec_lo, s26
	s_and_saveexec_b32 s25, s7
	s_cbranch_execnz .LBB2_3768
	s_branch .LBB2_3769
.LBB2_3946:                             ;   in Loop: Header=BB2_3644 Depth=2
	s_mov_b32 s7, -1
	s_mov_b32 s27, exec_lo
                                        ; implicit-def: $sgpr25
	v_cmpx_eq_u16_e32 0x80, v102
; %bb.3947:                             ;   in Loop: Header=BB2_3644 Depth=2
	s_mov_b32 s25, 0x7f800001
	s_xor_b32 s7, exec_lo, -1
; %bb.3948:                             ;   in Loop: Header=BB2_3644 Depth=2
	s_or_b32 exec_lo, exec_lo, s27
	s_delay_alu instid0(SALU_CYCLE_1)
	s_and_b32 s7, s7, exec_lo
                                        ; implicit-def: $vgpr102
	s_or_saveexec_b32 s26, s26
	v_mov_b32_e32 v103, s25
	s_xor_b32 exec_lo, exec_lo, s26
	s_cbranch_execz .LBB2_3774
.LBB2_3949:                             ;   in Loop: Header=BB2_3644 Depth=2
	v_cmp_ne_u16_e32 vcc_lo, 0, v102
	v_mov_b32_e32 v103, 0
	s_and_not1_b32 s7, s7, exec_lo
	s_and_b32 s25, vcc_lo, exec_lo
	s_delay_alu instid0(SALU_CYCLE_1)
	s_or_b32 s7, s7, s25
	s_or_b32 exec_lo, exec_lo, s26
	s_and_saveexec_b32 s25, s7
	s_cbranch_execnz .LBB2_3775
	s_branch .LBB2_3776
.LBB2_3950:                             ;   in Loop: Header=BB2_3644 Depth=2
	s_mov_b32 s7, -1
	s_mov_b32 s27, exec_lo
                                        ; implicit-def: $sgpr25
	v_cmpx_eq_u16_e32 0x80, v102
; %bb.3951:                             ;   in Loop: Header=BB2_3644 Depth=2
	s_mov_b32 s25, 0x7f800001
	s_xor_b32 s7, exec_lo, -1
; %bb.3952:                             ;   in Loop: Header=BB2_3644 Depth=2
	s_or_b32 exec_lo, exec_lo, s27
	s_delay_alu instid0(SALU_CYCLE_1)
	s_and_b32 s7, s7, exec_lo
                                        ; implicit-def: $vgpr102
	s_or_saveexec_b32 s26, s26
	v_mov_b32_e32 v100, s25
	s_xor_b32 exec_lo, exec_lo, s26
	s_cbranch_execz .LBB2_3778
.LBB2_3953:                             ;   in Loop: Header=BB2_3644 Depth=2
	v_cmp_ne_u16_e32 vcc_lo, 0, v102
	v_mov_b32_e32 v100, 0
	s_and_not1_b32 s7, s7, exec_lo
	s_and_b32 s25, vcc_lo, exec_lo
	s_delay_alu instid0(SALU_CYCLE_1)
	s_or_b32 s7, s7, s25
	s_or_b32 exec_lo, exec_lo, s26
	s_and_saveexec_b32 s25, s7
	s_cbranch_execnz .LBB2_3779
	s_branch .LBB2_3780
.LBB2_3954:                             ;   in Loop: Header=BB2_3644 Depth=2
	s_mov_b32 s25, -1
	s_mov_b32 s27, exec_lo
                                        ; implicit-def: $sgpr26
	v_cmpx_eq_u16_e32 0x80, v100
; %bb.3955:                             ;   in Loop: Header=BB2_3644 Depth=2
	s_mov_b32 s26, 0x7f800001
	s_xor_b32 s25, exec_lo, -1
; %bb.3956:                             ;   in Loop: Header=BB2_3644 Depth=2
	s_or_b32 exec_lo, exec_lo, s27
	s_delay_alu instid0(SALU_CYCLE_1)
	s_and_b32 s25, s25, exec_lo
	s_or_saveexec_b32 s7, s7
	v_mov_b32_e32 v102, s26
	s_xor_b32 exec_lo, exec_lo, s7
	s_cbranch_execz .LBB2_3792
.LBB2_3957:                             ;   in Loop: Header=BB2_3644 Depth=2
	v_cmp_ne_u16_e32 vcc_lo, 0, v100
	v_mov_b32_e32 v102, 0
	s_and_not1_b32 s25, s25, exec_lo
	s_and_b32 s26, vcc_lo, exec_lo
	s_delay_alu instid0(SALU_CYCLE_1)
	s_or_b32 s25, s25, s26
	s_or_b32 exec_lo, exec_lo, s7
	s_and_saveexec_b32 s7, s25
	s_cbranch_execnz .LBB2_3793
	s_branch .LBB2_3794
.LBB2_3958:                             ;   in Loop: Header=BB2_3644 Depth=2
	s_mov_b32 s7, -1
	s_mov_b32 s27, exec_lo
                                        ; implicit-def: $sgpr25
	v_cmpx_eq_u16_e32 0x80, v112
; %bb.3959:                             ;   in Loop: Header=BB2_3644 Depth=2
	s_mov_b32 s25, 0x7f800001
	s_xor_b32 s7, exec_lo, -1
; %bb.3960:                             ;   in Loop: Header=BB2_3644 Depth=2
	s_or_b32 exec_lo, exec_lo, s27
	s_delay_alu instid0(SALU_CYCLE_1)
	s_and_b32 s7, s7, exec_lo
                                        ; implicit-def: $vgpr112
	s_or_saveexec_b32 s26, s26
	v_mov_b32_e32 v103, s25
	s_xor_b32 exec_lo, exec_lo, s26
	s_cbranch_execz .LBB2_3796
.LBB2_3961:                             ;   in Loop: Header=BB2_3644 Depth=2
	v_cmp_ne_u16_e32 vcc_lo, 0, v112
	v_mov_b32_e32 v103, 0
	s_and_not1_b32 s7, s7, exec_lo
	s_and_b32 s25, vcc_lo, exec_lo
	s_delay_alu instid0(SALU_CYCLE_1)
	s_or_b32 s7, s7, s25
	s_or_b32 exec_lo, exec_lo, s26
	s_and_saveexec_b32 s25, s7
	s_cbranch_execnz .LBB2_3797
	s_branch .LBB2_3798
.LBB2_3962:                             ;   in Loop: Header=BB2_3644 Depth=2
	s_mov_b32 s7, -1
	s_mov_b32 s27, exec_lo
                                        ; implicit-def: $sgpr25
	v_cmpx_eq_u16_e32 0x80, v100
; %bb.3963:                             ;   in Loop: Header=BB2_3644 Depth=2
	s_mov_b32 s25, 0x7f800001
	s_xor_b32 s7, exec_lo, -1
; %bb.3964:                             ;   in Loop: Header=BB2_3644 Depth=2
	s_or_b32 exec_lo, exec_lo, s27
	s_delay_alu instid0(SALU_CYCLE_1)
	s_and_b32 s7, s7, exec_lo
                                        ; implicit-def: $vgpr100
	s_or_saveexec_b32 s26, s26
	v_mov_b32_e32 v102, s25
	s_xor_b32 exec_lo, exec_lo, s26
	s_cbranch_execz .LBB2_3803
.LBB2_3965:                             ;   in Loop: Header=BB2_3644 Depth=2
	v_cmp_ne_u16_e32 vcc_lo, 0, v100
	v_mov_b32_e32 v102, 0
	s_and_not1_b32 s7, s7, exec_lo
	s_and_b32 s25, vcc_lo, exec_lo
	s_delay_alu instid0(SALU_CYCLE_1)
	s_or_b32 s7, s7, s25
	s_or_b32 exec_lo, exec_lo, s26
	s_and_saveexec_b32 s25, s7
	s_cbranch_execnz .LBB2_3804
	s_branch .LBB2_3805
.LBB2_3966:                             ;   in Loop: Header=BB2_3644 Depth=2
	s_mov_b32 s7, -1
	s_mov_b32 s27, exec_lo
                                        ; implicit-def: $sgpr25
	v_cmpx_eq_u16_e32 0x80, v100
; %bb.3967:                             ;   in Loop: Header=BB2_3644 Depth=2
	s_mov_b32 s25, 0x7f800001
	s_xor_b32 s7, exec_lo, -1
; %bb.3968:                             ;   in Loop: Header=BB2_3644 Depth=2
	s_or_b32 exec_lo, exec_lo, s27
	s_delay_alu instid0(SALU_CYCLE_1)
	s_and_b32 s7, s7, exec_lo
                                        ; implicit-def: $vgpr100
	s_or_saveexec_b32 s26, s26
	v_mov_b32_e32 v97, s25
	s_xor_b32 exec_lo, exec_lo, s26
	s_cbranch_execz .LBB2_3807
.LBB2_3969:                             ;   in Loop: Header=BB2_3644 Depth=2
	v_cmp_ne_u16_e32 vcc_lo, 0, v100
	v_mov_b32_e32 v97, 0
	s_and_not1_b32 s7, s7, exec_lo
	s_and_b32 s25, vcc_lo, exec_lo
	s_delay_alu instid0(SALU_CYCLE_1)
	s_or_b32 s7, s7, s25
	s_or_b32 exec_lo, exec_lo, s26
	s_and_saveexec_b32 s25, s7
	s_cbranch_execnz .LBB2_3808
	s_branch .LBB2_3809
.LBB2_3970:                             ;   in Loop: Header=BB2_3644 Depth=2
	s_mov_b32 s25, -1
	s_mov_b32 s27, exec_lo
                                        ; implicit-def: $sgpr26
	v_cmpx_eq_u16_e32 0x80, v97
; %bb.3971:                             ;   in Loop: Header=BB2_3644 Depth=2
	s_mov_b32 s26, 0x7f800001
	s_xor_b32 s25, exec_lo, -1
; %bb.3972:                             ;   in Loop: Header=BB2_3644 Depth=2
	s_or_b32 exec_lo, exec_lo, s27
	s_delay_alu instid0(SALU_CYCLE_1)
	s_and_b32 s25, s25, exec_lo
	s_or_saveexec_b32 s7, s7
	v_mov_b32_e32 v100, s26
	s_xor_b32 exec_lo, exec_lo, s7
	s_cbranch_execz .LBB2_3821
.LBB2_3973:                             ;   in Loop: Header=BB2_3644 Depth=2
	v_cmp_ne_u16_e32 vcc_lo, 0, v97
	v_mov_b32_e32 v100, 0
	s_and_not1_b32 s25, s25, exec_lo
	s_and_b32 s26, vcc_lo, exec_lo
	s_delay_alu instid0(SALU_CYCLE_1)
	s_or_b32 s25, s25, s26
	s_or_b32 exec_lo, exec_lo, s7
	s_and_saveexec_b32 s7, s25
	s_cbranch_execnz .LBB2_3822
	s_branch .LBB2_3823
.LBB2_3974:                             ;   in Loop: Header=BB2_3644 Depth=2
	s_mov_b32 s7, -1
	s_mov_b32 s27, exec_lo
                                        ; implicit-def: $sgpr25
	v_cmpx_eq_u16_e32 0x80, v103
; %bb.3975:                             ;   in Loop: Header=BB2_3644 Depth=2
	s_mov_b32 s25, 0x7f800001
	s_xor_b32 s7, exec_lo, -1
; %bb.3976:                             ;   in Loop: Header=BB2_3644 Depth=2
	s_or_b32 exec_lo, exec_lo, s27
	s_delay_alu instid0(SALU_CYCLE_1)
	s_and_b32 s7, s7, exec_lo
                                        ; implicit-def: $vgpr103
	s_or_saveexec_b32 s26, s26
	v_mov_b32_e32 v102, s25
	s_xor_b32 exec_lo, exec_lo, s26
	s_cbranch_execz .LBB2_3825
.LBB2_3977:                             ;   in Loop: Header=BB2_3644 Depth=2
	v_cmp_ne_u16_e32 vcc_lo, 0, v103
	v_mov_b32_e32 v102, 0
	s_and_not1_b32 s7, s7, exec_lo
	s_and_b32 s25, vcc_lo, exec_lo
	s_delay_alu instid0(SALU_CYCLE_1)
	s_or_b32 s7, s7, s25
	s_or_b32 exec_lo, exec_lo, s26
	s_and_saveexec_b32 s25, s7
	s_cbranch_execnz .LBB2_3826
	s_branch .LBB2_3827
.LBB2_3978:                             ;   in Loop: Header=BB2_3644 Depth=2
	s_mov_b32 s7, -1
	s_mov_b32 s27, exec_lo
                                        ; implicit-def: $sgpr25
	v_cmpx_eq_u16_e32 0x80, v97
; %bb.3979:                             ;   in Loop: Header=BB2_3644 Depth=2
	s_mov_b32 s25, 0x7f800001
	s_xor_b32 s7, exec_lo, -1
; %bb.3980:                             ;   in Loop: Header=BB2_3644 Depth=2
	s_or_b32 exec_lo, exec_lo, s27
	s_delay_alu instid0(SALU_CYCLE_1)
	s_and_b32 s7, s7, exec_lo
                                        ; implicit-def: $vgpr97
	s_or_saveexec_b32 s26, s26
	v_mov_b32_e32 v100, s25
	s_xor_b32 exec_lo, exec_lo, s26
	s_cbranch_execz .LBB2_3832
.LBB2_3981:                             ;   in Loop: Header=BB2_3644 Depth=2
	v_cmp_ne_u16_e32 vcc_lo, 0, v97
	v_mov_b32_e32 v100, 0
	s_and_not1_b32 s7, s7, exec_lo
	s_and_b32 s25, vcc_lo, exec_lo
	s_delay_alu instid0(SALU_CYCLE_1)
	s_or_b32 s7, s7, s25
	s_or_b32 exec_lo, exec_lo, s26
	s_and_saveexec_b32 s25, s7
	s_cbranch_execnz .LBB2_3833
	s_branch .LBB2_3834
.LBB2_3982:                             ;   in Loop: Header=BB2_3644 Depth=2
	s_mov_b32 s7, -1
	s_mov_b32 s27, exec_lo
                                        ; implicit-def: $sgpr25
	v_cmpx_eq_u16_e32 0x80, v97
; %bb.3983:                             ;   in Loop: Header=BB2_3644 Depth=2
	s_mov_b32 s25, 0x7f800001
	s_xor_b32 s7, exec_lo, -1
; %bb.3984:                             ;   in Loop: Header=BB2_3644 Depth=2
	s_or_b32 exec_lo, exec_lo, s27
	s_delay_alu instid0(SALU_CYCLE_1)
	s_and_b32 s7, s7, exec_lo
                                        ; implicit-def: $vgpr97
	s_or_saveexec_b32 s26, s26
	v_mov_b32_e32 v53, s25
	s_xor_b32 exec_lo, exec_lo, s26
	s_cbranch_execz .LBB2_3836
.LBB2_3985:                             ;   in Loop: Header=BB2_3644 Depth=2
	v_cmp_ne_u16_e32 vcc_lo, 0, v97
	v_mov_b32_e32 v53, 0
	s_and_not1_b32 s7, s7, exec_lo
	s_and_b32 s25, vcc_lo, exec_lo
	s_delay_alu instid0(SALU_CYCLE_1)
	s_or_b32 s7, s7, s25
	s_or_b32 exec_lo, exec_lo, s26
	s_and_saveexec_b32 s25, s7
	s_cbranch_execnz .LBB2_3837
	s_branch .LBB2_3838
.LBB2_3986:                             ;   in Loop: Header=BB2_3644 Depth=2
	s_mov_b32 s25, -1
	s_mov_b32 s27, exec_lo
                                        ; implicit-def: $sgpr26
	v_cmpx_eq_u16_e32 0x80, v53
; %bb.3987:                             ;   in Loop: Header=BB2_3644 Depth=2
	s_mov_b32 s26, 0x7f800001
	s_xor_b32 s25, exec_lo, -1
; %bb.3988:                             ;   in Loop: Header=BB2_3644 Depth=2
	s_or_b32 exec_lo, exec_lo, s27
	s_delay_alu instid0(SALU_CYCLE_1)
	s_and_b32 s25, s25, exec_lo
	s_or_saveexec_b32 s7, s7
	v_mov_b32_e32 v97, s26
	s_xor_b32 exec_lo, exec_lo, s7
	s_cbranch_execz .LBB2_3850
.LBB2_3989:                             ;   in Loop: Header=BB2_3644 Depth=2
	v_cmp_ne_u16_e32 vcc_lo, 0, v53
	v_mov_b32_e32 v97, 0
	s_and_not1_b32 s25, s25, exec_lo
	s_and_b32 s26, vcc_lo, exec_lo
	s_delay_alu instid0(SALU_CYCLE_1)
	s_or_b32 s25, s25, s26
	s_or_b32 exec_lo, exec_lo, s7
	s_and_saveexec_b32 s7, s25
	s_cbranch_execnz .LBB2_3851
	s_branch .LBB2_3852
.LBB2_3990:                             ;   in Loop: Header=BB2_3644 Depth=2
	s_mov_b32 s7, -1
	s_mov_b32 s27, exec_lo
                                        ; implicit-def: $sgpr25
	v_cmpx_eq_u16_e32 0x80, v102
; %bb.3991:                             ;   in Loop: Header=BB2_3644 Depth=2
	s_mov_b32 s25, 0x7f800001
	s_xor_b32 s7, exec_lo, -1
; %bb.3992:                             ;   in Loop: Header=BB2_3644 Depth=2
	s_or_b32 exec_lo, exec_lo, s27
	s_delay_alu instid0(SALU_CYCLE_1)
	s_and_b32 s7, s7, exec_lo
                                        ; implicit-def: $vgpr102
	s_or_saveexec_b32 s26, s26
	v_mov_b32_e32 v100, s25
	s_xor_b32 exec_lo, exec_lo, s26
	s_cbranch_execz .LBB2_3854
.LBB2_3993:                             ;   in Loop: Header=BB2_3644 Depth=2
	v_cmp_ne_u16_e32 vcc_lo, 0, v102
	v_mov_b32_e32 v100, 0
	s_and_not1_b32 s7, s7, exec_lo
	s_and_b32 s25, vcc_lo, exec_lo
	s_delay_alu instid0(SALU_CYCLE_1)
	s_or_b32 s7, s7, s25
	s_or_b32 exec_lo, exec_lo, s26
	s_and_saveexec_b32 s25, s7
	s_cbranch_execnz .LBB2_3855
	s_branch .LBB2_3856
.LBB2_3994:                             ;   in Loop: Header=BB2_3644 Depth=2
	s_mov_b32 s7, -1
	s_mov_b32 s27, exec_lo
                                        ; implicit-def: $sgpr25
	v_cmpx_eq_u16_e32 0x80, v53
; %bb.3995:                             ;   in Loop: Header=BB2_3644 Depth=2
	s_mov_b32 s25, 0x7f800001
	s_xor_b32 s7, exec_lo, -1
; %bb.3996:                             ;   in Loop: Header=BB2_3644 Depth=2
	s_or_b32 exec_lo, exec_lo, s27
	s_delay_alu instid0(SALU_CYCLE_1)
	s_and_b32 s7, s7, exec_lo
                                        ; implicit-def: $vgpr53
	s_or_saveexec_b32 s26, s26
	v_mov_b32_e32 v97, s25
	s_xor_b32 exec_lo, exec_lo, s26
	s_cbranch_execz .LBB2_3861
.LBB2_3997:                             ;   in Loop: Header=BB2_3644 Depth=2
	v_cmp_ne_u16_e32 vcc_lo, 0, v53
	v_mov_b32_e32 v97, 0
	s_and_not1_b32 s7, s7, exec_lo
	s_and_b32 s25, vcc_lo, exec_lo
	s_delay_alu instid0(SALU_CYCLE_1)
	s_or_b32 s7, s7, s25
	s_or_b32 exec_lo, exec_lo, s26
	s_and_saveexec_b32 s25, s7
	s_cbranch_execnz .LBB2_3862
	s_branch .LBB2_3863
.LBB2_3998:                             ;   in Loop: Header=BB2_3644 Depth=2
	s_mov_b32 s7, -1
	s_mov_b32 s27, exec_lo
                                        ; implicit-def: $sgpr25
	v_cmpx_eq_u16_e32 0x80, v53
; %bb.3999:                             ;   in Loop: Header=BB2_3644 Depth=2
	s_mov_b32 s25, 0x7f800001
	s_xor_b32 s7, exec_lo, -1
; %bb.4000:                             ;   in Loop: Header=BB2_3644 Depth=2
	s_or_b32 exec_lo, exec_lo, s27
	s_delay_alu instid0(SALU_CYCLE_1)
	s_and_b32 s7, s7, exec_lo
                                        ; implicit-def: $vgpr53
	s_or_saveexec_b32 s26, s26
	v_mov_b32_e32 v50, s25
	s_xor_b32 exec_lo, exec_lo, s26
	s_cbranch_execz .LBB2_3865
.LBB2_4001:                             ;   in Loop: Header=BB2_3644 Depth=2
	v_cmp_ne_u16_e32 vcc_lo, 0, v53
	v_mov_b32_e32 v50, 0
	s_and_not1_b32 s7, s7, exec_lo
	s_and_b32 s25, vcc_lo, exec_lo
	s_delay_alu instid0(SALU_CYCLE_1)
	s_or_b32 s7, s7, s25
	s_or_b32 exec_lo, exec_lo, s26
	s_and_saveexec_b32 s25, s7
	s_cbranch_execnz .LBB2_3866
	s_branch .LBB2_3867
.LBB2_4002:                             ;   in Loop: Header=BB2_2103 Depth=1
	s_or_b32 exec_lo, exec_lo, s24
.LBB2_4003:                             ;   in Loop: Header=BB2_2103 Depth=1
	s_delay_alu instid0(SALU_CYCLE_1) | instskip(SKIP_1) | instid1(VALU_DEP_1)
	s_or_b32 exec_lo, exec_lo, s22
	v_and_b32_e32 v10, 0xffffff00, v86
	v_cmp_ne_u32_e32 vcc_lo, v86, v10
	s_and_b32 exec_lo, exec_lo, vcc_lo
	s_cbranch_execz .LBB2_4053
; %bb.4004:                             ;   in Loop: Header=BB2_2103 Depth=1
	v_lshlrev_b32_e32 v11, 5, v17
	v_lshlrev_b32_e32 v12, 5, v48
	s_delay_alu instid0(VALU_DEP_2) | instskip(NEXT) | instid1(VALU_DEP_1)
	v_sub_nc_u32_e32 v11, v16, v11
	v_sub_nc_u32_e32 v11, v11, v12
	v_and_b32_e32 v12, 0xff, v86
	s_delay_alu instid0(VALU_DEP_1) | instskip(NEXT) | instid1(VALU_DEP_1)
	v_sub_nc_u32_e32 v16, v12, v11
	v_cmp_lt_i32_e32 vcc_lo, 0, v16
	s_and_b32 exec_lo, exec_lo, vcc_lo
	s_cbranch_execz .LBB2_4053
; %bb.4005:                             ;   in Loop: Header=BB2_2103 Depth=1
	s_cbranch_execnz .LBB2_4589
; %bb.4006:                             ;   in Loop: Header=BB2_2103 Depth=1
	ds_load_b128 v[12:15], v0
	s_waitcnt vmcnt(0)
	ds_load_b64 v[48:49], v0
	v_add3_u32 v17, v10, v85, v11
	s_bitcmp1_b32 s21, 0
	s_mov_b32 s21, 0
	s_cselect_b32 s22, -1, 0
	s_delay_alu instid0(VALU_DEP_1) | instskip(SKIP_2) | instid1(VALU_DEP_2)
	v_ashrrev_i32_e32 v50, 31, v17
	s_waitcnt lgkmcnt(1)
	v_add_co_u32 v10, vcc_lo, v12, v17
	v_add_co_ci_u32_e32 v11, vcc_lo, v13, v50, vcc_lo
	v_add_co_u32 v12, vcc_lo, v14, v17
	v_add_co_ci_u32_e32 v13, vcc_lo, v15, v50, vcc_lo
	s_waitcnt lgkmcnt(0)
	v_add_co_u32 v14, vcc_lo, v48, v17
	v_add_co_ci_u32_e32 v15, vcc_lo, v49, v50, vcc_lo
	s_branch .LBB2_4010
.LBB2_4007:                             ;   in Loop: Header=BB2_4010 Depth=2
	s_or_b32 exec_lo, exec_lo, s7
	s_delay_alu instid0(VALU_DEP_1) | instskip(NEXT) | instid1(VALU_DEP_2)
	v_lshrrev_b32_e32 v48, 20, v48
	v_cmp_gt_i32_e32 vcc_lo, 16, v17
	v_lshrrev_b32_e32 v49, 24, v50
	v_min_i32_e32 v50, 15, v17
	s_delay_alu instid0(VALU_DEP_2) | instskip(NEXT) | instid1(VALU_DEP_1)
	v_dual_cndmask_b32 v48, 7, v48 :: v_dual_and_b32 v49, 0x80, v49
	v_or_b32_e32 v17, v17, v48
	v_and_b32_e32 v51, 7, v48
	s_delay_alu instid0(VALU_DEP_2) | instskip(SKIP_1) | instid1(VALU_DEP_1)
	v_cmp_ne_u32_e32 vcc_lo, 0, v17
	v_lshlrev_b32_e32 v50, 3, v50
	v_or3_b32 v48, v50, v49, v51
	s_delay_alu instid0(VALU_DEP_1)
	v_cndmask_b32_e32 v17, 0, v48, vcc_lo
.LBB2_4008:                             ;   in Loop: Header=BB2_4010 Depth=2
	s_or_b32 exec_lo, exec_lo, s24
.LBB2_4009:                             ;   in Loop: Header=BB2_4010 Depth=2
	s_delay_alu instid0(SALU_CYCLE_1)
	s_or_b32 exec_lo, exec_lo, s23
	v_add_co_u32 v10, vcc_lo, v10, v80
	v_sub_nc_u32_e32 v16, v16, v80
	v_add_co_ci_u32_e32 v11, vcc_lo, v11, v83, vcc_lo
	v_add_co_u32 v12, vcc_lo, v12, v80
	v_add_co_ci_u32_e32 v13, vcc_lo, v13, v83, vcc_lo
	flat_store_b8 v[14:15], v17 glc slc dlc
	v_cmp_gt_i32_e32 vcc_lo, 1, v16
	v_add_co_u32 v14, s7, v14, v80
	s_delay_alu instid0(VALU_DEP_1) | instskip(SKIP_1) | instid1(SALU_CYCLE_1)
	v_add_co_ci_u32_e64 v15, s7, v15, v83, s7
	s_or_b32 s21, vcc_lo, s21
	s_and_not1_b32 exec_lo, exec_lo, s21
	s_cbranch_execz .LBB2_4053
.LBB2_4010:                             ;   Parent Loop BB2_2103 Depth=1
                                        ; =>  This Inner Loop Header: Depth=2
	flat_load_u8 v48, v[12:13] slc dlc
	s_waitcnt vmcnt(1) lgkmcnt(2)
	flat_load_u8 v49, v[10:11] slc dlc
	s_waitcnt vmcnt(1) lgkmcnt(1)
	v_bfe_u32 v52, v48, 3, 4
	v_lshlrev_b32_e32 v53, 24, v48
	s_delay_alu instid0(VALU_DEP_2) | instskip(SKIP_1) | instid1(VALU_DEP_1)
	v_cmp_eq_u32_e32 vcc_lo, 0, v52
	v_and_b32_e32 v17, 7, v48
	v_clz_i32_u32_e32 v50, v17
	s_delay_alu instid0(VALU_DEP_1) | instskip(NEXT) | instid1(VALU_DEP_1)
	v_min_u32_e32 v50, 32, v50
	v_subrev_nc_u32_e32 v51, 28, v50
	v_sub_nc_u32_e32 v50, 29, v50
	s_delay_alu instid0(VALU_DEP_1) | instskip(NEXT) | instid1(VALU_DEP_1)
	v_dual_cndmask_b32 v50, v52, v50 :: v_dual_lshlrev_b32 v51, v51, v48
	v_and_b32_e32 v51, 7, v51
	s_delay_alu instid0(VALU_DEP_2) | instskip(NEXT) | instid1(VALU_DEP_2)
	v_lshl_add_u32 v50, v50, 23, 0x3b800000
	v_cndmask_b32_e32 v17, v17, v51, vcc_lo
	v_and_b32_e32 v51, 0x80000000, v53
	s_and_b32 vcc_lo, exec_lo, s22
	s_delay_alu instid0(VALU_DEP_2) | instskip(NEXT) | instid1(VALU_DEP_1)
	v_lshlrev_b32_e32 v17, 20, v17
	v_or3_b32 v17, v51, v50, v17
	s_cbranch_vccz .LBB2_4020
; %bb.4011:                             ;   in Loop: Header=BB2_4010 Depth=2
	s_waitcnt vmcnt(0) lgkmcnt(0)
	v_and_b32_e32 v51, 0xff, v49
	s_mov_b32 s7, 0
	s_mov_b32 s24, exec_lo
                                        ; implicit-def: $sgpr23
	s_delay_alu instid0(VALU_DEP_1)
	v_cmpx_lt_i16_e32 0x7f, v51
	s_xor_b32 s24, exec_lo, s24
	s_cbranch_execnz .LBB2_4037
; %bb.4012:                             ;   in Loop: Header=BB2_4010 Depth=2
	s_or_saveexec_b32 s24, s24
	v_mov_b32_e32 v50, s23
	s_xor_b32 exec_lo, exec_lo, s24
	s_cbranch_execnz .LBB2_4040
.LBB2_4013:                             ;   in Loop: Header=BB2_4010 Depth=2
	s_or_b32 exec_lo, exec_lo, s24
	s_and_saveexec_b32 s23, s7
	s_cbranch_execz .LBB2_4015
.LBB2_4014:                             ;   in Loop: Header=BB2_4010 Depth=2
	v_lshrrev_b16 v53, 3, v49
	v_lshlrev_b32_e32 v85, 24, v49
	s_delay_alu instid0(VALU_DEP_2) | instskip(NEXT) | instid1(VALU_DEP_1)
	v_and_b32_e32 v53, 15, v53
	v_cmp_eq_u32_e32 vcc_lo, 0, v53
	v_and_b32_e32 v50, 7, v49
	s_delay_alu instid0(VALU_DEP_1) | instskip(NEXT) | instid1(VALU_DEP_1)
	v_clz_i32_u32_e32 v51, v50
	v_min_u32_e32 v51, 32, v51
	s_delay_alu instid0(VALU_DEP_1) | instskip(SKIP_1) | instid1(VALU_DEP_1)
	v_subrev_nc_u32_e32 v52, 28, v51
	v_sub_nc_u32_e32 v51, 29, v51
	v_dual_cndmask_b32 v51, v53, v51 :: v_dual_lshlrev_b32 v52, v52, v49
	s_delay_alu instid0(VALU_DEP_1) | instskip(NEXT) | instid1(VALU_DEP_2)
	v_and_b32_e32 v52, 7, v52
	v_lshl_add_u32 v51, v51, 23, 0x3b800000
	s_delay_alu instid0(VALU_DEP_2) | instskip(SKIP_1) | instid1(VALU_DEP_2)
	v_cndmask_b32_e32 v50, v50, v52, vcc_lo
	v_and_b32_e32 v52, 0x80000000, v85
	v_lshlrev_b32_e32 v50, 20, v50
	s_delay_alu instid0(VALU_DEP_1)
	v_or3_b32 v50, v52, v51, v50
.LBB2_4015:                             ;   in Loop: Header=BB2_4010 Depth=2
	s_or_b32 exec_lo, exec_lo, s23
	v_and_b32_e32 v51, 0xff, v48
	s_mov_b32 s7, 0
	s_mov_b32 s24, exec_lo
                                        ; implicit-def: $sgpr23
	s_delay_alu instid0(VALU_DEP_1)
	v_cmpx_lt_i16_e32 0x7f, v51
	s_xor_b32 s24, exec_lo, s24
	s_cbranch_execnz .LBB2_4041
; %bb.4016:                             ;   in Loop: Header=BB2_4010 Depth=2
	s_or_saveexec_b32 s24, s24
	v_mov_b32_e32 v52, s23
	s_xor_b32 exec_lo, exec_lo, s24
	s_cbranch_execnz .LBB2_4044
.LBB2_4017:                             ;   in Loop: Header=BB2_4010 Depth=2
	s_or_b32 exec_lo, exec_lo, s24
	s_and_saveexec_b32 s23, s7
.LBB2_4018:                             ;   in Loop: Header=BB2_4010 Depth=2
	v_mov_b32_e32 v52, v17
.LBB2_4019:                             ;   in Loop: Header=BB2_4010 Depth=2
	s_or_b32 exec_lo, exec_lo, s23
	s_delay_alu instid0(VALU_DEP_1) | instskip(SKIP_1) | instid1(VALU_DEP_1)
	v_dual_max_f32 v51, v52, v52 :: v_dual_max_f32 v50, v50, v50
	s_mov_b32 s7, 0
	v_max_f32_e32 v50, v50, v51
	s_branch .LBB2_4021
.LBB2_4020:                             ;   in Loop: Header=BB2_4010 Depth=2
	s_mov_b32 s7, -1
                                        ; implicit-def: $vgpr50
.LBB2_4021:                             ;   in Loop: Header=BB2_4010 Depth=2
	s_delay_alu instid0(SALU_CYCLE_1)
	s_and_b32 vcc_lo, exec_lo, s7
	s_cbranch_vccz .LBB2_4031
; %bb.4022:                             ;   in Loop: Header=BB2_4010 Depth=2
	s_waitcnt vmcnt(0) lgkmcnt(0)
	v_and_b32_e32 v51, 0xff, v49
	s_mov_b32 s7, 0
	s_mov_b32 s24, exec_lo
                                        ; implicit-def: $sgpr23
	s_delay_alu instid0(VALU_DEP_1)
	v_cmpx_lt_i16_e32 0x7f, v51
	s_xor_b32 s24, exec_lo, s24
	s_cbranch_execnz .LBB2_4045
; %bb.4023:                             ;   in Loop: Header=BB2_4010 Depth=2
	s_or_saveexec_b32 s24, s24
	v_mov_b32_e32 v50, s23
	s_xor_b32 exec_lo, exec_lo, s24
	s_cbranch_execnz .LBB2_4048
.LBB2_4024:                             ;   in Loop: Header=BB2_4010 Depth=2
	s_or_b32 exec_lo, exec_lo, s24
	s_and_saveexec_b32 s23, s7
	s_cbranch_execz .LBB2_4026
.LBB2_4025:                             ;   in Loop: Header=BB2_4010 Depth=2
	v_lshrrev_b16 v53, 3, v49
	s_delay_alu instid0(VALU_DEP_1) | instskip(NEXT) | instid1(VALU_DEP_1)
	v_and_b32_e32 v53, 15, v53
	v_cmp_eq_u32_e32 vcc_lo, 0, v53
	v_and_b32_e32 v50, 7, v49
	s_delay_alu instid0(VALU_DEP_1) | instskip(NEXT) | instid1(VALU_DEP_1)
	v_clz_i32_u32_e32 v51, v50
	v_min_u32_e32 v51, 32, v51
	s_delay_alu instid0(VALU_DEP_1) | instskip(SKIP_1) | instid1(VALU_DEP_1)
	v_subrev_nc_u32_e32 v52, 28, v51
	v_sub_nc_u32_e32 v51, 29, v51
	v_dual_cndmask_b32 v51, v53, v51 :: v_dual_lshlrev_b32 v52, v52, v49
	v_lshlrev_b32_e32 v49, 24, v49
	s_delay_alu instid0(VALU_DEP_2) | instskip(NEXT) | instid1(VALU_DEP_3)
	v_and_b32_e32 v52, 7, v52
	v_lshl_add_u32 v51, v51, 23, 0x3b800000
	s_delay_alu instid0(VALU_DEP_2) | instskip(NEXT) | instid1(VALU_DEP_1)
	v_dual_cndmask_b32 v50, v50, v52 :: v_dual_and_b32 v49, 0x80000000, v49
	v_lshlrev_b32_e32 v50, 20, v50
	s_delay_alu instid0(VALU_DEP_1)
	v_or3_b32 v50, v49, v51, v50
.LBB2_4026:                             ;   in Loop: Header=BB2_4010 Depth=2
	s_or_b32 exec_lo, exec_lo, s23
	v_and_b32_e32 v48, 0xff, v48
	s_mov_b32 s7, 0
	s_mov_b32 s24, exec_lo
                                        ; implicit-def: $sgpr23
	s_delay_alu instid0(VALU_DEP_1)
	v_cmpx_lt_i16_e32 0x7f, v48
	s_xor_b32 s24, exec_lo, s24
	s_cbranch_execnz .LBB2_4049
; %bb.4027:                             ;   in Loop: Header=BB2_4010 Depth=2
	s_or_saveexec_b32 s24, s24
	v_mov_b32_e32 v49, s23
	s_xor_b32 exec_lo, exec_lo, s24
	s_cbranch_execnz .LBB2_4052
.LBB2_4028:                             ;   in Loop: Header=BB2_4010 Depth=2
	s_or_b32 exec_lo, exec_lo, s24
	s_and_saveexec_b32 s23, s7
.LBB2_4029:                             ;   in Loop: Header=BB2_4010 Depth=2
	v_mov_b32_e32 v49, v17
.LBB2_4030:                             ;   in Loop: Header=BB2_4010 Depth=2
	s_or_b32 exec_lo, exec_lo, s23
	s_delay_alu instid0(VALU_DEP_1) | instskip(NEXT) | instid1(VALU_DEP_1)
	v_dual_max_f32 v17, v49, v49 :: v_dual_max_f32 v48, v50, v50
	v_min_f32_e32 v50, v48, v17
.LBB2_4031:                             ;   in Loop: Header=BB2_4010 Depth=2
	s_delay_alu instid0(VALU_DEP_1) | instskip(NEXT) | instid1(VALU_DEP_1)
	v_and_b32_e32 v17, 0x7f800000, v50
	v_cmp_ne_u32_e32 vcc_lo, 0x7f800000, v17
	v_mov_b32_e32 v17, 0x80
	s_and_saveexec_b32 s23, vcc_lo
	s_cbranch_execz .LBB2_4009
; %bb.4032:                             ;   in Loop: Header=BB2_4010 Depth=2
	v_mov_b32_e32 v17, 0
	s_mov_b32 s24, exec_lo
	v_cmpx_ne_u32_e32 0, v50
	s_cbranch_execz .LBB2_4008
; %bb.4033:                             ;   in Loop: Header=BB2_4010 Depth=2
	v_bfe_u32 v17, v50, 23, 8
	s_waitcnt vmcnt(0) lgkmcnt(0)
	s_delay_alu instid0(VALU_DEP_1) | instskip(SKIP_1) | instid1(VALU_DEP_2)
	v_sub_nc_u32_e32 v49, 0x78, v17
	v_cmp_gt_u32_e32 vcc_lo, 0x79, v17
	v_dual_cndmask_b32 v49, 0, v49 :: v_dual_and_b32 v48, 0x7fffff, v50
	s_delay_alu instid0(VALU_DEP_1) | instskip(SKIP_2) | instid1(VALU_DEP_4)
	v_or_b32_e32 v51, 0x800000, v48
	v_cmp_eq_u32_e32 vcc_lo, 0, v17
	v_add_nc_u32_e32 v17, 0xffffff89, v17
	v_cndmask_b32_e64 v49, v49, 0x77, vcc_lo
	s_delay_alu instid0(VALU_DEP_4) | instskip(NEXT) | instid1(VALU_DEP_3)
	v_cndmask_b32_e32 v48, v51, v48, vcc_lo
	v_cndmask_b32_e64 v17, v17, 0xffffff8a, vcc_lo
	s_delay_alu instid0(VALU_DEP_3) | instskip(NEXT) | instid1(VALU_DEP_3)
	v_lshl_add_u32 v51, 0x100000, v49, -1
	v_lshrrev_b32_e32 v52, v49, v48
	v_lshlrev_b32_e64 v85, v49, 0x80000
	s_delay_alu instid0(VALU_DEP_4) | instskip(NEXT) | instid1(VALU_DEP_4)
	v_add_nc_u32_e32 v49, v49, v17
	v_and_b32_e32 v48, v51, v48
	s_delay_alu instid0(VALU_DEP_4) | instskip(NEXT) | instid1(VALU_DEP_2)
	v_bfe_u32 v53, v52, 20, 1
	v_cmp_eq_u32_e64 s7, v48, v85
	s_delay_alu instid0(VALU_DEP_2) | instskip(NEXT) | instid1(VALU_DEP_1)
	v_add_nc_u32_e32 v51, -1, v53
	v_cndmask_b32_e64 v48, 0, v51, s7
	v_lshrrev_b32_e32 v51, 23, v52
	s_mov_b32 s7, exec_lo
	s_delay_alu instid0(VALU_DEP_2) | instskip(NEXT) | instid1(VALU_DEP_2)
	v_add_nc_u32_e32 v48, v48, v52
	v_xor_b32_e32 v51, 1, v51
	s_delay_alu instid0(VALU_DEP_2) | instskip(NEXT) | instid1(VALU_DEP_1)
	v_and_b32_e32 v17, 0xfffff, v48
	v_add_nc_u32_e32 v48, v17, v52
                                        ; implicit-def: $vgpr17
	s_delay_alu instid0(VALU_DEP_3)
	v_cmpx_ne_u32_e64 v49, v51
	s_xor_b32 s7, exec_lo, s7
; %bb.4034:                             ;   in Loop: Header=BB2_4010 Depth=2
	s_delay_alu instid0(VALU_DEP_2) | instskip(SKIP_2) | instid1(VALU_DEP_2)
	v_cmp_lt_u32_e32 vcc_lo, 0xffffff, v48
	v_sub_nc_u32_e32 v17, v49, v51
	v_cndmask_b32_e64 v49, 0, 1, vcc_lo
	v_add_co_ci_u32_e32 v17, vcc_lo, 0, v17, vcc_lo
	s_delay_alu instid0(VALU_DEP_2)
	v_lshrrev_b32_e32 v48, v49, v48
; %bb.4035:                             ;   in Loop: Header=BB2_4010 Depth=2
	s_and_not1_saveexec_b32 s7, s7
	s_cbranch_execz .LBB2_4007
; %bb.4036:                             ;   in Loop: Header=BB2_4010 Depth=2
	s_delay_alu instid0(VALU_DEP_1)
	v_bfe_u32 v17, v48, 23, 1
	s_branch .LBB2_4007
.LBB2_4037:                             ;   in Loop: Header=BB2_4010 Depth=2
	s_mov_b32 s7, -1
	s_mov_b32 s25, exec_lo
                                        ; implicit-def: $sgpr23
	v_cmpx_eq_u16_e32 0x80, v51
; %bb.4038:                             ;   in Loop: Header=BB2_4010 Depth=2
	s_mov_b32 s23, 0x7f800001
	s_xor_b32 s7, exec_lo, -1
; %bb.4039:                             ;   in Loop: Header=BB2_4010 Depth=2
	s_or_b32 exec_lo, exec_lo, s25
	s_delay_alu instid0(SALU_CYCLE_1)
	s_and_b32 s7, s7, exec_lo
                                        ; implicit-def: $vgpr51
	s_or_saveexec_b32 s24, s24
	v_mov_b32_e32 v50, s23
	s_xor_b32 exec_lo, exec_lo, s24
	s_cbranch_execz .LBB2_4013
.LBB2_4040:                             ;   in Loop: Header=BB2_4010 Depth=2
	v_cmp_ne_u16_e32 vcc_lo, 0, v51
	v_mov_b32_e32 v50, 0
	s_and_not1_b32 s7, s7, exec_lo
	s_and_b32 s23, vcc_lo, exec_lo
	s_delay_alu instid0(SALU_CYCLE_1)
	s_or_b32 s7, s7, s23
	s_or_b32 exec_lo, exec_lo, s24
	s_and_saveexec_b32 s23, s7
	s_cbranch_execnz .LBB2_4014
	s_branch .LBB2_4015
.LBB2_4041:                             ;   in Loop: Header=BB2_4010 Depth=2
	s_mov_b32 s7, -1
	s_mov_b32 s25, exec_lo
                                        ; implicit-def: $sgpr23
	v_cmpx_eq_u16_e32 0x80, v51
; %bb.4042:                             ;   in Loop: Header=BB2_4010 Depth=2
	s_mov_b32 s23, 0x7f800001
	s_xor_b32 s7, exec_lo, -1
; %bb.4043:                             ;   in Loop: Header=BB2_4010 Depth=2
	s_or_b32 exec_lo, exec_lo, s25
	s_delay_alu instid0(SALU_CYCLE_1)
	s_and_b32 s7, s7, exec_lo
                                        ; implicit-def: $vgpr51
	s_or_saveexec_b32 s24, s24
	v_mov_b32_e32 v52, s23
	s_xor_b32 exec_lo, exec_lo, s24
	s_cbranch_execz .LBB2_4017
.LBB2_4044:                             ;   in Loop: Header=BB2_4010 Depth=2
	v_cmp_ne_u16_e32 vcc_lo, 0, v51
	v_mov_b32_e32 v52, 0
	s_and_not1_b32 s7, s7, exec_lo
	s_and_b32 s23, vcc_lo, exec_lo
	s_delay_alu instid0(SALU_CYCLE_1)
	s_or_b32 s7, s7, s23
	s_or_b32 exec_lo, exec_lo, s24
	s_and_saveexec_b32 s23, s7
	s_cbranch_execnz .LBB2_4018
	s_branch .LBB2_4019
.LBB2_4045:                             ;   in Loop: Header=BB2_4010 Depth=2
	s_mov_b32 s7, -1
	s_mov_b32 s25, exec_lo
                                        ; implicit-def: $sgpr23
	v_cmpx_eq_u16_e32 0x80, v51
; %bb.4046:                             ;   in Loop: Header=BB2_4010 Depth=2
	s_mov_b32 s23, 0x7f800001
	s_xor_b32 s7, exec_lo, -1
; %bb.4047:                             ;   in Loop: Header=BB2_4010 Depth=2
	s_or_b32 exec_lo, exec_lo, s25
	s_delay_alu instid0(SALU_CYCLE_1)
	s_and_b32 s7, s7, exec_lo
                                        ; implicit-def: $vgpr51
	s_or_saveexec_b32 s24, s24
	v_mov_b32_e32 v50, s23
	s_xor_b32 exec_lo, exec_lo, s24
	s_cbranch_execz .LBB2_4024
.LBB2_4048:                             ;   in Loop: Header=BB2_4010 Depth=2
	v_cmp_ne_u16_e32 vcc_lo, 0, v51
	v_mov_b32_e32 v50, 0
	s_and_not1_b32 s7, s7, exec_lo
	s_and_b32 s23, vcc_lo, exec_lo
	s_delay_alu instid0(SALU_CYCLE_1)
	s_or_b32 s7, s7, s23
	s_or_b32 exec_lo, exec_lo, s24
	s_and_saveexec_b32 s23, s7
	s_cbranch_execnz .LBB2_4025
	s_branch .LBB2_4026
.LBB2_4049:                             ;   in Loop: Header=BB2_4010 Depth=2
	s_mov_b32 s7, -1
	s_mov_b32 s25, exec_lo
                                        ; implicit-def: $sgpr23
	v_cmpx_eq_u16_e32 0x80, v48
; %bb.4050:                             ;   in Loop: Header=BB2_4010 Depth=2
	s_mov_b32 s23, 0x7f800001
	s_xor_b32 s7, exec_lo, -1
; %bb.4051:                             ;   in Loop: Header=BB2_4010 Depth=2
	s_or_b32 exec_lo, exec_lo, s25
	s_delay_alu instid0(SALU_CYCLE_1)
	s_and_b32 s7, s7, exec_lo
                                        ; implicit-def: $vgpr48
	s_or_saveexec_b32 s24, s24
	v_mov_b32_e32 v49, s23
	s_xor_b32 exec_lo, exec_lo, s24
	s_cbranch_execz .LBB2_4028
.LBB2_4052:                             ;   in Loop: Header=BB2_4010 Depth=2
	v_cmp_ne_u16_e32 vcc_lo, 0, v48
	v_mov_b32_e32 v49, 0
	s_and_not1_b32 s7, s7, exec_lo
	s_and_b32 s23, vcc_lo, exec_lo
	s_delay_alu instid0(SALU_CYCLE_1)
	s_or_b32 s7, s7, s23
	s_or_b32 exec_lo, exec_lo, s24
	s_and_saveexec_b32 s23, s7
	s_cbranch_execnz .LBB2_4029
	s_branch .LBB2_4030
.LBB2_4053:                             ;   in Loop: Header=BB2_2103 Depth=1
	s_or_b32 exec_lo, exec_lo, s10
	v_cmp_ne_u32_e64 s7, 0, v34
.LBB2_4054:                             ;   in Loop: Header=BB2_2103 Depth=1
	s_and_saveexec_b32 s10, s2
	s_cbranch_execz .LBB2_4076
; %bb.4055:                             ;   in Loop: Header=BB2_2103 Depth=1
	s_and_saveexec_b32 s21, s3
	s_delay_alu instid0(SALU_CYCLE_1)
	s_xor_b32 s21, exec_lo, s21
	s_cbranch_execz .LBB2_4073
; %bb.4056:                             ;   in Loop: Header=BB2_2103 Depth=1
	s_and_saveexec_b32 s22, s4
	s_cbranch_execz .LBB2_4072
; %bb.4057:                             ;   in Loop: Header=BB2_2103 Depth=1
	s_mov_b32 s24, exec_lo
	s_mov_b32 s23, exec_lo
	v_mbcnt_lo_u32_b32 v10, s24, 0
	s_waitcnt vmcnt(0) lgkmcnt(0)
	s_waitcnt_vscnt null, 0x0
	buffer_gl1_inv
	buffer_gl0_inv
	v_cmpx_eq_u32_e32 0, v10
	s_cbranch_execz .LBB2_4059
; %bb.4058:                             ;   in Loop: Header=BB2_2103 Depth=1
	s_bcnt1_i32_b32 s24, s24
	s_delay_alu instid0(SALU_CYCLE_1)
	v_mov_b32_e32 v34, s24
	ds_add_u64 v0, v[34:35]
	s_cbranch_execnz .LBB2_4581
.LBB2_4059:                             ;   in Loop: Header=BB2_2103 Depth=1
	s_or_b32 exec_lo, exec_lo, s23
	s_cbranch_execnz .LBB2_4561
; %bb.4060:                             ;   in Loop: Header=BB2_2103 Depth=1
	ds_load_b64 v[10:11], v0
	v_add_co_u32 v28, vcc_lo, v28, v54
	v_add_co_ci_u32_e32 v29, vcc_lo, 0, v29, vcc_lo
	s_mov_b32 s23, exec_lo
	s_waitcnt lgkmcnt(0)
	s_delay_alu instid0(VALU_DEP_1)
	v_cmpx_lt_u64_e64 v[10:11], v[28:29]
	s_cbranch_execz .LBB2_4071
; %bb.4061:                             ;   in Loop: Header=BB2_2103 Depth=1
	s_mov_b32 s24, 0
	s_mov_b32 s27, 0
                                        ; implicit-def: $sgpr25
                                        ; implicit-def: $sgpr26
	s_branch .LBB2_4063
.LBB2_4062:                             ;   in Loop: Header=BB2_4063 Depth=2
	s_or_b32 exec_lo, exec_lo, vcc_hi
	s_delay_alu instid0(SALU_CYCLE_1) | instskip(NEXT) | instid1(SALU_CYCLE_1)
	s_and_b32 s28, exec_lo, s29
	s_or_b32 s24, s28, s24
	s_and_not1_b32 s25, s25, exec_lo
	s_and_b32 s28, s26, exec_lo
	s_delay_alu instid0(SALU_CYCLE_1)
	s_or_b32 s25, s25, s28
	s_and_not1_b32 exec_lo, exec_lo, s24
	s_cbranch_execz .LBB2_4069
.LBB2_4063:                             ;   Parent Loop BB2_2103 Depth=1
                                        ; =>  This Inner Loop Header: Depth=2
	s_add_i32 s27, s27, 1
                                        ; implicit-def: $sgpr29
	s_delay_alu instid0(SALU_CYCLE_1) | instskip(SKIP_1) | instid1(SALU_CYCLE_1)
	s_cmpk_lg_i32 s27, 0x2710
	s_cselect_b32 s28, -1, 0
	s_and_b32 vcc_lo, exec_lo, s28
	s_cbranch_vccz .LBB2_4067
.LBB2_4064:                             ;   in Loop: Header=BB2_4063 Depth=2
	s_and_not1_b32 s26, s26, exec_lo
	s_and_b32 vcc_lo, s29, exec_lo
	s_mov_b32 s29, -1
	s_or_b32 s26, s26, vcc_lo
	s_and_saveexec_b32 vcc_hi, s28
	s_cbranch_execz .LBB2_4062
; %bb.4065:                             ;   in Loop: Header=BB2_4063 Depth=2
	s_sleep 1
	s_cbranch_execnz .LBB2_4597
; %bb.4066:                             ;   in Loop: Header=BB2_4063 Depth=2
	ds_load_b64 v[10:11], v0
	s_and_not1_b32 s26, s26, exec_lo
	s_waitcnt lgkmcnt(0)
	v_cmp_ge_u64_e32 vcc_lo, v[10:11], v[28:29]
	s_or_not1_b32 s29, vcc_lo, exec_lo
	s_branch .LBB2_4062
.LBB2_4067:                             ;   in Loop: Header=BB2_4063 Depth=2
	s_cbranch_execnz .LBB2_4603
; %bb.4068:                             ;   in Loop: Header=BB2_4063 Depth=2
	ds_load_b64 v[10:11], v0
	s_and_not1_b32 s28, s28, exec_lo
	s_mov_b32 s27, 0
	s_mov_b32 s29, -1
	s_waitcnt lgkmcnt(0)
	flat_load_b32 v10, v[10:11] glc
	s_waitcnt vmcnt(0) lgkmcnt(0)
	buffer_gl1_inv
	buffer_gl0_inv
	v_cmp_eq_u32_e32 vcc_lo, 0, v10
	s_and_b32 vcc_lo, vcc_lo, exec_lo
	s_delay_alu instid0(SALU_CYCLE_1)
	s_or_b32 s28, s28, vcc_lo
	s_branch .LBB2_4064
.LBB2_4069:                             ;   in Loop: Header=BB2_2103 Depth=1
	s_or_b32 exec_lo, exec_lo, s24
	s_and_saveexec_b32 s24, s25
	s_delay_alu instid0(SALU_CYCLE_1)
	s_xor_b32 s24, exec_lo, s24
	s_cbranch_execz .LBB2_4071
; %bb.4070:                             ;   in Loop: Header=BB2_2103 Depth=1
	ds_store_b32 v0, v84
	s_cbranch_execnz .LBB2_4627
.LBB2_4071:                             ;   in Loop: Header=BB2_2103 Depth=1
	s_or_b32 exec_lo, exec_lo, s23
	;;#ASMSTART
	s_wakeup
	;;#ASMEND
.LBB2_4072:                             ;   in Loop: Header=BB2_2103 Depth=1
	s_or_b32 exec_lo, exec_lo, s22
.LBB2_4073:                             ;   in Loop: Header=BB2_2103 Depth=1
	s_and_not1_saveexec_b32 s21, s21
	s_cbranch_execz .LBB2_4075
; %bb.4074:                             ;   in Loop: Header=BB2_2103 Depth=1
	s_waitcnt vmcnt(0) lgkmcnt(0)
	s_waitcnt_vscnt null, 0x0
	buffer_gl1_inv
	buffer_gl0_inv
	s_barrier
.LBB2_4075:                             ;   in Loop: Header=BB2_2103 Depth=1
	s_or_b32 exec_lo, exec_lo, s21
.LBB2_4076:                             ;   in Loop: Header=BB2_2103 Depth=1
	s_delay_alu instid0(SALU_CYCLE_1) | instskip(SKIP_1) | instid1(VALU_DEP_1)
	s_or_b32 exec_lo, exec_lo, s10
	v_and_b32_e32 v10, 16, v64
	v_cmp_ne_u32_e32 vcc_lo, 0, v10
	s_and_b32 s10, vcc_lo, s7
	s_delay_alu instid0(SALU_CYCLE_1)
	s_and_saveexec_b32 s7, s10
	s_cbranch_execz .LBB2_4078
; %bb.4077:                             ;   in Loop: Header=BB2_2103 Depth=1
	s_waitcnt vmcnt(0) lgkmcnt(0)
	s_waitcnt_vscnt null, 0x0
	buffer_gl1_inv
	buffer_gl0_inv
.LBB2_4078:                             ;   in Loop: Header=BB2_2103 Depth=1
	s_or_b32 exec_lo, exec_lo, s7
	v_and_b32_e32 v10, 32, v64
	s_mov_b32 s7, exec_lo
	s_delay_alu instid0(VALU_DEP_1)
	v_cmpx_ne_u32_e32 0, v10
	s_cbranch_execz .LBB2_4080
; %bb.4079:                             ;   in Loop: Header=BB2_2103 Depth=1
	v_add_co_u32 v8, vcc_lo, v8, 1
	v_add_co_ci_u32_e32 v9, vcc_lo, 0, v9, vcc_lo
	s_waitcnt vmcnt(0) lgkmcnt(0)
	s_waitcnt_vscnt null, 0x0
	flat_store_b64 v[22:23], v[8:9]
.LBB2_4080:                             ;   in Loop: Header=BB2_2103 Depth=1
	s_or_b32 exec_lo, exec_lo, s7
	v_mov_b32_e32 v14, v39
.LBB2_4081:                             ;   in Loop: Header=BB2_2103 Depth=1
	s_or_b32 exec_lo, exec_lo, s20
	s_and_saveexec_b32 s10, s19
	s_cbranch_execz .LBB2_4134
; %bb.4082:                             ;   in Loop: Header=BB2_2103 Depth=1
	v_and_b32_e32 v10, 4, v64
	s_mov_b32 s19, -1
	s_mov_b32 s7, exec_lo
	s_delay_alu instid0(VALU_DEP_1)
	v_cmpx_ne_u32_e32 0, v10
	s_cbranch_execz .LBB2_4096
; %bb.4083:                             ;   in Loop: Header=BB2_2103 Depth=1
	v_add_co_u32 v10, vcc_lo, v8, 1
	v_add_co_ci_u32_e32 v11, vcc_lo, 0, v9, vcc_lo
	v_mov_b32_e32 v12, 1
	s_mov_b32 s19, exec_lo
	s_delay_alu instid0(VALU_DEP_2)
	v_cmpx_lt_u64_e64 v[26:27], v[10:11]
	s_cbranch_execz .LBB2_4095
; %bb.4084:                             ;   in Loop: Header=BB2_2103 Depth=1
	v_mov_b32_e32 v12, 0
	s_mov_b32 s20, 0
                                        ; implicit-def: $sgpr21
	s_branch .LBB2_4088
.LBB2_4085:                             ;   in Loop: Header=BB2_4088 Depth=2
	s_or_b32 exec_lo, exec_lo, s25
	v_mov_b32_e32 v13, 0
	s_or_not1_b32 s24, s24, exec_lo
.LBB2_4086:                             ;   in Loop: Header=BB2_4088 Depth=2
	s_or_b32 exec_lo, exec_lo, s23
	s_delay_alu instid0(VALU_DEP_1) | instskip(SKIP_2) | instid1(SALU_CYCLE_1)
	v_mov_b32_e32 v12, v13
	s_and_not1_b32 s21, s21, exec_lo
	s_and_b32 s23, s24, exec_lo
	s_or_b32 s21, s21, s23
.LBB2_4087:                             ;   in Loop: Header=BB2_4088 Depth=2
	s_or_b32 exec_lo, exec_lo, s22
	s_waitcnt vmcnt(0) lgkmcnt(0)
	v_cmp_ge_u64_e32 vcc_lo, v[26:27], v[10:11]
	s_xor_b32 s22, s21, -1
	s_delay_alu instid0(SALU_CYCLE_1) | instskip(NEXT) | instid1(SALU_CYCLE_1)
	s_or_b32 s22, s22, vcc_lo
	s_and_b32 s22, exec_lo, s22
	s_delay_alu instid0(SALU_CYCLE_1) | instskip(NEXT) | instid1(SALU_CYCLE_1)
	s_or_b32 s20, s22, s20
	s_and_not1_b32 exec_lo, exec_lo, s20
	s_cbranch_execz .LBB2_4094
.LBB2_4088:                             ;   Parent Loop BB2_2103 Depth=1
                                        ; =>  This Inner Loop Header: Depth=2
	s_sleep 1
	flat_load_b64 v[26:27], v[22:23] glc
	v_and_b32_e32 v13, 64, v64
	s_and_not1_b32 s21, s21, exec_lo
	s_mov_b32 s22, exec_lo
	s_delay_alu instid0(VALU_DEP_1)
	v_cmpx_eq_u32_e32 0, v13
	s_cbranch_execz .LBB2_4087
; %bb.4089:                             ;   in Loop: Header=BB2_4088 Depth=2
	v_add_nc_u32_e32 v13, 1, v12
	s_mov_b32 s24, -1
	s_mov_b32 s23, exec_lo
	v_cmpx_lt_i32_e32 0x270e, v12
	s_cbranch_execz .LBB2_4086
; %bb.4090:                             ;   in Loop: Header=BB2_4088 Depth=2
	s_cbranch_execnz .LBB2_4453
; %bb.4091:                             ;   in Loop: Header=BB2_4088 Depth=2
	ds_load_b64 v[12:13], v0
	s_mov_b32 s25, exec_lo
	s_waitcnt vmcnt(0) lgkmcnt(0)
	s_waitcnt_vscnt null, 0x0
	flat_load_b32 v12, v[12:13] glc
	s_waitcnt vmcnt(0) lgkmcnt(0)
	buffer_gl1_inv
	buffer_gl0_inv
	v_cmpx_ne_u32_e32 0, v12
	s_cbranch_execz .LBB2_4085
; %bb.4092:                             ;   in Loop: Header=BB2_4088 Depth=2
	ds_store_b32 v0, v12
	s_cbranch_execnz .LBB2_4487
; %bb.4093:                             ;   in Loop: Header=BB2_4088 Depth=2
	v_or_b32_e32 v64, 64, v64
	s_xor_b32 s24, exec_lo, -1
	s_branch .LBB2_4085
.LBB2_4094:                             ;   in Loop: Header=BB2_2103 Depth=1
	s_or_b32 exec_lo, exec_lo, s20
	v_and_b32_e32 v12, 4, v64
.LBB2_4095:                             ;   in Loop: Header=BB2_2103 Depth=1
	s_or_b32 exec_lo, exec_lo, s19
	s_delay_alu instid0(VALU_DEP_1)
	v_cmp_eq_u32_e32 vcc_lo, 0, v12
	;;#ASMSTART
	s_wakeup
	;;#ASMEND
	s_or_not1_b32 s19, vcc_lo, exec_lo
.LBB2_4096:                             ;   in Loop: Header=BB2_2103 Depth=1
	s_or_b32 exec_lo, exec_lo, s7
	s_xor_b32 s7, s19, -1
	s_delay_alu instid0(SALU_CYCLE_1)
	s_and_saveexec_b32 s19, s7
	s_cbranch_execz .LBB2_4106
; %bb.4097:                             ;   in Loop: Header=BB2_2103 Depth=1
	v_and_b32_e32 v10, 0x100, v64
	v_and_b32_e32 v15, 7, v8
	s_mov_b32 s7, -1
	s_delay_alu instid0(VALU_DEP_2)
	v_cmp_ne_u32_e32 vcc_lo, 0, v10
                                        ; implicit-def: $vgpr10_vgpr11
	s_and_saveexec_b32 s20, vcc_lo
	s_cbranch_execz .LBB2_4101
; %bb.4098:                             ;   in Loop: Header=BB2_2103 Depth=1
	v_mad_u64_u32 v[12:13], null, v15, 24, v[6:7]
	flat_load_b32 v10, v[12:13]
	s_waitcnt vmcnt(0) lgkmcnt(0)
	v_cmp_ne_u32_e32 vcc_lo, 1, v10
	v_cmp_eq_u32_e64 s7, 1, v10
                                        ; implicit-def: $vgpr10_vgpr11
	s_delay_alu instid0(VALU_DEP_1)
	s_and_saveexec_b32 s21, s7
	s_cbranch_execz .LBB2_4100
; %bb.4099:                             ;   in Loop: Header=BB2_2103 Depth=1
	flat_load_b32 v10, v[12:13] offset:4 glc
	s_waitcnt vmcnt(0) lgkmcnt(0)
	v_ashrrev_i32_e32 v11, 31, v10
.LBB2_4100:                             ;   in Loop: Header=BB2_2103 Depth=1
	s_or_b32 exec_lo, exec_lo, s21
	s_delay_alu instid0(SALU_CYCLE_1)
	s_or_not1_b32 s7, vcc_lo, exec_lo
.LBB2_4101:                             ;   in Loop: Header=BB2_2103 Depth=1
	s_or_b32 exec_lo, exec_lo, s20
	s_and_saveexec_b32 s20, s7
; %bb.4102:                             ;   in Loop: Header=BB2_2103 Depth=1
	v_mad_i64_i32 v[10:11], null, v15, v65, 0
; %bb.4103:                             ;   in Loop: Header=BB2_2103 Depth=1
	s_or_b32 exec_lo, exec_lo, s20
	s_delay_alu instid0(VALU_DEP_1) | instskip(SKIP_1) | instid1(VALU_DEP_3)
	v_add_co_u32 v10, vcc_lo, v24, v10
	v_and_b32_e32 v12, 0x2000, v64
	v_add_co_ci_u32_e32 v11, vcc_lo, v25, v11, vcc_lo
	s_mov_b32 s7, exec_lo
	ds_store_b64 v0, v[10:11] offset:728
	v_cmpx_ne_u32_e32 0, v12
	s_cbranch_execz .LBB2_4105
; %bb.4104:                             ;   in Loop: Header=BB2_2103 Depth=1
	ds_load_b64 v[10:11], v0 offset:584
	s_waitcnt lgkmcnt(0)
	v_add_co_u32 v10, vcc_lo, v10, 1
	v_add_co_ci_u32_e32 v11, vcc_lo, 0, v11, vcc_lo
	ds_store_b64 v0, v[10:11] offset:584
.LBB2_4105:                             ;   in Loop: Header=BB2_2103 Depth=1
	s_or_b32 exec_lo, exec_lo, s7
	v_add_co_u32 v8, vcc_lo, v8, 1
	v_add_co_ci_u32_e32 v9, vcc_lo, 0, v9, vcc_lo
.LBB2_4106:                             ;   in Loop: Header=BB2_2103 Depth=1
	s_or_b32 exec_lo, exec_lo, s19
	s_and_saveexec_b32 s7, s2
	s_cbranch_execz .LBB2_4128
; %bb.4107:                             ;   in Loop: Header=BB2_2103 Depth=1
	s_and_saveexec_b32 s19, s3
	s_delay_alu instid0(SALU_CYCLE_1)
	s_xor_b32 s19, exec_lo, s19
	s_cbranch_execz .LBB2_4125
; %bb.4108:                             ;   in Loop: Header=BB2_2103 Depth=1
	s_and_saveexec_b32 s20, s4
	s_cbranch_execz .LBB2_4124
; %bb.4109:                             ;   in Loop: Header=BB2_2103 Depth=1
	s_mov_b32 s22, exec_lo
	s_mov_b32 s21, exec_lo
	v_mbcnt_lo_u32_b32 v10, s22, 0
	s_waitcnt vmcnt(0) lgkmcnt(0)
	s_waitcnt_vscnt null, 0x0
	buffer_gl1_inv
	buffer_gl0_inv
	v_cmpx_eq_u32_e32 0, v10
	s_cbranch_execz .LBB2_4111
; %bb.4110:                             ;   in Loop: Header=BB2_2103 Depth=1
	s_bcnt1_i32_b32 s22, s22
	s_delay_alu instid0(SALU_CYCLE_1)
	v_mov_b32_e32 v34, s22
	ds_add_u64 v0, v[34:35]
	s_cbranch_execnz .LBB2_4503
.LBB2_4111:                             ;   in Loop: Header=BB2_2103 Depth=1
	s_or_b32 exec_lo, exec_lo, s21
	s_cbranch_execnz .LBB2_4489
; %bb.4112:                             ;   in Loop: Header=BB2_2103 Depth=1
	ds_load_b64 v[10:11], v0
	v_add_co_u32 v28, vcc_lo, v28, v54
	v_add_co_ci_u32_e32 v29, vcc_lo, 0, v29, vcc_lo
	s_mov_b32 s21, exec_lo
	s_waitcnt lgkmcnt(0)
	s_delay_alu instid0(VALU_DEP_1)
	v_cmpx_lt_u64_e64 v[10:11], v[28:29]
	s_cbranch_execz .LBB2_4123
; %bb.4113:                             ;   in Loop: Header=BB2_2103 Depth=1
	s_mov_b32 s22, 0
	s_mov_b32 s25, 0
                                        ; implicit-def: $sgpr23
                                        ; implicit-def: $sgpr24
	s_branch .LBB2_4115
.LBB2_4114:                             ;   in Loop: Header=BB2_4115 Depth=2
	s_or_b32 exec_lo, exec_lo, s28
	s_delay_alu instid0(SALU_CYCLE_1) | instskip(NEXT) | instid1(SALU_CYCLE_1)
	s_and_b32 s26, exec_lo, s27
	s_or_b32 s22, s26, s22
	s_and_not1_b32 s23, s23, exec_lo
	s_and_b32 s26, s24, exec_lo
	s_delay_alu instid0(SALU_CYCLE_1)
	s_or_b32 s23, s23, s26
	s_and_not1_b32 exec_lo, exec_lo, s22
	s_cbranch_execz .LBB2_4121
.LBB2_4115:                             ;   Parent Loop BB2_2103 Depth=1
                                        ; =>  This Inner Loop Header: Depth=2
	s_add_i32 s25, s25, 1
                                        ; implicit-def: $sgpr27
	s_delay_alu instid0(SALU_CYCLE_1) | instskip(SKIP_1) | instid1(SALU_CYCLE_1)
	s_cmpk_lg_i32 s25, 0x2710
	s_cselect_b32 s26, -1, 0
	s_and_b32 vcc_lo, exec_lo, s26
	s_cbranch_vccz .LBB2_4119
.LBB2_4116:                             ;   in Loop: Header=BB2_4115 Depth=2
	s_and_not1_b32 s24, s24, exec_lo
	s_and_b32 s28, s27, exec_lo
	s_mov_b32 s27, -1
	s_or_b32 s24, s24, s28
	s_and_saveexec_b32 s28, s26
	s_cbranch_execz .LBB2_4114
; %bb.4117:                             ;   in Loop: Header=BB2_4115 Depth=2
	s_sleep 1
	s_cbranch_execnz .LBB2_4539
; %bb.4118:                             ;   in Loop: Header=BB2_4115 Depth=2
	ds_load_b64 v[10:11], v0
	s_and_not1_b32 s24, s24, exec_lo
	s_waitcnt lgkmcnt(0)
	v_cmp_ge_u64_e32 vcc_lo, v[10:11], v[28:29]
	s_or_not1_b32 s27, vcc_lo, exec_lo
	s_branch .LBB2_4114
.LBB2_4119:                             ;   in Loop: Header=BB2_4115 Depth=2
	s_cbranch_execnz .LBB2_4557
; %bb.4120:                             ;   in Loop: Header=BB2_4115 Depth=2
	ds_load_b64 v[10:11], v0
	s_and_not1_b32 s26, s26, exec_lo
	s_mov_b32 s25, 0
	s_mov_b32 s27, -1
	s_waitcnt lgkmcnt(0)
	flat_load_b32 v10, v[10:11] glc
	s_waitcnt vmcnt(0) lgkmcnt(0)
	buffer_gl1_inv
	buffer_gl0_inv
	v_cmp_eq_u32_e32 vcc_lo, 0, v10
	s_and_b32 s28, vcc_lo, exec_lo
	s_delay_alu instid0(SALU_CYCLE_1)
	s_or_b32 s26, s26, s28
	s_branch .LBB2_4116
.LBB2_4121:                             ;   in Loop: Header=BB2_2103 Depth=1
	s_or_b32 exec_lo, exec_lo, s22
	s_and_saveexec_b32 s22, s23
	s_delay_alu instid0(SALU_CYCLE_1)
	s_xor_b32 s22, exec_lo, s22
	s_cbranch_execz .LBB2_4123
; %bb.4122:                             ;   in Loop: Header=BB2_2103 Depth=1
	ds_store_b32 v0, v84
	s_cbranch_execnz .LBB2_4617
.LBB2_4123:                             ;   in Loop: Header=BB2_2103 Depth=1
	s_or_b32 exec_lo, exec_lo, s21
	;;#ASMSTART
	s_wakeup
	;;#ASMEND
.LBB2_4124:                             ;   in Loop: Header=BB2_2103 Depth=1
	s_or_b32 exec_lo, exec_lo, s20
.LBB2_4125:                             ;   in Loop: Header=BB2_2103 Depth=1
	s_and_not1_saveexec_b32 s19, s19
	s_cbranch_execz .LBB2_4127
; %bb.4126:                             ;   in Loop: Header=BB2_2103 Depth=1
	s_waitcnt vmcnt(0) lgkmcnt(0)
	s_waitcnt_vscnt null, 0x0
	buffer_gl1_inv
	buffer_gl0_inv
	s_barrier
.LBB2_4127:                             ;   in Loop: Header=BB2_2103 Depth=1
	s_or_b32 exec_lo, exec_lo, s19
.LBB2_4128:                             ;   in Loop: Header=BB2_2103 Depth=1
	s_delay_alu instid0(SALU_CYCLE_1)
	s_or_b32 exec_lo, exec_lo, s7
	s_cbranch_execnz .LBB2_4424
; %bb.4129:                             ;   in Loop: Header=BB2_2103 Depth=1
	ds_load_b32 v10, v0
	v_sub_nc_u32_e32 v11, v38, v14
	s_delay_alu instid0(VALU_DEP_1) | instskip(NEXT) | instid1(VALU_DEP_1)
	v_min_i32_e32 v11, v39, v11
	v_cmp_lt_i32_e32 vcc_lo, 0, v11
	s_waitcnt lgkmcnt(0)
	v_readfirstlane_b32 s7, v10
	v_and_b32_e32 v10, 16, v64
	s_delay_alu instid0(VALU_DEP_2) | instskip(NEXT) | instid1(VALU_DEP_1)
	s_cmp_eq_u32 s7, 0
	v_cmp_ne_u32_e64 s7, 0, v10
	s_cselect_b32 s19, -1, 0
	s_delay_alu instid0(SALU_CYCLE_1)
	s_and_b32 s19, vcc_lo, s19
	s_delay_alu instid0(VALU_DEP_1) | instid1(SALU_CYCLE_1)
	s_and_b32 s19, s7, s19
	s_delay_alu instid0(SALU_CYCLE_1)
	s_and_saveexec_b32 s7, s19
	s_cbranch_execz .LBB2_4131
; %bb.4130:                             ;   in Loop: Header=BB2_2103 Depth=1
	s_waitcnt vmcnt(0)
	s_waitcnt_vscnt null, 0x0
	buffer_gl1_inv
	buffer_gl0_inv
.LBB2_4131:                             ;   in Loop: Header=BB2_2103 Depth=1
	s_or_b32 exec_lo, exec_lo, s7
	v_and_b32_e32 v10, 32, v64
	s_mov_b32 s7, exec_lo
	s_delay_alu instid0(VALU_DEP_1)
	v_cmpx_ne_u32_e32 0, v10
	s_cbranch_execz .LBB2_4133
; %bb.4132:                             ;   in Loop: Header=BB2_2103 Depth=1
	v_add_co_u32 v8, vcc_lo, v8, 1
	v_add_co_ci_u32_e32 v9, vcc_lo, 0, v9, vcc_lo
	s_waitcnt vmcnt(0)
	s_waitcnt_vscnt null, 0x0
	flat_store_b64 v[22:23], v[8:9]
.LBB2_4133:                             ;   in Loop: Header=BB2_2103 Depth=1
	s_or_b32 exec_lo, exec_lo, s7
.LBB2_4134:                             ;   in Loop: Header=BB2_2103 Depth=1
	s_delay_alu instid0(SALU_CYCLE_1) | instskip(SKIP_2) | instid1(VALU_DEP_1)
	s_or_b32 exec_lo, exec_lo, s10
	v_add_co_u32 v36, vcc_lo, v36, v32
	v_add_co_ci_u32_e32 v37, vcc_lo, 0, v37, vcc_lo
	v_cmp_ge_u64_e32 vcc_lo, v[36:37], v[4:5]
	s_or_b32 s16, vcc_lo, s16
	s_delay_alu instid0(SALU_CYCLE_1)
	s_and_not1_b32 exec_lo, exec_lo, s16
	s_cbranch_execnz .LBB2_2103
; %bb.4135:
	s_or_b32 exec_lo, exec_lo, s16
.LBB2_4136:
	s_delay_alu instid0(SALU_CYCLE_1)
	s_or_b32 exec_lo, exec_lo, s12
.LBB2_4137:
	s_delay_alu instid0(SALU_CYCLE_1)
	s_or_b32 exec_lo, exec_lo, s11
                                        ; implicit-def: $vgpr18_vgpr19
                                        ; implicit-def: $vgpr4_vgpr5
                                        ; implicit-def: $vgpr34_vgpr35
                                        ; implicit-def: $vgpr65
                                        ; implicit-def: $vgpr26_vgpr27
                                        ; implicit-def: $vgpr24_vgpr25
                                        ; implicit-def: $vgpr22_vgpr23
                                        ; implicit-def: $vgpr0
                                        ; implicit-def: $vgpr17
                                        ; implicit-def: $vgpr32_vgpr33
.LBB2_4138:
	s_and_not1_saveexec_b32 s12, s15
	s_cbranch_execz .LBB2_4336
; %bb.4139:
	v_mov_b32_e32 v28, 0
	v_mov_b32_e32 v29, 0
	s_mov_b32 s15, exec_lo
	v_cmpx_ne_u64_e32 0, v[4:5]
	s_cbranch_execz .LBB2_4335
; %bb.4140:
	v_cmp_ge_i32_e64 s1, v0, v1
	s_cbranch_execnz .LBB2_4365
; %bb.4141:
	v_ashrrev_i32_e32 v10, 31, v0
	v_lshrrev_b32_e32 v48, 5, v1
	v_and_b32_e32 v12, 31, v31
	s_ashr_i32 s4, s14, 31
	v_and_b32_e32 v66, 0xffffffe0, v1
	v_lshrrev_b32_e32 v10, 27, v10
	v_lshlrev_b32_e32 v50, 9, v48
	v_lshl_add_u32 v16, v48, 8, 0xffffff00
	s_lshr_b32 s4, s4, 24
	v_cmp_eq_u32_e32 vcc_lo, 32, v1
	v_dual_mov_b32 v11, 0 :: v_dual_add_nc_u32 v10, v0, v10
	v_add_nc_u32_e32 v15, 0xfffffe00, v50
	s_add_i32 s14, s14, s4
	v_cmp_ne_u32_e64 s2, 32, v1
	s_delay_alu instid0(VALU_DEP_3)
	v_and_b32_e32 v13, 0xffffffe0, v10
	s_waitcnt vmcnt(0) lgkmcnt(1)
	v_ashrrev_i32_e32 v49, 5, v10
	v_lshl_add_u32 v10, v48, 10, 0xfffffc00
	v_add_co_u32 v54, s7, 0x200, v15
	v_cmp_ne_u32_e64 s3, v30, v1
	v_ashrrev_i32_e32 v69, 31, v66
	s_delay_alu instid0(VALU_DEP_4) | instskip(SKIP_3) | instid1(VALU_DEP_4)
	v_ashrrev_i32_e32 v14, 31, v10
	v_add_co_u32 v52, s5, 0x400, v10
	v_ashrrev_i32_e32 v10, 31, v15
	v_mov_b32_e32 v70, 1
	v_add_co_ci_u32_e64 v53, s5, 0, v14, s5
	v_mov_b32_e32 v14, 0
	v_sub_nc_u32_e32 v51, v0, v13
	v_lshlrev_b32_e32 v13, 10, v49
	v_add_co_ci_u32_e64 v55, s7, 0, v10, s7
	v_ashrrev_i32_e32 v10, 31, v16
	v_mov_b32_e32 v15, 0
	v_cmp_eq_u32_e64 s4, 0, v12
	v_lshl_add_u32 v12, v51, 4, v13
	v_add_co_u32 v67, s7, 0x100, v16
	s_delay_alu instid0(VALU_DEP_1)
	v_add_co_ci_u32_e64 v68, s7, 0, v10, s7
	v_cmp_ne_u64_e64 s7, 0, v[34:35]
	v_mov_b32_e32 v29, v15
	v_cmp_gt_i32_e64 s5, 1, v51
	v_cmp_lt_i32_e64 s6, v51, v17
	v_ashrrev_i32_e32 v13, 31, v12
	v_mov_b32_e32 v28, v14
	s_ashr_i32 s16, s14, 8
	s_mov_b32 s14, 0
	s_xor_b32 s17, vcc_lo, -1
.LBB2_4142:                             ; =>This Loop Header: Depth=1
                                        ;     Child Loop BB2_4152 Depth 2
                                        ;     Child Loop BB2_4179 Depth 2
	;; [unrolled: 1-line block ×10, first 2 shown]
	v_sub_co_u32 v16, vcc_lo, v4, v14
	v_sub_co_ci_u32_e32 v17, vcc_lo, v5, v15, vcc_lo
	s_delay_alu instid0(VALU_DEP_1) | instskip(SKIP_2) | instid1(VALU_DEP_1)
	v_cmp_lt_u64_e32 vcc_lo, v[32:33], v[16:17]
	v_cndmask_b32_e64 v17, v17, 0, vcc_lo
	v_cndmask_b32_e32 v16, v16, v32, vcc_lo
	v_cmp_eq_u64_e32 vcc_lo, 0, v[16:17]
	v_dual_mov_b32 v17, 0 :: v_dual_add_nc_u32 v10, 15, v16
	s_or_b32 s18, s1, vcc_lo
	s_delay_alu instid0(VALU_DEP_1) | instskip(SKIP_1) | instid1(VALU_DEP_1)
	v_and_b32_e32 v10, 0x7ffffff0, v10
	s_xor_b32 s10, s18, -1
	v_max_i32_e32 v10, s16, v10
	s_and_saveexec_b32 s19, s10
	s_cbranch_execz .LBB2_4278
; %bb.4143:                             ;   in Loop: Header=BB2_4142 Depth=1
	s_and_saveexec_b32 s10, s0
	s_cbranch_execz .LBB2_4146
; %bb.4144:                             ;   in Loop: Header=BB2_4142 Depth=1
	s_cbranch_execnz .LBB2_4406
; %bb.4145:                             ;   in Loop: Header=BB2_4142 Depth=1
	ds_load_b64 v[36:37], v0
	s_waitcnt lgkmcnt(0)
	v_add_co_u32 v17, vcc_lo, v36, v18
	v_add_co_ci_u32_e32 v37, vcc_lo, v37, v19, vcc_lo
	v_mov_b32_e32 v36, v11
	s_delay_alu instid0(VALU_DEP_3) | instskip(NEXT) | instid1(VALU_DEP_3)
	v_add_co_u32 v38, vcc_lo, v17, v14
	v_add_co_ci_u32_e32 v39, vcc_lo, v37, v15, vcc_lo
	v_mov_b32_e32 v37, v11
	ds_store_b64 v0, v[38:39]
	ds_store_b64 v0, v[36:37]
.LBB2_4146:                             ;   in Loop: Header=BB2_4142 Depth=1
	s_or_b32 exec_lo, exec_lo, s10
	v_and_b32_e32 v17, 8, v64
	s_mov_b32 s11, -1
	s_mov_b32 s10, exec_lo
	s_delay_alu instid0(VALU_DEP_1)
	v_cmpx_ne_u32_e32 0, v17
	s_cbranch_execz .LBB2_4160
; %bb.4147:                             ;   in Loop: Header=BB2_4142 Depth=1
	v_add_co_u32 v38, vcc_lo, v26, 8
	v_add_co_ci_u32_e32 v39, vcc_lo, 0, v27, vcc_lo
	v_add_co_u32 v36, vcc_lo, v8, 1
	v_add_co_ci_u32_e32 v37, vcc_lo, 0, v9, vcc_lo
	v_mov_b32_e32 v17, 1
	s_mov_b32 s11, exec_lo
	s_delay_alu instid0(VALU_DEP_2)
	v_cmpx_lt_u64_e64 v[38:39], v[36:37]
	s_cbranch_execz .LBB2_4159
; %bb.4148:                             ;   in Loop: Header=BB2_4142 Depth=1
	v_mov_b32_e32 v17, 0
	s_mov_b32 s20, 0
                                        ; implicit-def: $sgpr21
	s_branch .LBB2_4152
.LBB2_4149:                             ;   in Loop: Header=BB2_4152 Depth=2
	s_or_b32 exec_lo, exec_lo, s25
	v_mov_b32_e32 v38, 0
	s_or_not1_b32 s24, s24, exec_lo
.LBB2_4150:                             ;   in Loop: Header=BB2_4152 Depth=2
	s_or_b32 exec_lo, exec_lo, s23
	s_delay_alu instid0(VALU_DEP_1) | instskip(SKIP_2) | instid1(SALU_CYCLE_1)
	v_mov_b32_e32 v17, v38
	s_and_not1_b32 s21, s21, exec_lo
	s_and_b32 s23, s24, exec_lo
	s_or_b32 s21, s21, s23
.LBB2_4151:                             ;   in Loop: Header=BB2_4152 Depth=2
	s_or_b32 exec_lo, exec_lo, s22
	s_waitcnt vmcnt(0) lgkmcnt(0)
	v_add_co_u32 v38, vcc_lo, v26, 8
	v_add_co_ci_u32_e32 v39, vcc_lo, 0, v27, vcc_lo
	s_xor_b32 s22, s21, -1
	s_delay_alu instid0(VALU_DEP_1) | instskip(SKIP_1) | instid1(SALU_CYCLE_1)
	v_cmp_ge_u64_e32 vcc_lo, v[38:39], v[36:37]
	s_or_b32 s22, s22, vcc_lo
	s_and_b32 s22, exec_lo, s22
	s_delay_alu instid0(SALU_CYCLE_1) | instskip(NEXT) | instid1(SALU_CYCLE_1)
	s_or_b32 s20, s22, s20
	s_and_not1_b32 exec_lo, exec_lo, s20
	s_cbranch_execz .LBB2_4158
.LBB2_4152:                             ;   Parent Loop BB2_4142 Depth=1
                                        ; =>  This Inner Loop Header: Depth=2
	s_sleep 1
	flat_load_b64 v[26:27], v[22:23] glc
	v_and_b32_e32 v38, 64, v64
	s_and_not1_b32 s21, s21, exec_lo
	s_mov_b32 s22, exec_lo
	s_delay_alu instid0(VALU_DEP_1)
	v_cmpx_eq_u32_e32 0, v38
	s_cbranch_execz .LBB2_4151
; %bb.4153:                             ;   in Loop: Header=BB2_4152 Depth=2
	v_add_nc_u32_e32 v38, 1, v17
	s_mov_b32 s24, -1
	s_mov_b32 s23, exec_lo
	v_cmpx_lt_i32_e32 0x270e, v17
	s_cbranch_execz .LBB2_4150
; %bb.4154:                             ;   in Loop: Header=BB2_4152 Depth=2
	s_cbranch_execnz .LBB2_4412
; %bb.4155:                             ;   in Loop: Header=BB2_4152 Depth=2
	ds_load_b64 v[38:39], v0
	s_mov_b32 s25, exec_lo
	s_waitcnt vmcnt(0) lgkmcnt(0)
	s_waitcnt_vscnt null, 0x0
	flat_load_b32 v17, v[38:39] glc
	s_waitcnt vmcnt(0) lgkmcnt(0)
	buffer_gl1_inv
	buffer_gl0_inv
	v_cmpx_ne_u32_e32 0, v17
	s_cbranch_execz .LBB2_4149
; %bb.4156:                             ;   in Loop: Header=BB2_4152 Depth=2
	ds_store_b32 v0, v17
	s_cbranch_execnz .LBB2_4455
; %bb.4157:                             ;   in Loop: Header=BB2_4152 Depth=2
	v_or_b32_e32 v64, 64, v64
	s_xor_b32 s24, exec_lo, -1
	s_branch .LBB2_4149
.LBB2_4158:                             ;   in Loop: Header=BB2_4142 Depth=1
	s_or_b32 exec_lo, exec_lo, s20
	v_and_b32_e32 v17, 8, v64
.LBB2_4159:                             ;   in Loop: Header=BB2_4142 Depth=1
	s_or_b32 exec_lo, exec_lo, s11
	s_delay_alu instid0(VALU_DEP_1)
	v_cmp_eq_u32_e32 vcc_lo, 0, v17
	;;#ASMSTART
	s_wakeup
	;;#ASMEND
	s_or_not1_b32 s11, vcc_lo, exec_lo
.LBB2_4160:                             ;   in Loop: Header=BB2_4142 Depth=1
	s_or_b32 exec_lo, exec_lo, s10
	v_min_u32_e32 v10, v10, v16
	s_xor_b32 s10, s11, -1
	s_delay_alu instid0(SALU_CYCLE_1)
	s_and_saveexec_b32 s11, s10
	s_cbranch_execz .LBB2_4170
; %bb.4161:                             ;   in Loop: Header=BB2_4142 Depth=1
	v_and_b32_e32 v17, 0x100, v64
	s_mov_b32 s10, -1
                                        ; implicit-def: $vgpr36_vgpr37
	s_delay_alu instid0(VALU_DEP_1)
	v_cmp_ne_u32_e32 vcc_lo, 0, v17
	v_and_b32_e32 v17, 7, v8
	s_and_saveexec_b32 s20, vcc_lo
	s_cbranch_execz .LBB2_4165
; %bb.4162:                             ;   in Loop: Header=BB2_4142 Depth=1
	s_delay_alu instid0(VALU_DEP_1)
	v_mad_u64_u32 v[38:39], null, v17, 24, v[6:7]
	flat_load_b32 v36, v[38:39]
	flat_store_b64 v[38:39], v[10:11] offset:8
	s_waitcnt vmcnt(0) lgkmcnt(1)
	v_cmp_ne_u32_e32 vcc_lo, 1, v36
	v_cmp_eq_u32_e64 s10, 1, v36
                                        ; implicit-def: $vgpr36_vgpr37
	s_delay_alu instid0(VALU_DEP_1)
	s_and_saveexec_b32 s21, s10
	s_cbranch_execz .LBB2_4164
; %bb.4163:                             ;   in Loop: Header=BB2_4142 Depth=1
	flat_load_b32 v36, v[38:39] offset:4 glc
	s_waitcnt vmcnt(0) lgkmcnt(0)
	v_ashrrev_i32_e32 v37, 31, v36
.LBB2_4164:                             ;   in Loop: Header=BB2_4142 Depth=1
	s_or_b32 exec_lo, exec_lo, s21
	s_delay_alu instid0(SALU_CYCLE_1)
	s_or_not1_b32 s10, vcc_lo, exec_lo
.LBB2_4165:                             ;   in Loop: Header=BB2_4142 Depth=1
	s_or_b32 exec_lo, exec_lo, s20
	s_and_saveexec_b32 s20, s10
; %bb.4166:                             ;   in Loop: Header=BB2_4142 Depth=1
	v_mad_i64_i32 v[36:37], null, v17, v65, 0
; %bb.4167:                             ;   in Loop: Header=BB2_4142 Depth=1
	s_or_b32 exec_lo, exec_lo, s20
	s_delay_alu instid0(VALU_DEP_1) | instskip(SKIP_1) | instid1(VALU_DEP_3)
	v_add_co_u32 v36, vcc_lo, v24, v36
	v_and_b32_e32 v17, 0x2000, v64
	v_add_co_ci_u32_e32 v37, vcc_lo, v25, v37, vcc_lo
	s_mov_b32 s10, exec_lo
	ds_store_b64 v0, v[36:37] offset:784
	v_cmpx_ne_u32_e32 0, v17
	s_cbranch_execz .LBB2_4169
; %bb.4168:                             ;   in Loop: Header=BB2_4142 Depth=1
	ds_load_b64 v[36:37], v0 offset:584
	s_waitcnt lgkmcnt(0)
	v_add_co_u32 v36, vcc_lo, v36, 1
	v_add_co_ci_u32_e32 v37, vcc_lo, 0, v37, vcc_lo
	ds_store_b64 v0, v[36:37] offset:584
.LBB2_4169:                             ;   in Loop: Header=BB2_4142 Depth=1
	s_or_b32 exec_lo, exec_lo, s10
	v_add_co_u32 v8, vcc_lo, v8, 1
	v_add_co_ci_u32_e32 v9, vcc_lo, 0, v9, vcc_lo
.LBB2_4170:                             ;   in Loop: Header=BB2_4142 Depth=1
	s_or_b32 exec_lo, exec_lo, s11
	s_and_saveexec_b32 s10, s2
	s_cbranch_execz .LBB2_4192
; %bb.4171:                             ;   in Loop: Header=BB2_4142 Depth=1
	s_and_saveexec_b32 s11, s3
	s_delay_alu instid0(SALU_CYCLE_1)
	s_xor_b32 s11, exec_lo, s11
	s_cbranch_execz .LBB2_4189
; %bb.4172:                             ;   in Loop: Header=BB2_4142 Depth=1
	s_and_saveexec_b32 s20, s4
	s_cbranch_execz .LBB2_4188
; %bb.4173:                             ;   in Loop: Header=BB2_4142 Depth=1
	s_mov_b32 s22, exec_lo
	s_mov_b32 s21, exec_lo
	v_mbcnt_lo_u32_b32 v17, s22, 0
	s_waitcnt lgkmcnt(0)
	s_waitcnt_vscnt null, 0x0
	buffer_gl1_inv
	buffer_gl0_inv
	v_cmpx_eq_u32_e32 0, v17
	s_cbranch_execz .LBB2_4175
; %bb.4174:                             ;   in Loop: Header=BB2_4142 Depth=1
	s_bcnt1_i32_b32 s22, s22
	s_delay_alu instid0(SALU_CYCLE_1)
	v_dual_mov_b32 v37, v11 :: v_dual_mov_b32 v36, s22
	ds_add_u64 v0, v[36:37]
	s_cbranch_execnz .LBB2_4467
.LBB2_4175:                             ;   in Loop: Header=BB2_4142 Depth=1
	s_or_b32 exec_lo, exec_lo, s21
	s_cbranch_execnz .LBB2_4457
; %bb.4176:                             ;   in Loop: Header=BB2_4142 Depth=1
	ds_load_b64 v[36:37], v0
	v_add_co_u32 v28, vcc_lo, v28, v48
	v_add_co_ci_u32_e32 v29, vcc_lo, 0, v29, vcc_lo
	s_mov_b32 s21, exec_lo
	s_waitcnt lgkmcnt(0)
	s_delay_alu instid0(VALU_DEP_1)
	v_cmpx_lt_u64_e64 v[36:37], v[28:29]
	s_cbranch_execz .LBB2_4187
; %bb.4177:                             ;   in Loop: Header=BB2_4142 Depth=1
	s_mov_b32 s22, 0
	s_mov_b32 s25, 0
                                        ; implicit-def: $sgpr23
                                        ; implicit-def: $sgpr24
	s_branch .LBB2_4179
.LBB2_4178:                             ;   in Loop: Header=BB2_4179 Depth=2
	s_or_b32 exec_lo, exec_lo, s28
	s_delay_alu instid0(SALU_CYCLE_1) | instskip(NEXT) | instid1(SALU_CYCLE_1)
	s_and_b32 s26, exec_lo, s27
	s_or_b32 s22, s26, s22
	s_and_not1_b32 s23, s23, exec_lo
	s_and_b32 s26, s24, exec_lo
	s_delay_alu instid0(SALU_CYCLE_1)
	s_or_b32 s23, s23, s26
	s_and_not1_b32 exec_lo, exec_lo, s22
	s_cbranch_execz .LBB2_4185
.LBB2_4179:                             ;   Parent Loop BB2_4142 Depth=1
                                        ; =>  This Inner Loop Header: Depth=2
	s_add_i32 s25, s25, 1
                                        ; implicit-def: $sgpr27
	s_delay_alu instid0(SALU_CYCLE_1) | instskip(SKIP_1) | instid1(SALU_CYCLE_1)
	s_cmpk_lg_i32 s25, 0x2710
	s_cselect_b32 s26, -1, 0
	s_and_b32 vcc_lo, exec_lo, s26
	s_cbranch_vccz .LBB2_4183
.LBB2_4180:                             ;   in Loop: Header=BB2_4179 Depth=2
	s_and_not1_b32 s24, s24, exec_lo
	s_and_b32 s28, s27, exec_lo
	s_mov_b32 s27, -1
	s_or_b32 s24, s24, s28
	s_and_saveexec_b32 s28, s26
	s_cbranch_execz .LBB2_4178
; %bb.4181:                             ;   in Loop: Header=BB2_4179 Depth=2
	s_sleep 1
	s_cbranch_execnz .LBB2_4499
; %bb.4182:                             ;   in Loop: Header=BB2_4179 Depth=2
	ds_load_b64 v[36:37], v0
	s_and_not1_b32 s24, s24, exec_lo
	s_waitcnt lgkmcnt(0)
	v_cmp_ge_u64_e32 vcc_lo, v[36:37], v[28:29]
	s_or_not1_b32 s27, vcc_lo, exec_lo
	s_branch .LBB2_4178
.LBB2_4183:                             ;   in Loop: Header=BB2_4179 Depth=2
	s_cbranch_execnz .LBB2_4509
; %bb.4184:                             ;   in Loop: Header=BB2_4179 Depth=2
	ds_load_b64 v[36:37], v0
	s_and_not1_b32 s26, s26, exec_lo
	s_mov_b32 s25, 0
	s_mov_b32 s27, -1
	s_waitcnt lgkmcnt(0)
	flat_load_b32 v17, v[36:37] glc
	s_waitcnt vmcnt(0) lgkmcnt(0)
	buffer_gl1_inv
	buffer_gl0_inv
	v_cmp_eq_u32_e32 vcc_lo, 0, v17
	s_and_b32 s28, vcc_lo, exec_lo
	s_delay_alu instid0(SALU_CYCLE_1)
	s_or_b32 s26, s26, s28
	s_branch .LBB2_4180
.LBB2_4185:                             ;   in Loop: Header=BB2_4142 Depth=1
	s_or_b32 exec_lo, exec_lo, s22
	s_and_saveexec_b32 s22, s23
	s_delay_alu instid0(SALU_CYCLE_1)
	s_xor_b32 s22, exec_lo, s22
	s_cbranch_execz .LBB2_4187
; %bb.4186:                             ;   in Loop: Header=BB2_4142 Depth=1
	ds_store_b32 v0, v70
	s_cbranch_execnz .LBB2_4607
.LBB2_4187:                             ;   in Loop: Header=BB2_4142 Depth=1
	s_or_b32 exec_lo, exec_lo, s21
	;;#ASMSTART
	s_wakeup
	;;#ASMEND
.LBB2_4188:                             ;   in Loop: Header=BB2_4142 Depth=1
	s_or_b32 exec_lo, exec_lo, s20
.LBB2_4189:                             ;   in Loop: Header=BB2_4142 Depth=1
	s_and_not1_saveexec_b32 s11, s11
	s_cbranch_execz .LBB2_4191
; %bb.4190:                             ;   in Loop: Header=BB2_4142 Depth=1
	s_waitcnt lgkmcnt(0)
	s_waitcnt_vscnt null, 0x0
	buffer_gl1_inv
	buffer_gl0_inv
	s_barrier
.LBB2_4191:                             ;   in Loop: Header=BB2_4142 Depth=1
	s_or_b32 exec_lo, exec_lo, s11
.LBB2_4192:                             ;   in Loop: Header=BB2_4142 Depth=1
	s_delay_alu instid0(SALU_CYCLE_1)
	s_or_b32 exec_lo, exec_lo, s10
	s_cbranch_execnz .LBB2_4404
; %bb.4193:                             ;   in Loop: Header=BB2_4142 Depth=1
	ds_load_b32 v17, v0
	v_and_b32_e32 v36, 0x4000, v64
	s_delay_alu instid0(VALU_DEP_1) | instskip(SKIP_1) | instid1(SALU_CYCLE_1)
	v_cmp_ne_u32_e32 vcc_lo, 0, v36
	s_and_b32 s11, s17, vcc_lo
	s_and_saveexec_b32 s10, s11
	s_cbranch_execz .LBB2_4215
; %bb.4194:                             ;   in Loop: Header=BB2_4142 Depth=1
	s_and_saveexec_b32 s11, s3
	s_delay_alu instid0(SALU_CYCLE_1)
	s_xor_b32 s11, exec_lo, s11
	s_cbranch_execz .LBB2_4212
; %bb.4195:                             ;   in Loop: Header=BB2_4142 Depth=1
	s_and_saveexec_b32 s20, s4
	s_cbranch_execz .LBB2_4211
; %bb.4196:                             ;   in Loop: Header=BB2_4142 Depth=1
	s_mov_b32 s22, exec_lo
	s_mov_b32 s21, exec_lo
	v_mbcnt_lo_u32_b32 v36, s22, 0
	s_waitcnt lgkmcnt(0)
	s_waitcnt_vscnt null, 0x0
	buffer_gl1_inv
	buffer_gl0_inv
	v_cmpx_eq_u32_e32 0, v36
	s_cbranch_execz .LBB2_4198
; %bb.4197:                             ;   in Loop: Header=BB2_4142 Depth=1
	s_bcnt1_i32_b32 s22, s22
	s_delay_alu instid0(SALU_CYCLE_1)
	v_dual_mov_b32 v37, v11 :: v_dual_mov_b32 v36, s22
	ds_add_u64 v0, v[36:37]
	s_cbranch_execnz .LBB2_4497
.LBB2_4198:                             ;   in Loop: Header=BB2_4142 Depth=1
	s_or_b32 exec_lo, exec_lo, s21
	s_cbranch_execnz .LBB2_4485
; %bb.4199:                             ;   in Loop: Header=BB2_4142 Depth=1
	ds_load_b64 v[36:37], v0
	v_add_co_u32 v28, vcc_lo, v28, v48
	v_add_co_ci_u32_e32 v29, vcc_lo, 0, v29, vcc_lo
	s_mov_b32 s21, exec_lo
	s_waitcnt lgkmcnt(0)
	s_delay_alu instid0(VALU_DEP_1)
	v_cmpx_lt_u64_e64 v[36:37], v[28:29]
	s_cbranch_execz .LBB2_4210
; %bb.4200:                             ;   in Loop: Header=BB2_4142 Depth=1
	s_mov_b32 s22, 0
	s_mov_b32 s25, 0
                                        ; implicit-def: $sgpr23
                                        ; implicit-def: $sgpr24
	s_branch .LBB2_4202
.LBB2_4201:                             ;   in Loop: Header=BB2_4202 Depth=2
	s_or_b32 exec_lo, exec_lo, s28
	s_delay_alu instid0(SALU_CYCLE_1) | instskip(NEXT) | instid1(SALU_CYCLE_1)
	s_and_b32 s26, exec_lo, s27
	s_or_b32 s22, s26, s22
	s_and_not1_b32 s23, s23, exec_lo
	s_and_b32 s26, s24, exec_lo
	s_delay_alu instid0(SALU_CYCLE_1)
	s_or_b32 s23, s23, s26
	s_and_not1_b32 exec_lo, exec_lo, s22
	s_cbranch_execz .LBB2_4208
.LBB2_4202:                             ;   Parent Loop BB2_4142 Depth=1
                                        ; =>  This Inner Loop Header: Depth=2
	s_add_i32 s25, s25, 1
                                        ; implicit-def: $sgpr27
	s_delay_alu instid0(SALU_CYCLE_1) | instskip(SKIP_1) | instid1(SALU_CYCLE_1)
	s_cmpk_lg_i32 s25, 0x2710
	s_cselect_b32 s26, -1, 0
	s_and_b32 vcc_lo, exec_lo, s26
	s_cbranch_vccz .LBB2_4206
.LBB2_4203:                             ;   in Loop: Header=BB2_4202 Depth=2
	s_and_not1_b32 s24, s24, exec_lo
	s_and_b32 s28, s27, exec_lo
	s_mov_b32 s27, -1
	s_or_b32 s24, s24, s28
	s_and_saveexec_b32 s28, s26
	s_cbranch_execz .LBB2_4201
; %bb.4204:                             ;   in Loop: Header=BB2_4202 Depth=2
	s_sleep 1
	s_cbranch_execnz .LBB2_4529
; %bb.4205:                             ;   in Loop: Header=BB2_4202 Depth=2
	ds_load_b64 v[36:37], v0
	s_and_not1_b32 s24, s24, exec_lo
	s_waitcnt lgkmcnt(0)
	v_cmp_ge_u64_e32 vcc_lo, v[36:37], v[28:29]
	s_or_not1_b32 s27, vcc_lo, exec_lo
	s_branch .LBB2_4201
.LBB2_4206:                             ;   in Loop: Header=BB2_4202 Depth=2
	s_cbranch_execnz .LBB2_4537
; %bb.4207:                             ;   in Loop: Header=BB2_4202 Depth=2
	ds_load_b64 v[36:37], v0
	s_and_not1_b32 s26, s26, exec_lo
	s_mov_b32 s25, 0
	s_mov_b32 s27, -1
	s_waitcnt lgkmcnt(0)
	flat_load_b32 v36, v[36:37] glc
	s_waitcnt vmcnt(0) lgkmcnt(0)
	buffer_gl1_inv
	buffer_gl0_inv
	v_cmp_eq_u32_e32 vcc_lo, 0, v36
	s_and_b32 s28, vcc_lo, exec_lo
	s_delay_alu instid0(SALU_CYCLE_1)
	s_or_b32 s26, s26, s28
	s_branch .LBB2_4203
.LBB2_4208:                             ;   in Loop: Header=BB2_4142 Depth=1
	s_or_b32 exec_lo, exec_lo, s22
	s_and_saveexec_b32 s22, s23
	s_delay_alu instid0(SALU_CYCLE_1)
	s_xor_b32 s22, exec_lo, s22
	s_cbranch_execz .LBB2_4210
; %bb.4209:                             ;   in Loop: Header=BB2_4142 Depth=1
	ds_store_b32 v0, v70
	s_cbranch_execnz .LBB2_4615
.LBB2_4210:                             ;   in Loop: Header=BB2_4142 Depth=1
	s_or_b32 exec_lo, exec_lo, s21
	;;#ASMSTART
	s_wakeup
	;;#ASMEND
.LBB2_4211:                             ;   in Loop: Header=BB2_4142 Depth=1
	s_or_b32 exec_lo, exec_lo, s20
.LBB2_4212:                             ;   in Loop: Header=BB2_4142 Depth=1
	s_and_not1_saveexec_b32 s11, s11
	s_cbranch_execz .LBB2_4214
; %bb.4213:                             ;   in Loop: Header=BB2_4142 Depth=1
	s_waitcnt lgkmcnt(0)
	s_waitcnt_vscnt null, 0x0
	buffer_gl1_inv
	buffer_gl0_inv
	s_barrier
.LBB2_4214:                             ;   in Loop: Header=BB2_4142 Depth=1
	s_or_b32 exec_lo, exec_lo, s11
.LBB2_4215:                             ;   in Loop: Header=BB2_4142 Depth=1
	s_delay_alu instid0(SALU_CYCLE_1)
	s_or_b32 exec_lo, exec_lo, s10
	s_cbranch_execnz .LBB2_4418
; %bb.4216:                             ;   in Loop: Header=BB2_4142 Depth=1
	ds_load_b64 v[36:37], v0
	s_waitcnt lgkmcnt(0)
	v_cmp_eq_u64_e32 vcc_lo, 0, v[36:37]
	s_or_b32 s10, vcc_lo, vcc_lo
	s_delay_alu instid0(SALU_CYCLE_1)
	s_and_b32 vcc_lo, exec_lo, s10
	s_mov_b32 s10, 0
	s_cbranch_vccnz .LBB2_4249
; %bb.4217:                             ;   in Loop: Header=BB2_4142 Depth=1
	s_mov_b32 s10, -1
	s_and_saveexec_b32 s11, s5
	s_cbranch_execz .LBB2_4219
; %bb.4218:                             ;   in Loop: Header=BB2_4142 Depth=1
	ds_load_b32 v36, v0 offset:720
	s_waitcnt lgkmcnt(0)
	v_and_b32_e32 v36, 15, v36
	s_delay_alu instid0(VALU_DEP_1)
	v_cmp_eq_u32_e32 vcc_lo, 0, v36
	s_or_not1_b32 s10, vcc_lo, exec_lo
.LBB2_4219:                             ;   in Loop: Header=BB2_4142 Depth=1
	s_or_b32 exec_lo, exec_lo, s11
	s_and_saveexec_b32 s11, s6
	s_cbranch_execz .LBB2_4221
; %bb.4220:                             ;   in Loop: Header=BB2_4142 Depth=1
	ds_load_b32 v36, v0 offset:784
	s_waitcnt lgkmcnt(0)
	v_and_b32_e32 v36, 15, v36
	s_delay_alu instid0(VALU_DEP_1) | instskip(SKIP_3) | instid1(SALU_CYCLE_1)
	v_cmp_eq_u32_e32 vcc_lo, 0, v36
	s_and_b32 s20, s10, vcc_lo
	s_and_not1_b32 s10, s10, exec_lo
	s_and_b32 s20, s20, exec_lo
	s_or_b32 s10, s10, s20
.LBB2_4221:                             ;   in Loop: Header=BB2_4142 Depth=1
	s_or_b32 exec_lo, exec_lo, s11
	v_cmp_eq_u32_e32 vcc_lo, 0, v17
	s_xor_b32 s10, s10, -1
	v_dual_mov_b32 v81, v0 :: v_dual_mov_b32 v84, v49
	v_cndmask_b32_e64 v36, 0, 1, s10
	v_dual_cndmask_b32 v17, 0, v10 :: v_dual_mov_b32 v80, 0
	;;#ASMSTART
	;;#ASMEND
	s_delay_alu instid0(VALU_DEP_2) | instskip(SKIP_1) | instid1(VALU_DEP_2)
	v_cmp_ne_u32_e32 vcc_lo, 0, v36
	s_mov_b32 s10, -1
	v_mov_b32_e32 v71, v17
	s_cbranch_vccnz .LBB2_4237
; %bb.4222:                             ;   in Loop: Header=BB2_4142 Depth=1
	v_lshrrev_b32_e32 v36, 10, v17
	s_mov_b32 s11, exec_lo
	s_delay_alu instid0(VALU_DEP_1) | instskip(NEXT) | instid1(VALU_DEP_1)
	v_sub_nc_u32_e32 v82, v36, v49
	v_cmpx_lt_i32_e32 0, v82
	s_cbranch_execz .LBB2_4227
; %bb.4223:                             ;   in Loop: Header=BB2_4142 Depth=1
	s_cbranch_execnz .LBB2_4513
; %bb.4224:                             ;   in Loop: Header=BB2_4142 Depth=1
	ds_load_b64 v[36:37], v0
	v_dual_mov_b32 v39, v13 :: v_dual_mov_b32 v38, v12
	s_mov_b32 s20, 0
.LBB2_4225:                             ;   Parent Loop BB2_4142 Depth=1
                                        ; =>  This Inner Loop Header: Depth=2
	s_waitcnt lgkmcnt(0)
	s_delay_alu instid0(VALU_DEP_1) | instskip(NEXT) | instid1(VALU_DEP_2)
	v_add_co_u32 v80, vcc_lo, v36, v38
	v_add_co_ci_u32_e32 v81, vcc_lo, v37, v39, vcc_lo
	v_sub_nc_u32_e32 v82, v82, v48
	v_add_co_u32 v38, s10, v38, v52
	s_clause 0x1
	global_load_b128 v[83:86], v[80:81], off slc dlc
	global_load_b128 v[96:99], v[80:81], off offset:512 slc dlc
	v_add_co_ci_u32_e64 v39, s10, v39, v53, s10
	v_cmp_gt_i32_e32 vcc_lo, 1, v82
	s_waitcnt vmcnt(1)
	global_store_b128 v[80:81], v[83:86], off glc slc dlc
	s_waitcnt vmcnt(0)
	global_store_b128 v[80:81], v[96:99], off offset:512 glc slc dlc
	s_or_b32 s20, vcc_lo, s20
	s_delay_alu instid0(SALU_CYCLE_1)
	s_and_not1_b32 exec_lo, exec_lo, s20
	s_cbranch_execnz .LBB2_4225
; %bb.4226:                             ;   in Loop: Header=BB2_4142 Depth=1
	s_or_b32 exec_lo, exec_lo, s20
.LBB2_4227:                             ;   in Loop: Header=BB2_4142 Depth=1
	s_delay_alu instid0(SALU_CYCLE_1) | instskip(SKIP_3) | instid1(VALU_DEP_1)
	s_or_b32 exec_lo, exec_lo, s11
	v_dual_mov_b32 v80, 0 :: v_dual_and_b32 v83, 0x3ffffc00, v17
	s_mov_b32 s10, 0
	s_mov_b32 s20, exec_lo
                                        ; implicit-def: $vgpr71
                                        ; implicit-def: $vgpr81
                                        ; implicit-def: $vgpr84
	v_cmpx_ne_u32_e64 v83, v17
	s_cbranch_execz .LBB2_4236
; %bb.4228:                             ;   in Loop: Header=BB2_4142 Depth=1
	v_lshlrev_b32_e32 v36, 5, v82
	v_and_b32_e32 v39, 0x200, v17
	v_bfe_u32 v81, v17, 9, 1
	s_mov_b32 s21, exec_lo
	s_delay_alu instid0(VALU_DEP_3) | instskip(NEXT) | instid1(VALU_DEP_1)
	v_sub_nc_u32_e32 v36, v51, v36
	v_ashrrev_i32_e32 v37, 31, v36
	s_delay_alu instid0(VALU_DEP_1) | instskip(NEXT) | instid1(VALU_DEP_1)
	v_lshrrev_b32_e32 v37, 27, v37
	v_add_nc_u32_e32 v37, v36, v37
	s_delay_alu instid0(VALU_DEP_1) | instskip(SKIP_1) | instid1(VALU_DEP_2)
	v_and_b32_e32 v38, 0xffffffe0, v37
	v_ashrrev_i32_e32 v37, 5, v37
	v_sub_nc_u32_e32 v38, v36, v38
	v_and_b32_e32 v36, 0x3ff, v17
	s_delay_alu instid0(VALU_DEP_2) | instskip(NEXT) | instid1(VALU_DEP_2)
	v_lshlrev_b32_e32 v71, 4, v38
	v_sub_nc_u32_e32 v39, v36, v39
	s_delay_alu instid0(VALU_DEP_2) | instskip(NEXT) | instid1(VALU_DEP_2)
	v_lshl_add_u32 v80, v37, 9, v71
	v_cmp_lt_i32_e32 vcc_lo, 15, v39
	s_delay_alu instid0(VALU_DEP_2) | instskip(SKIP_1) | instid1(VALU_DEP_1)
	v_sub_nc_u32_e32 v71, v36, v80
	v_add_co_ci_u32_e64 v81, s10, 0, v81, vcc_lo
	v_sub_nc_u32_e32 v82, v81, v37
	s_delay_alu instid0(VALU_DEP_3)
	v_cmpx_lt_i32_e32 15, v71
	s_cbranch_execz .LBB2_4233
; %bb.4229:                             ;   in Loop: Header=BB2_4142 Depth=1
	s_cbranch_execnz .LBB2_4555
; %bb.4230:                             ;   in Loop: Header=BB2_4142 Depth=1
	ds_load_b64 v[36:37], v0
	v_add_nc_u32_e32 v80, v80, v83
	s_mov_b32 s22, 0
	s_delay_alu instid0(VALU_DEP_1)
	v_ashrrev_i32_e32 v81, 31, v80
.LBB2_4231:                             ;   Parent Loop BB2_4142 Depth=1
                                        ; =>  This Inner Loop Header: Depth=2
	s_waitcnt lgkmcnt(0)
	v_add_co_u32 v96, s10, v36, v80
	s_delay_alu instid0(VALU_DEP_1)
	v_add_co_ci_u32_e64 v97, s10, v37, v81, s10
	v_sub_nc_u32_e32 v71, v71, v50
	v_add_co_u32 v80, s11, v80, v54
	global_load_b128 v[83:86], v[96:97], off slc dlc
	v_sub_nc_u32_e32 v82, v82, v48
	v_cmp_gt_i32_e64 s10, 16, v71
	v_add_co_ci_u32_e64 v81, s11, v81, v55, s11
	s_delay_alu instid0(VALU_DEP_2)
	s_or_b32 s22, s10, s22
	s_waitcnt vmcnt(0)
	global_store_b128 v[96:97], v[83:86], off glc slc dlc
	s_and_not1_b32 exec_lo, exec_lo, s22
	s_cbranch_execnz .LBB2_4231
; %bb.4232:                             ;   in Loop: Header=BB2_4142 Depth=1
	s_or_b32 exec_lo, exec_lo, s22
.LBB2_4233:                             ;   in Loop: Header=BB2_4142 Depth=1
	s_delay_alu instid0(SALU_CYCLE_1) | instskip(SKIP_3) | instid1(VALU_DEP_1)
	s_or_b32 exec_lo, exec_lo, s21
	v_and_b32_e32 v36, 15, v17
	s_mov_b32 s11, 0
	s_mov_b32 s21, exec_lo
                                        ; implicit-def: $vgpr81
                                        ; implicit-def: $vgpr84
	v_dual_mov_b32 v80, 0 :: v_dual_cndmask_b32 v71, v39, v36
	s_delay_alu instid0(VALU_DEP_1)
	v_cmpx_ne_u32_e32 0, v71
	s_cbranch_execz .LBB2_4235
; %bb.4234:                             ;   in Loop: Header=BB2_4142 Depth=1
	v_cmp_lt_i32_e64 s10, 0, v82
	v_sub_nc_u32_e32 v36, v39, v36
	s_mov_b32 s11, exec_lo
	s_delay_alu instid0(VALU_DEP_2) | instskip(NEXT) | instid1(VALU_DEP_1)
	v_cndmask_b32_e64 v37, 0, v48, s10
	v_sub_nc_u32_e32 v37, v37, v82
	s_delay_alu instid0(VALU_DEP_1) | instskip(SKIP_1) | instid1(VALU_DEP_2)
	v_lshl_add_u32 v81, v37, 5, v38
	v_and_b32_e32 v38, 0x3ffffe00, v17
	v_ashrrev_i32_e32 v37, 31, v81
	s_delay_alu instid0(VALU_DEP_1) | instskip(NEXT) | instid1(VALU_DEP_1)
	v_lshrrev_b32_e32 v37, 27, v37
	v_dual_cndmask_b32 v36, 0, v36 :: v_dual_add_nc_u32 v37, v81, v37
	s_delay_alu instid0(VALU_DEP_1) | instskip(NEXT) | instid1(VALU_DEP_2)
	v_add_nc_u32_e32 v80, v36, v38
	v_ashrrev_i32_e32 v84, 5, v37
.LBB2_4235:                             ;   in Loop: Header=BB2_4142 Depth=1
	s_or_b32 exec_lo, exec_lo, s21
	s_delay_alu instid0(SALU_CYCLE_1)
	s_and_b32 s10, s11, exec_lo
.LBB2_4236:                             ;   in Loop: Header=BB2_4142 Depth=1
	s_or_b32 exec_lo, exec_lo, s20
.LBB2_4237:                             ;   in Loop: Header=BB2_4142 Depth=1
	s_and_saveexec_b32 s11, s10
	s_cbranch_execz .LBB2_4248
; %bb.4238:                             ;   in Loop: Header=BB2_4142 Depth=1
	s_delay_alu instid0(VALU_DEP_1) | instskip(SKIP_1) | instid1(VALU_DEP_1)
	v_ashrrev_i32_e32 v36, 31, v71
	s_mov_b32 s10, exec_lo
	v_lshrrev_b32_e32 v36, 24, v36
	s_delay_alu instid0(VALU_DEP_1) | instskip(NEXT) | instid1(VALU_DEP_1)
	v_add_nc_u32_e32 v36, v71, v36
	v_ashrrev_i32_e32 v83, 8, v36
	s_delay_alu instid0(VALU_DEP_1) | instskip(NEXT) | instid1(VALU_DEP_1)
	v_sub_nc_u32_e32 v82, v83, v84
	v_cmpx_lt_i32_e32 0, v82
	s_cbranch_execz .LBB2_4243
; %bb.4239:                             ;   in Loop: Header=BB2_4142 Depth=1
	s_cbranch_execnz .LBB2_4501
; %bb.4240:                             ;   in Loop: Header=BB2_4142 Depth=1
	v_ashrrev_i32_e32 v36, 31, v81
	s_mov_b32 s20, 0
	s_delay_alu instid0(VALU_DEP_1) | instskip(NEXT) | instid1(VALU_DEP_1)
	v_lshrrev_b32_e32 v36, 27, v36
	v_add_nc_u32_e32 v38, v81, v36
	ds_load_b64 v[36:37], v0
	v_lshlrev_b32_e32 v39, 8, v84
	v_and_b32_e32 v38, 0xffffffe0, v38
	s_delay_alu instid0(VALU_DEP_1) | instskip(NEXT) | instid1(VALU_DEP_1)
	v_sub_nc_u32_e32 v38, v81, v38
	v_add3_u32 v84, v80, v38, v39
	s_delay_alu instid0(VALU_DEP_1)
	v_ashrrev_i32_e32 v85, 31, v84
	s_waitcnt lgkmcnt(0)
	v_dual_mov_b32 v39, v37 :: v_dual_mov_b32 v38, v36
.LBB2_4241:                             ;   Parent Loop BB2_4142 Depth=1
                                        ; =>  This Inner Loop Header: Depth=2
	s_delay_alu instid0(VALU_DEP_1) | instskip(NEXT) | instid1(VALU_DEP_2)
	v_add_co_u32 v86, vcc_lo, v84, v38
	v_add_co_ci_u32_e32 v87, vcc_lo, v85, v39, vcc_lo
	v_sub_nc_u32_e32 v82, v82, v48
	s_clause 0x7
	flat_load_u8 v96, v[86:87] slc dlc
	flat_load_u8 v97, v[86:87] offset:32 slc dlc
	flat_load_u8 v98, v[86:87] offset:64 slc dlc
	;; [unrolled: 1-line block ×7, first 2 shown]
	v_add_co_u32 v86, vcc_lo, v84, v36
	v_add_co_ci_u32_e32 v87, vcc_lo, v85, v37, vcc_lo
	v_add_co_u32 v38, vcc_lo, v38, v67
	v_add_co_ci_u32_e32 v39, vcc_lo, v39, v68, vcc_lo
	;; [unrolled: 2-line block ×3, first 2 shown]
	v_cmp_gt_i32_e32 vcc_lo, 1, v82
	s_waitcnt vmcnt(7) lgkmcnt(7)
	flat_store_b8 v[86:87], v96 glc slc dlc
	s_waitcnt vmcnt(6) lgkmcnt(7)
	flat_store_b8 v[86:87], v97 offset:32 glc slc dlc
	s_waitcnt vmcnt(5) lgkmcnt(7)
	flat_store_b8 v[86:87], v98 offset:64 glc slc dlc
	;; [unrolled: 2-line block ×7, first 2 shown]
	s_or_b32 s20, vcc_lo, s20
	s_delay_alu instid0(SALU_CYCLE_1)
	s_and_not1_b32 exec_lo, exec_lo, s20
	s_cbranch_execnz .LBB2_4241
; %bb.4242:                             ;   in Loop: Header=BB2_4142 Depth=1
	s_or_b32 exec_lo, exec_lo, s20
.LBB2_4243:                             ;   in Loop: Header=BB2_4142 Depth=1
	s_delay_alu instid0(SALU_CYCLE_1) | instskip(SKIP_1) | instid1(VALU_DEP_1)
	s_or_b32 exec_lo, exec_lo, s10
	v_lshlrev_b32_e32 v36, 8, v83
	v_cmp_ne_u32_e32 vcc_lo, v71, v36
	s_and_b32 exec_lo, exec_lo, vcc_lo
	s_cbranch_execz .LBB2_4248
; %bb.4244:                             ;   in Loop: Header=BB2_4142 Depth=1
	v_ashrrev_i32_e32 v37, 31, v81
	v_lshlrev_b32_e32 v38, 5, v82
	s_delay_alu instid0(VALU_DEP_2) | instskip(NEXT) | instid1(VALU_DEP_1)
	v_lshrrev_b32_e32 v37, 27, v37
	v_add_nc_u32_e32 v37, v81, v37
	s_delay_alu instid0(VALU_DEP_1) | instskip(NEXT) | instid1(VALU_DEP_1)
	v_and_b32_e32 v37, 0xffffffe0, v37
	v_sub_nc_u32_e32 v37, v81, v37
	s_delay_alu instid0(VALU_DEP_1) | instskip(NEXT) | instid1(VALU_DEP_1)
	v_sub_nc_u32_e32 v37, v37, v38
	v_add_nc_u32_e32 v39, v36, v37
	s_delay_alu instid0(VALU_DEP_1) | instskip(NEXT) | instid1(VALU_DEP_1)
	v_sub_nc_u32_e32 v38, v71, v39
	v_cmp_lt_i32_e32 vcc_lo, 0, v38
	s_and_b32 exec_lo, exec_lo, vcc_lo
	s_cbranch_execz .LBB2_4248
; %bb.4245:                             ;   in Loop: Header=BB2_4142 Depth=1
	s_cbranch_execnz .LBB2_4541
; %bb.4246:                             ;   in Loop: Header=BB2_4142 Depth=1
	ds_load_b64 v[36:37], v0
	v_add_nc_u32_e32 v39, v39, v80
	s_mov_b32 s20, 0
	s_delay_alu instid0(VALU_DEP_1)
	v_ashrrev_i32_e32 v71, 31, v39
.LBB2_4247:                             ;   Parent Loop BB2_4142 Depth=1
                                        ; =>  This Inner Loop Header: Depth=2
	s_waitcnt lgkmcnt(0)
	v_add_co_u32 v80, vcc_lo, v36, v39
	s_delay_alu instid0(VALU_DEP_2)
	v_add_co_ci_u32_e32 v81, vcc_lo, v37, v71, vcc_lo
	v_sub_nc_u32_e32 v38, v38, v66
	v_add_co_u32 v39, s10, v39, v66
	flat_load_u8 v82, v[80:81] slc dlc
	v_add_co_ci_u32_e64 v71, s10, v71, v69, s10
	v_cmp_gt_i32_e32 vcc_lo, 1, v38
	s_or_b32 s20, vcc_lo, s20
	s_waitcnt vmcnt(0) lgkmcnt(0)
	flat_store_b8 v[80:81], v82 glc slc dlc
	s_and_not1_b32 exec_lo, exec_lo, s20
	s_cbranch_execnz .LBB2_4247
.LBB2_4248:                             ;   in Loop: Header=BB2_4142 Depth=1
	s_or_b32 exec_lo, exec_lo, s11
	v_cmp_ne_u32_e64 s10, 0, v17
.LBB2_4249:                             ;   in Loop: Header=BB2_4142 Depth=1
	s_and_saveexec_b32 s11, s2
	s_cbranch_execz .LBB2_4271
; %bb.4250:                             ;   in Loop: Header=BB2_4142 Depth=1
	s_and_saveexec_b32 s20, s3
	s_delay_alu instid0(SALU_CYCLE_1)
	s_xor_b32 s20, exec_lo, s20
	s_cbranch_execz .LBB2_4268
; %bb.4251:                             ;   in Loop: Header=BB2_4142 Depth=1
	s_and_saveexec_b32 s21, s4
	s_cbranch_execz .LBB2_4267
; %bb.4252:                             ;   in Loop: Header=BB2_4142 Depth=1
	s_mov_b32 s23, exec_lo
	s_mov_b32 s22, exec_lo
	v_mbcnt_lo_u32_b32 v17, s23, 0
	s_waitcnt lgkmcnt(0)
	s_waitcnt_vscnt null, 0x0
	buffer_gl1_inv
	buffer_gl0_inv
	v_cmpx_eq_u32_e32 0, v17
	s_cbranch_execz .LBB2_4254
; %bb.4253:                             ;   in Loop: Header=BB2_4142 Depth=1
	s_bcnt1_i32_b32 s23, s23
	s_delay_alu instid0(SALU_CYCLE_1)
	v_dual_mov_b32 v37, v11 :: v_dual_mov_b32 v36, s23
	ds_add_u64 v0, v[36:37]
	s_cbranch_execnz .LBB2_4531
.LBB2_4254:                             ;   in Loop: Header=BB2_4142 Depth=1
	s_or_b32 exec_lo, exec_lo, s22
	s_cbranch_execnz .LBB2_4517
; %bb.4255:                             ;   in Loop: Header=BB2_4142 Depth=1
	ds_load_b64 v[36:37], v0
	v_add_co_u32 v28, vcc_lo, v28, v48
	v_add_co_ci_u32_e32 v29, vcc_lo, 0, v29, vcc_lo
	s_mov_b32 s22, exec_lo
	s_waitcnt lgkmcnt(0)
	s_delay_alu instid0(VALU_DEP_1)
	v_cmpx_lt_u64_e64 v[36:37], v[28:29]
	s_cbranch_execz .LBB2_4266
; %bb.4256:                             ;   in Loop: Header=BB2_4142 Depth=1
	s_mov_b32 s23, 0
	s_mov_b32 s26, 0
                                        ; implicit-def: $sgpr24
                                        ; implicit-def: $sgpr25
	s_branch .LBB2_4258
.LBB2_4257:                             ;   in Loop: Header=BB2_4258 Depth=2
	s_or_b32 exec_lo, exec_lo, s29
	s_delay_alu instid0(SALU_CYCLE_1) | instskip(NEXT) | instid1(SALU_CYCLE_1)
	s_and_b32 s27, exec_lo, s28
	s_or_b32 s23, s27, s23
	s_and_not1_b32 s24, s24, exec_lo
	s_and_b32 s27, s25, exec_lo
	s_delay_alu instid0(SALU_CYCLE_1)
	s_or_b32 s24, s24, s27
	s_and_not1_b32 exec_lo, exec_lo, s23
	s_cbranch_execz .LBB2_4264
.LBB2_4258:                             ;   Parent Loop BB2_4142 Depth=1
                                        ; =>  This Inner Loop Header: Depth=2
	s_add_i32 s26, s26, 1
                                        ; implicit-def: $sgpr28
	s_delay_alu instid0(SALU_CYCLE_1) | instskip(SKIP_1) | instid1(SALU_CYCLE_1)
	s_cmpk_lg_i32 s26, 0x2710
	s_cselect_b32 s27, -1, 0
	s_and_b32 vcc_lo, exec_lo, s27
	s_cbranch_vccz .LBB2_4262
.LBB2_4259:                             ;   in Loop: Header=BB2_4258 Depth=2
	s_and_not1_b32 s25, s25, exec_lo
	s_and_b32 s29, s28, exec_lo
	s_mov_b32 s28, -1
	s_or_b32 s25, s25, s29
	s_and_saveexec_b32 s29, s27
	s_cbranch_execz .LBB2_4257
; %bb.4260:                             ;   in Loop: Header=BB2_4258 Depth=2
	s_sleep 1
	s_cbranch_execnz .LBB2_4575
; %bb.4261:                             ;   in Loop: Header=BB2_4258 Depth=2
	ds_load_b64 v[36:37], v0
	s_and_not1_b32 s25, s25, exec_lo
	s_waitcnt lgkmcnt(0)
	v_cmp_ge_u64_e32 vcc_lo, v[36:37], v[28:29]
	s_or_not1_b32 s28, vcc_lo, exec_lo
	s_branch .LBB2_4257
.LBB2_4262:                             ;   in Loop: Header=BB2_4258 Depth=2
	s_cbranch_execnz .LBB2_4587
; %bb.4263:                             ;   in Loop: Header=BB2_4258 Depth=2
	ds_load_b64 v[36:37], v0
	s_and_not1_b32 s27, s27, exec_lo
	s_mov_b32 s26, 0
	s_mov_b32 s28, -1
	s_waitcnt lgkmcnt(0)
	flat_load_b32 v17, v[36:37] glc
	s_waitcnt vmcnt(0) lgkmcnt(0)
	buffer_gl1_inv
	buffer_gl0_inv
	v_cmp_eq_u32_e32 vcc_lo, 0, v17
	s_and_b32 s29, vcc_lo, exec_lo
	s_delay_alu instid0(SALU_CYCLE_1)
	s_or_b32 s27, s27, s29
	s_branch .LBB2_4259
.LBB2_4264:                             ;   in Loop: Header=BB2_4142 Depth=1
	s_or_b32 exec_lo, exec_lo, s23
	s_and_saveexec_b32 s23, s24
	s_delay_alu instid0(SALU_CYCLE_1)
	s_xor_b32 s23, exec_lo, s23
	s_cbranch_execz .LBB2_4266
; %bb.4265:                             ;   in Loop: Header=BB2_4142 Depth=1
	ds_store_b32 v0, v70
	s_cbranch_execnz .LBB2_4625
.LBB2_4266:                             ;   in Loop: Header=BB2_4142 Depth=1
	s_or_b32 exec_lo, exec_lo, s22
	;;#ASMSTART
	s_wakeup
	;;#ASMEND
.LBB2_4267:                             ;   in Loop: Header=BB2_4142 Depth=1
	s_or_b32 exec_lo, exec_lo, s21
.LBB2_4268:                             ;   in Loop: Header=BB2_4142 Depth=1
	s_and_not1_saveexec_b32 s20, s20
	s_cbranch_execz .LBB2_4270
; %bb.4269:                             ;   in Loop: Header=BB2_4142 Depth=1
	s_waitcnt lgkmcnt(0)
	s_waitcnt_vscnt null, 0x0
	buffer_gl1_inv
	buffer_gl0_inv
	s_barrier
.LBB2_4270:                             ;   in Loop: Header=BB2_4142 Depth=1
	s_or_b32 exec_lo, exec_lo, s20
.LBB2_4271:                             ;   in Loop: Header=BB2_4142 Depth=1
	s_delay_alu instid0(SALU_CYCLE_1) | instskip(SKIP_1) | instid1(VALU_DEP_1)
	s_or_b32 exec_lo, exec_lo, s11
	v_and_b32_e32 v17, 16, v64
	v_cmp_ne_u32_e32 vcc_lo, 0, v17
	s_and_b32 s11, vcc_lo, s10
	s_delay_alu instid0(SALU_CYCLE_1)
	s_and_saveexec_b32 s10, s11
	s_cbranch_execz .LBB2_4273
; %bb.4272:                             ;   in Loop: Header=BB2_4142 Depth=1
	s_waitcnt lgkmcnt(0)
	s_waitcnt_vscnt null, 0x0
	buffer_gl1_inv
	buffer_gl0_inv
.LBB2_4273:                             ;   in Loop: Header=BB2_4142 Depth=1
	s_or_b32 exec_lo, exec_lo, s10
	s_delay_alu instid0(SALU_CYCLE_1)
	s_mov_b32 s10, exec_lo
	v_cmpx_ne_u32_e32 0, v17
	s_cbranch_execz .LBB2_4277
; %bb.4274:                             ;   in Loop: Header=BB2_4142 Depth=1
	s_and_saveexec_b32 s11, s7
	s_cbranch_execz .LBB2_4276
; %bb.4275:                             ;   in Loop: Header=BB2_4142 Depth=1
	s_waitcnt lgkmcnt(0)
	s_waitcnt_vscnt null, 0x0
	flat_store_b32 v[34:35], v70
.LBB2_4276:                             ;   in Loop: Header=BB2_4142 Depth=1
	s_or_b32 exec_lo, exec_lo, s11
	v_add_co_u32 v8, vcc_lo, v8, 1
	v_add_co_ci_u32_e32 v9, vcc_lo, 0, v9, vcc_lo
	s_waitcnt lgkmcnt(0)
	s_waitcnt_vscnt null, 0x0
	flat_store_b64 v[22:23], v[8:9]
.LBB2_4277:                             ;   in Loop: Header=BB2_4142 Depth=1
	s_or_b32 exec_lo, exec_lo, s10
	v_mov_b32_e32 v17, v10
.LBB2_4278:                             ;   in Loop: Header=BB2_4142 Depth=1
	s_or_b32 exec_lo, exec_lo, s19
	s_and_saveexec_b32 s11, s18
	s_cbranch_execz .LBB2_4333
; %bb.4279:                             ;   in Loop: Header=BB2_4142 Depth=1
	v_and_b32_e32 v36, 8, v64
	s_mov_b32 s18, -1
	s_mov_b32 s10, exec_lo
	s_delay_alu instid0(VALU_DEP_1)
	v_cmpx_ne_u32_e32 0, v36
	s_cbranch_execz .LBB2_4293
; %bb.4280:                             ;   in Loop: Header=BB2_4142 Depth=1
	v_add_co_u32 v38, vcc_lo, v26, 8
	v_add_co_ci_u32_e32 v39, vcc_lo, 0, v27, vcc_lo
	v_add_co_u32 v36, vcc_lo, v8, 1
	v_add_co_ci_u32_e32 v37, vcc_lo, 0, v9, vcc_lo
	s_delay_alu instid0(VALU_DEP_1)
	v_cmp_lt_u64_e32 vcc_lo, v[38:39], v[36:37]
	v_mov_b32_e32 v38, 1
	s_and_saveexec_b32 s18, vcc_lo
	s_cbranch_execz .LBB2_4292
; %bb.4281:                             ;   in Loop: Header=BB2_4142 Depth=1
	v_mov_b32_e32 v38, 0
	s_mov_b32 s19, 0
                                        ; implicit-def: $sgpr20
	s_branch .LBB2_4285
.LBB2_4282:                             ;   in Loop: Header=BB2_4285 Depth=2
	s_or_b32 exec_lo, exec_lo, s24
	v_mov_b32_e32 v39, 0
	s_or_not1_b32 s23, s23, exec_lo
.LBB2_4283:                             ;   in Loop: Header=BB2_4285 Depth=2
	s_or_b32 exec_lo, exec_lo, s22
	s_delay_alu instid0(VALU_DEP_1) | instskip(SKIP_2) | instid1(SALU_CYCLE_1)
	v_mov_b32_e32 v38, v39
	s_and_not1_b32 s20, s20, exec_lo
	s_and_b32 s22, s23, exec_lo
	s_or_b32 s20, s20, s22
.LBB2_4284:                             ;   in Loop: Header=BB2_4285 Depth=2
	s_or_b32 exec_lo, exec_lo, s21
	s_waitcnt vmcnt(0) lgkmcnt(0)
	v_add_co_u32 v80, vcc_lo, v26, 8
	v_add_co_ci_u32_e32 v81, vcc_lo, 0, v27, vcc_lo
	s_xor_b32 s21, s20, -1
	s_delay_alu instid0(VALU_DEP_1) | instskip(SKIP_1) | instid1(SALU_CYCLE_1)
	v_cmp_ge_u64_e32 vcc_lo, v[80:81], v[36:37]
	s_or_b32 s21, s21, vcc_lo
	s_and_b32 s21, exec_lo, s21
	s_delay_alu instid0(SALU_CYCLE_1) | instskip(NEXT) | instid1(SALU_CYCLE_1)
	s_or_b32 s19, s21, s19
	s_and_not1_b32 exec_lo, exec_lo, s19
	s_cbranch_execz .LBB2_4291
.LBB2_4285:                             ;   Parent Loop BB2_4142 Depth=1
                                        ; =>  This Inner Loop Header: Depth=2
	s_sleep 1
	flat_load_b64 v[26:27], v[22:23] glc
	v_and_b32_e32 v39, 64, v64
	s_and_not1_b32 s20, s20, exec_lo
	s_mov_b32 s21, exec_lo
	s_delay_alu instid0(VALU_DEP_1)
	v_cmpx_eq_u32_e32 0, v39
	s_cbranch_execz .LBB2_4284
; %bb.4286:                             ;   in Loop: Header=BB2_4285 Depth=2
	v_add_nc_u32_e32 v39, 1, v38
	s_mov_b32 s23, -1
	s_mov_b32 s22, exec_lo
	v_cmpx_lt_i32_e32 0x270e, v38
	s_cbranch_execz .LBB2_4283
; %bb.4287:                             ;   in Loop: Header=BB2_4285 Depth=2
	s_cbranch_execnz .LBB2_4422
; %bb.4288:                             ;   in Loop: Header=BB2_4285 Depth=2
	ds_load_b64 v[38:39], v0
	s_mov_b32 s24, exec_lo
	s_waitcnt vmcnt(0) lgkmcnt(0)
	s_waitcnt_vscnt null, 0x0
	flat_load_b32 v38, v[38:39] glc
	s_waitcnt vmcnt(0) lgkmcnt(0)
	buffer_gl1_inv
	buffer_gl0_inv
	v_cmpx_ne_u32_e32 0, v38
	s_cbranch_execz .LBB2_4282
; %bb.4289:                             ;   in Loop: Header=BB2_4285 Depth=2
	ds_store_b32 v0, v38
	s_cbranch_execnz .LBB2_4459
; %bb.4290:                             ;   in Loop: Header=BB2_4285 Depth=2
	v_or_b32_e32 v64, 64, v64
	s_xor_b32 s23, exec_lo, -1
	s_branch .LBB2_4282
.LBB2_4291:                             ;   in Loop: Header=BB2_4142 Depth=1
	s_or_b32 exec_lo, exec_lo, s19
	v_and_b32_e32 v38, 8, v64
.LBB2_4292:                             ;   in Loop: Header=BB2_4142 Depth=1
	s_or_b32 exec_lo, exec_lo, s18
	s_delay_alu instid0(VALU_DEP_1)
	v_cmp_eq_u32_e32 vcc_lo, 0, v38
	;;#ASMSTART
	s_wakeup
	;;#ASMEND
	s_or_not1_b32 s18, vcc_lo, exec_lo
.LBB2_4293:                             ;   in Loop: Header=BB2_4142 Depth=1
	s_or_b32 exec_lo, exec_lo, s10
	v_sub_nc_u32_e32 v16, v16, v17
	s_xor_b32 s10, s18, -1
	s_delay_alu instid0(VALU_DEP_1)
	v_min_i32_e32 v16, v10, v16
	s_and_saveexec_b32 s18, s10
	s_cbranch_execz .LBB2_4303
; %bb.4294:                             ;   in Loop: Header=BB2_4142 Depth=1
	v_and_b32_e32 v10, 0x100, v64
	s_mov_b32 s10, -1
                                        ; implicit-def: $vgpr36_vgpr37
	s_delay_alu instid0(VALU_DEP_1)
	v_cmp_ne_u32_e32 vcc_lo, 0, v10
	v_and_b32_e32 v10, 7, v8
	s_and_saveexec_b32 s19, vcc_lo
	s_cbranch_execz .LBB2_4298
; %bb.4295:                             ;   in Loop: Header=BB2_4142 Depth=1
	s_delay_alu instid0(VALU_DEP_1)
	v_mad_u64_u32 v[38:39], null, v10, 24, v[6:7]
	v_ashrrev_i32_e32 v17, 31, v16
	flat_load_b32 v36, v[38:39]
	flat_store_b64 v[38:39], v[16:17] offset:8
	s_waitcnt vmcnt(0) lgkmcnt(1)
	v_cmp_ne_u32_e32 vcc_lo, 1, v36
	v_cmp_eq_u32_e64 s10, 1, v36
                                        ; implicit-def: $vgpr36_vgpr37
	s_delay_alu instid0(VALU_DEP_1)
	s_and_saveexec_b32 s20, s10
	s_cbranch_execz .LBB2_4297
; %bb.4296:                             ;   in Loop: Header=BB2_4142 Depth=1
	flat_load_b32 v36, v[38:39] offset:4 glc
	s_waitcnt vmcnt(0) lgkmcnt(0)
	v_ashrrev_i32_e32 v37, 31, v36
.LBB2_4297:                             ;   in Loop: Header=BB2_4142 Depth=1
	s_or_b32 exec_lo, exec_lo, s20
	s_delay_alu instid0(SALU_CYCLE_1)
	s_or_not1_b32 s10, vcc_lo, exec_lo
.LBB2_4298:                             ;   in Loop: Header=BB2_4142 Depth=1
	s_or_b32 exec_lo, exec_lo, s19
	s_and_saveexec_b32 s19, s10
; %bb.4299:                             ;   in Loop: Header=BB2_4142 Depth=1
	v_mad_i64_i32 v[36:37], null, v10, v65, 0
; %bb.4300:                             ;   in Loop: Header=BB2_4142 Depth=1
	s_or_b32 exec_lo, exec_lo, s19
	s_delay_alu instid0(VALU_DEP_1) | instskip(SKIP_1) | instid1(VALU_DEP_3)
	v_add_co_u32 v36, vcc_lo, v24, v36
	v_and_b32_e32 v10, 0x2000, v64
	v_add_co_ci_u32_e32 v37, vcc_lo, v25, v37, vcc_lo
	s_mov_b32 s10, exec_lo
	ds_store_b64 v0, v[36:37] offset:784
	v_cmpx_ne_u32_e32 0, v10
	s_cbranch_execz .LBB2_4302
; %bb.4301:                             ;   in Loop: Header=BB2_4142 Depth=1
	ds_load_b64 v[36:37], v0 offset:584
	s_waitcnt lgkmcnt(0)
	v_add_co_u32 v36, vcc_lo, v36, 1
	v_add_co_ci_u32_e32 v37, vcc_lo, 0, v37, vcc_lo
	ds_store_b64 v0, v[36:37] offset:584
.LBB2_4302:                             ;   in Loop: Header=BB2_4142 Depth=1
	s_or_b32 exec_lo, exec_lo, s10
	v_add_co_u32 v8, vcc_lo, v8, 1
	v_add_co_ci_u32_e32 v9, vcc_lo, 0, v9, vcc_lo
.LBB2_4303:                             ;   in Loop: Header=BB2_4142 Depth=1
	s_or_b32 exec_lo, exec_lo, s18
	s_and_saveexec_b32 s10, s2
	s_cbranch_execz .LBB2_4325
; %bb.4304:                             ;   in Loop: Header=BB2_4142 Depth=1
	s_and_saveexec_b32 s18, s3
	s_delay_alu instid0(SALU_CYCLE_1)
	s_xor_b32 s18, exec_lo, s18
	s_cbranch_execz .LBB2_4322
; %bb.4305:                             ;   in Loop: Header=BB2_4142 Depth=1
	s_and_saveexec_b32 s19, s4
	s_cbranch_execz .LBB2_4321
; %bb.4306:                             ;   in Loop: Header=BB2_4142 Depth=1
	s_mov_b32 s21, exec_lo
	s_mov_b32 s20, exec_lo
	v_mbcnt_lo_u32_b32 v10, s21, 0
	s_waitcnt lgkmcnt(0)
	s_waitcnt_vscnt null, 0x0
	buffer_gl1_inv
	buffer_gl0_inv
	v_cmpx_eq_u32_e32 0, v10
	s_cbranch_execz .LBB2_4308
; %bb.4307:                             ;   in Loop: Header=BB2_4142 Depth=1
	s_bcnt1_i32_b32 s21, s21
	s_delay_alu instid0(SALU_CYCLE_1)
	v_mov_b32_e32 v10, s21
	ds_add_u64 v0, v[10:11]
	s_cbranch_execnz .LBB2_4479
.LBB2_4308:                             ;   in Loop: Header=BB2_4142 Depth=1
	s_or_b32 exec_lo, exec_lo, s20
	s_cbranch_execnz .LBB2_4463
; %bb.4309:                             ;   in Loop: Header=BB2_4142 Depth=1
	ds_load_b64 v[36:37], v0
	v_add_co_u32 v28, vcc_lo, v28, v48
	v_add_co_ci_u32_e32 v29, vcc_lo, 0, v29, vcc_lo
	s_mov_b32 s20, exec_lo
	s_waitcnt lgkmcnt(0)
	s_delay_alu instid0(VALU_DEP_1)
	v_cmpx_lt_u64_e64 v[36:37], v[28:29]
	s_cbranch_execz .LBB2_4320
; %bb.4310:                             ;   in Loop: Header=BB2_4142 Depth=1
	s_mov_b32 s21, 0
	s_mov_b32 s24, 0
                                        ; implicit-def: $sgpr22
                                        ; implicit-def: $sgpr23
	s_branch .LBB2_4312
.LBB2_4311:                             ;   in Loop: Header=BB2_4312 Depth=2
	s_or_b32 exec_lo, exec_lo, s27
	s_delay_alu instid0(SALU_CYCLE_1) | instskip(NEXT) | instid1(SALU_CYCLE_1)
	s_and_b32 s25, exec_lo, s26
	s_or_b32 s21, s25, s21
	s_and_not1_b32 s22, s22, exec_lo
	s_and_b32 s25, s23, exec_lo
	s_delay_alu instid0(SALU_CYCLE_1)
	s_or_b32 s22, s22, s25
	s_and_not1_b32 exec_lo, exec_lo, s21
	s_cbranch_execz .LBB2_4318
.LBB2_4312:                             ;   Parent Loop BB2_4142 Depth=1
                                        ; =>  This Inner Loop Header: Depth=2
	s_add_i32 s24, s24, 1
                                        ; implicit-def: $sgpr26
	s_delay_alu instid0(SALU_CYCLE_1) | instskip(SKIP_1) | instid1(SALU_CYCLE_1)
	s_cmpk_lg_i32 s24, 0x2710
	s_cselect_b32 s25, -1, 0
	s_and_b32 vcc_lo, exec_lo, s25
	s_cbranch_vccz .LBB2_4316
.LBB2_4313:                             ;   in Loop: Header=BB2_4312 Depth=2
	s_and_not1_b32 s23, s23, exec_lo
	s_and_b32 s27, s26, exec_lo
	s_mov_b32 s26, -1
	s_or_b32 s23, s23, s27
	s_and_saveexec_b32 s27, s25
	s_cbranch_execz .LBB2_4311
; %bb.4314:                             ;   in Loop: Header=BB2_4312 Depth=2
	s_sleep 1
	s_cbranch_execnz .LBB2_4515
; %bb.4315:                             ;   in Loop: Header=BB2_4312 Depth=2
	ds_load_b64 v[36:37], v0
	s_and_not1_b32 s23, s23, exec_lo
	s_waitcnt lgkmcnt(0)
	v_cmp_ge_u64_e32 vcc_lo, v[36:37], v[28:29]
	s_or_not1_b32 s26, vcc_lo, exec_lo
	s_branch .LBB2_4311
.LBB2_4316:                             ;   in Loop: Header=BB2_4312 Depth=2
	s_cbranch_execnz .LBB2_4519
; %bb.4317:                             ;   in Loop: Header=BB2_4312 Depth=2
	ds_load_b64 v[36:37], v0
	s_and_not1_b32 s25, s25, exec_lo
	s_mov_b32 s24, 0
	s_mov_b32 s26, -1
	s_waitcnt lgkmcnt(0)
	flat_load_b32 v10, v[36:37] glc
	s_waitcnt vmcnt(0) lgkmcnt(0)
	buffer_gl1_inv
	buffer_gl0_inv
	v_cmp_eq_u32_e32 vcc_lo, 0, v10
	s_and_b32 s27, vcc_lo, exec_lo
	s_delay_alu instid0(SALU_CYCLE_1)
	s_or_b32 s25, s25, s27
	s_branch .LBB2_4313
.LBB2_4318:                             ;   in Loop: Header=BB2_4142 Depth=1
	s_or_b32 exec_lo, exec_lo, s21
	s_and_saveexec_b32 s21, s22
	s_delay_alu instid0(SALU_CYCLE_1)
	s_xor_b32 s21, exec_lo, s21
	s_cbranch_execz .LBB2_4320
; %bb.4319:                             ;   in Loop: Header=BB2_4142 Depth=1
	ds_store_b32 v0, v70
	s_cbranch_execnz .LBB2_4609
.LBB2_4320:                             ;   in Loop: Header=BB2_4142 Depth=1
	s_or_b32 exec_lo, exec_lo, s20
	;;#ASMSTART
	s_wakeup
	;;#ASMEND
.LBB2_4321:                             ;   in Loop: Header=BB2_4142 Depth=1
	s_or_b32 exec_lo, exec_lo, s19
.LBB2_4322:                             ;   in Loop: Header=BB2_4142 Depth=1
	s_and_not1_saveexec_b32 s18, s18
	s_cbranch_execz .LBB2_4324
; %bb.4323:                             ;   in Loop: Header=BB2_4142 Depth=1
	s_waitcnt lgkmcnt(0)
	s_waitcnt_vscnt null, 0x0
	buffer_gl1_inv
	buffer_gl0_inv
	s_barrier
.LBB2_4324:                             ;   in Loop: Header=BB2_4142 Depth=1
	s_or_b32 exec_lo, exec_lo, s18
.LBB2_4325:                             ;   in Loop: Header=BB2_4142 Depth=1
	s_delay_alu instid0(SALU_CYCLE_1)
	s_or_b32 exec_lo, exec_lo, s10
	s_cbranch_execnz .LBB2_4408
; %bb.4326:                             ;   in Loop: Header=BB2_4142 Depth=1
	ds_load_b32 v10, v0
	v_cmp_lt_i32_e32 vcc_lo, 0, v16
	s_waitcnt lgkmcnt(0)
	v_readfirstlane_b32 s10, v10
	v_and_b32_e32 v10, 16, v64
	s_delay_alu instid0(VALU_DEP_2) | instskip(NEXT) | instid1(VALU_DEP_1)
	s_cmp_eq_u32 s10, 0
	v_cmp_ne_u32_e64 s10, 0, v10
	s_cselect_b32 s18, -1, 0
	s_delay_alu instid0(SALU_CYCLE_1)
	s_and_b32 s18, vcc_lo, s18
	s_delay_alu instid0(VALU_DEP_1) | instid1(SALU_CYCLE_1)
	s_and_b32 s18, s10, s18
	s_delay_alu instid0(SALU_CYCLE_1)
	s_and_saveexec_b32 s10, s18
	s_cbranch_execz .LBB2_4328
; %bb.4327:                             ;   in Loop: Header=BB2_4142 Depth=1
	s_waitcnt_vscnt null, 0x0
	buffer_gl1_inv
	buffer_gl0_inv
.LBB2_4328:                             ;   in Loop: Header=BB2_4142 Depth=1
	s_or_b32 exec_lo, exec_lo, s10
	s_delay_alu instid0(SALU_CYCLE_1)
	s_mov_b32 s10, exec_lo
	v_cmpx_ne_u32_e32 0, v10
	s_cbranch_execz .LBB2_4332
; %bb.4329:                             ;   in Loop: Header=BB2_4142 Depth=1
	s_and_saveexec_b32 s18, s7
	s_cbranch_execz .LBB2_4331
; %bb.4330:                             ;   in Loop: Header=BB2_4142 Depth=1
	s_waitcnt_vscnt null, 0x0
	flat_store_b32 v[34:35], v70
.LBB2_4331:                             ;   in Loop: Header=BB2_4142 Depth=1
	s_or_b32 exec_lo, exec_lo, s18
	v_add_co_u32 v8, vcc_lo, v8, 1
	v_add_co_ci_u32_e32 v9, vcc_lo, 0, v9, vcc_lo
	s_waitcnt lgkmcnt(0)
	s_waitcnt_vscnt null, 0x0
	flat_store_b64 v[22:23], v[8:9]
.LBB2_4332:                             ;   in Loop: Header=BB2_4142 Depth=1
	s_or_b32 exec_lo, exec_lo, s10
.LBB2_4333:                             ;   in Loop: Header=BB2_4142 Depth=1
	s_delay_alu instid0(SALU_CYCLE_1) | instskip(SKIP_2) | instid1(VALU_DEP_1)
	s_or_b32 exec_lo, exec_lo, s11
	v_add_co_u32 v14, vcc_lo, v14, v32
	v_add_co_ci_u32_e32 v15, vcc_lo, 0, v15, vcc_lo
	v_cmp_ge_u64_e32 vcc_lo, v[14:15], v[4:5]
	s_or_b32 s14, vcc_lo, s14
	s_delay_alu instid0(SALU_CYCLE_1)
	s_and_not1_b32 exec_lo, exec_lo, s14
	s_cbranch_execnz .LBB2_4142
; %bb.4334:
	s_or_b32 exec_lo, exec_lo, s14
.LBB2_4335:
	s_delay_alu instid0(SALU_CYCLE_1)
	s_or_b32 exec_lo, exec_lo, s15
.LBB2_4336:
	s_delay_alu instid0(SALU_CYCLE_1) | instskip(SKIP_2) | instid1(VALU_DEP_1)
	s_or_b32 exec_lo, exec_lo, s12
	v_and_b32_e32 v0, 0x800, v64
	s_mov_b32 s0, exec_lo
	v_cmpx_eq_u32_e32 0, v0
	s_cbranch_execz .LBB2_4551
; %bb.4337:
	v_and_b32_e32 v0, 48, v64
	s_mov_b32 s1, exec_lo
	s_delay_alu instid0(VALU_DEP_1)
	v_cmpx_ne_u32_e32 0, v0
	s_cbranch_execz .LBB2_4339
; %bb.4338:
	flat_store_b64 v[20:21], v[8:9] offset:104
.LBB2_4339:
	s_or_b32 exec_lo, exec_lo, s1
	v_and_b32_e32 v0, 0x88, v64
	s_mov_b32 s1, exec_lo
	s_delay_alu instid0(VALU_DEP_1)
	v_cmpx_eq_u32_e32 0x88, v0
	s_cbranch_execz .LBB2_4389
; %bb.4340:
	v_add_nc_u32_e32 v0, -1, v8
	s_mov_b32 s2, 0
                                        ; implicit-def: $sgpr3
	s_delay_alu instid0(VALU_DEP_1) | instskip(NEXT) | instid1(VALU_DEP_1)
	v_and_b32_e32 v0, 7, v0
	v_mad_u64_u32 v[4:5], null, v0, 24, v[6:7]
	v_mov_b32_e32 v0, 0
	s_delay_alu instid0(VALU_DEP_2) | instskip(NEXT) | instid1(VALU_DEP_3)
	v_add_co_u32 v4, vcc_lo, v4, 8
	v_add_co_ci_u32_e32 v5, vcc_lo, 0, v5, vcc_lo
	s_branch .LBB2_4373
.LBB2_4341:
	s_trap 2
	s_sendmsg_rtn_b32 s0, sendmsg(MSG_RTN_GET_DOORBELL)
	s_mov_b32 ttmp2, m0
	s_waitcnt lgkmcnt(0)
	s_and_b32 s0, s0, 0x3ff
	s_delay_alu instid0(SALU_CYCLE_1) | instskip(NEXT) | instid1(SALU_CYCLE_1)
	s_bitset1_b32 s0, 10
	s_mov_b32 m0, s0
	s_sendmsg sendmsg(MSG_INTERRUPT)
	s_mov_b32 m0, ttmp2
.LBB2_4342:                             ; =>This Inner Loop Header: Depth=1
	s_sethalt 5
	s_branch .LBB2_4342
.LBB2_4343:
	v_bfe_u32 v10, v6, 8, 8
	v_not_b32_e32 v8, v8
	s_mov_b32 s1, exec_lo
                                        ; implicit-def: $vgpr28_vgpr29
                                        ; implicit-def: $vgpr4_vgpr5
                                        ; implicit-def: $vgpr18_vgpr19
	s_delay_alu instid0(VALU_DEP_2)
	v_cmpx_ne_u32_e64 v10, v9
	s_xor_b32 s1, exec_lo, s1
	s_cbranch_execz .LBB2_4345
; %bb.4344:
	s_clause 0x1
	flat_load_b128 v[4:7], v[2:3] offset:72
	flat_load_b64 v[10:11], v[2:3] offset:96
	v_add_nc_u32_e32 v8, v9, v8
	s_delay_alu instid0(VALU_DEP_1) | instskip(SKIP_1) | instid1(VALU_DEP_1)
	v_ashrrev_i32_e32 v9, 31, v8
	s_waitcnt vmcnt(1) lgkmcnt(1)
	v_mul_lo_u32 v9, v6, v9
	v_mad_u64_u32 v[18:19], null, v6, v8, v[4:5]
	v_mul_lo_u32 v4, v7, v8
	s_waitcnt vmcnt(0) lgkmcnt(0)
	v_lshrrev_b64 v[28:29], 12, v[10:11]
                                        ; implicit-def: $vgpr10
                                        ; implicit-def: $vgpr8
	s_delay_alu instid0(VALU_DEP_2)
	v_add3_u32 v19, v4, v19, v9
	v_dual_mov_b32 v4, v6 :: v_dual_mov_b32 v5, v7
.LBB2_4345:
	s_and_not1_saveexec_b32 s1, s1
	s_cbranch_execz .LBB2_4347
; %bb.4346:
	s_clause 0x1
	flat_load_b128 v[20:23], v[2:3] offset:72
	flat_load_b128 v[4:7], v[2:3] offset:88
	s_waitcnt vmcnt(0) lgkmcnt(0)
	v_add_nc_u32_e32 v6, v10, v8
	s_delay_alu instid0(VALU_DEP_1) | instskip(NEXT) | instid1(VALU_DEP_1)
	v_ashrrev_i32_e32 v8, 31, v6
	v_mul_lo_u32 v8, v22, v8
	v_mad_u64_u32 v[18:19], null, v22, v6, v[20:21]
	v_mul_lo_u32 v6, v23, v6
	v_lshrrev_b32_e32 v28, 1, v7
	s_delay_alu instid0(VALU_DEP_2)
	v_add3_u32 v19, v6, v19, v8
.LBB2_4347:
	s_or_b32 exec_lo, exec_lo, s1
	s_and_not1_saveexec_b32 s0, s0
	s_cbranch_execnz .LBB2_4348
; %bb.4701:
	s_getpc_b64 s[34:35]
.Lpost_getpc35:
	s_add_u32 s34, s34, (.LBB2_3-.Lpost_getpc35)&4294967295
	s_addc_u32 s35, s35, (.LBB2_3-.Lpost_getpc35)>>32
	s_setpc_b64 s[34:35]
.LBB2_4348:
	s_clause 0x1
	flat_load_b64 v[6:7], v[2:3] offset:96
	flat_load_b64 v[4:5], v[2:3] offset:72
	v_mov_b32_e32 v18, 0
	v_mov_b32_e32 v19, 0
	s_waitcnt vmcnt(1) lgkmcnt(1)
	v_lshlrev_b64 v[28:29], 9, v[6:7]
	s_or_b32 exec_lo, exec_lo, s0
	s_cbranch_execnz .LBB2_4349
; %bb.4703:
	s_getpc_b64 s[34:35]
.Lpost_getpc36:
	s_add_u32 s34, s34, (.LBB2_4-.Lpost_getpc36)&4294967295
	s_addc_u32 s35, s35, (.LBB2_4-.Lpost_getpc36)>>32
	s_setpc_b64 s[34:35]
.LBB2_4349:
	s_trap 2
	s_sendmsg_rtn_b32 s0, sendmsg(MSG_RTN_GET_DOORBELL)
	s_mov_b32 ttmp2, m0
	s_waitcnt lgkmcnt(0)
	s_and_b32 s0, s0, 0x3ff
	s_delay_alu instid0(SALU_CYCLE_1) | instskip(NEXT) | instid1(SALU_CYCLE_1)
	s_bitset1_b32 s0, 10
	s_mov_b32 m0, s0
	s_sendmsg sendmsg(MSG_INTERRUPT)
	s_mov_b32 m0, ttmp2
.LBB2_4350:                             ; =>This Inner Loop Header: Depth=1
	s_sethalt 5
	s_branch .LBB2_4350
.LBB2_4351:
	s_trap 2
	s_sendmsg_rtn_b32 s0, sendmsg(MSG_RTN_GET_DOORBELL)
	s_mov_b32 ttmp2, m0
	s_waitcnt lgkmcnt(0)
	s_and_b32 s0, s0, 0x3ff
	s_delay_alu instid0(SALU_CYCLE_1) | instskip(NEXT) | instid1(SALU_CYCLE_1)
	s_bitset1_b32 s0, 10
	s_mov_b32 m0, s0
	s_sendmsg sendmsg(MSG_INTERRUPT)
	s_mov_b32 m0, ttmp2
.LBB2_4352:                             ; =>This Inner Loop Header: Depth=1
	s_sethalt 5
	s_branch .LBB2_4352
.LBB2_4353:
	s_trap 2
	s_sendmsg_rtn_b32 s0, sendmsg(MSG_RTN_GET_DOORBELL)
	s_mov_b32 ttmp2, m0
	s_waitcnt lgkmcnt(0)
	s_and_b32 s0, s0, 0x3ff
	s_delay_alu instid0(SALU_CYCLE_1) | instskip(NEXT) | instid1(SALU_CYCLE_1)
	s_bitset1_b32 s0, 10
	s_mov_b32 m0, s0
	s_sendmsg sendmsg(MSG_INTERRUPT)
	s_mov_b32 m0, ttmp2
.LBB2_4354:                             ; =>This Inner Loop Header: Depth=1
	s_sethalt 5
	s_branch .LBB2_4354
.LBB2_4355:
	s_trap 2
	s_sendmsg_rtn_b32 s0, sendmsg(MSG_RTN_GET_DOORBELL)
	s_mov_b32 ttmp2, m0
	s_waitcnt lgkmcnt(0)
	s_and_b32 s0, s0, 0x3ff
	s_delay_alu instid0(SALU_CYCLE_1) | instskip(NEXT) | instid1(SALU_CYCLE_1)
	s_bitset1_b32 s0, 10
	s_mov_b32 m0, s0
	s_sendmsg sendmsg(MSG_INTERRUPT)
	s_mov_b32 m0, ttmp2
.LBB2_4356:                             ; =>This Inner Loop Header: Depth=1
	s_sethalt 5
	s_branch .LBB2_4356
.LBB2_4357:
	s_trap 2
	s_sendmsg_rtn_b32 s0, sendmsg(MSG_RTN_GET_DOORBELL)
	s_mov_b32 ttmp2, m0
	s_waitcnt lgkmcnt(0)
	s_and_b32 s0, s0, 0x3ff
	s_delay_alu instid0(SALU_CYCLE_1) | instskip(NEXT) | instid1(SALU_CYCLE_1)
	s_bitset1_b32 s0, 10
	s_mov_b32 m0, s0
	s_sendmsg sendmsg(MSG_INTERRUPT)
	s_mov_b32 m0, ttmp2
.LBB2_4358:                             ; =>This Inner Loop Header: Depth=1
	s_sethalt 5
	s_branch .LBB2_4358
.LBB2_4359:
	s_trap 2
	s_sendmsg_rtn_b32 s0, sendmsg(MSG_RTN_GET_DOORBELL)
	s_mov_b32 ttmp2, m0
	s_waitcnt lgkmcnt(0)
	s_and_b32 s0, s0, 0x3ff
	s_delay_alu instid0(SALU_CYCLE_1) | instskip(NEXT) | instid1(SALU_CYCLE_1)
	s_bitset1_b32 s0, 10
	s_mov_b32 m0, s0
	s_sendmsg sendmsg(MSG_INTERRUPT)
	s_mov_b32 m0, ttmp2
.LBB2_4360:                             ; =>This Inner Loop Header: Depth=1
	s_sethalt 5
	s_branch .LBB2_4360
.LBB2_4361:
	s_trap 2
	s_sendmsg_rtn_b32 s0, sendmsg(MSG_RTN_GET_DOORBELL)
	s_mov_b32 ttmp2, m0
	s_waitcnt lgkmcnt(0)
	s_and_b32 s0, s0, 0x3ff
	s_delay_alu instid0(SALU_CYCLE_1) | instskip(NEXT) | instid1(SALU_CYCLE_1)
	s_bitset1_b32 s0, 10
	s_mov_b32 m0, s0
	s_sendmsg sendmsg(MSG_INTERRUPT)
	s_mov_b32 m0, ttmp2
.LBB2_4362:                             ; =>This Inner Loop Header: Depth=1
	s_sethalt 5
	s_branch .LBB2_4362
.LBB2_4363:
	s_trap 2
	s_sendmsg_rtn_b32 s0, sendmsg(MSG_RTN_GET_DOORBELL)
	s_mov_b32 ttmp2, m0
	s_waitcnt lgkmcnt(0)
	s_and_b32 s0, s0, 0x3ff
	s_delay_alu instid0(SALU_CYCLE_1) | instskip(NEXT) | instid1(SALU_CYCLE_1)
	s_bitset1_b32 s0, 10
	s_mov_b32 m0, s0
	s_sendmsg sendmsg(MSG_INTERRUPT)
	s_mov_b32 m0, ttmp2
.LBB2_4364:                             ; =>This Inner Loop Header: Depth=1
	s_sethalt 5
	s_branch .LBB2_4364
.LBB2_4365:
	s_trap 2
	s_sendmsg_rtn_b32 s0, sendmsg(MSG_RTN_GET_DOORBELL)
	s_mov_b32 ttmp2, m0
	s_waitcnt lgkmcnt(0)
	s_and_b32 s0, s0, 0x3ff
	s_delay_alu instid0(SALU_CYCLE_1) | instskip(NEXT) | instid1(SALU_CYCLE_1)
	s_bitset1_b32 s0, 10
	s_mov_b32 m0, s0
	s_sendmsg sendmsg(MSG_INTERRUPT)
	s_mov_b32 m0, ttmp2
.LBB2_4366:                             ; =>This Inner Loop Header: Depth=1
	s_sethalt 5
	s_branch .LBB2_4366
.LBB2_4367:
	s_trap 2
	s_sendmsg_rtn_b32 s0, sendmsg(MSG_RTN_GET_DOORBELL)
	s_mov_b32 ttmp2, m0
	s_waitcnt lgkmcnt(0)
	s_and_b32 s0, s0, 0x3ff
	s_delay_alu instid0(SALU_CYCLE_1) | instskip(NEXT) | instid1(SALU_CYCLE_1)
	s_bitset1_b32 s0, 10
	s_mov_b32 m0, s0
	s_sendmsg sendmsg(MSG_INTERRUPT)
	s_mov_b32 m0, ttmp2
.LBB2_4368:                             ; =>This Inner Loop Header: Depth=1
	s_sethalt 5
	s_branch .LBB2_4368
.LBB2_4369:                             ;   in Loop: Header=BB2_4373 Depth=1
	s_or_b32 exec_lo, exec_lo, s10
	v_mov_b32_e32 v6, 0
	s_or_not1_b32 s7, s7, exec_lo
.LBB2_4370:                             ;   in Loop: Header=BB2_4373 Depth=1
	s_or_b32 exec_lo, exec_lo, s6
	s_delay_alu instid0(VALU_DEP_1)
	v_mov_b32_e32 v0, v6
	s_and_b32 s6, s7, exec_lo
.LBB2_4371:                             ;   in Loop: Header=BB2_4373 Depth=1
	s_or_b32 exec_lo, exec_lo, s5
	s_xor_b32 s5, s6, -1
	s_and_not1_b32 s3, s3, exec_lo
	s_and_b32 s5, s5, exec_lo
	s_delay_alu instid0(SALU_CYCLE_1)
	s_or_b32 s3, s3, s5
.LBB2_4372:                             ;   in Loop: Header=BB2_4373 Depth=1
	s_or_b32 exec_lo, exec_lo, s4
	s_delay_alu instid0(SALU_CYCLE_1) | instskip(NEXT) | instid1(SALU_CYCLE_1)
	s_and_b32 s4, exec_lo, s3
	s_or_b32 s2, s4, s2
	s_delay_alu instid0(SALU_CYCLE_1)
	s_and_not1_b32 exec_lo, exec_lo, s2
	s_cbranch_execz .LBB2_4388
.LBB2_4373:                             ; =>This Inner Loop Header: Depth=1
	flat_load_b64 v[6:7], v[4:5] glc dlc
	s_waitcnt vmcnt(0)
	s_or_b32 s3, s3, exec_lo
	s_mov_b32 s4, exec_lo
	s_waitcnt lgkmcnt(0)
	v_cmpx_ne_u64_e32 -1, v[6:7]
	s_cbranch_execz .LBB2_4372
; %bb.4374:                             ;   in Loop: Header=BB2_4373 Depth=1
	v_and_b32_e32 v6, 64, v64
	s_mov_b32 s6, 0
	s_mov_b32 s5, exec_lo
	s_delay_alu instid0(VALU_DEP_1)
	v_cmpx_eq_u32_e32 0, v6
	s_cbranch_execz .LBB2_4371
; %bb.4375:                             ;   in Loop: Header=BB2_4373 Depth=1
	v_add_nc_u32_e32 v6, 1, v0
	s_mov_b32 s7, -1
	s_mov_b32 s6, exec_lo
	v_cmpx_lt_i32_e32 0x270e, v0
	s_cbranch_execz .LBB2_4370
; %bb.4376:                             ;   in Loop: Header=BB2_4373 Depth=1
	s_cbranch_execnz .LBB2_4380
; %bb.4377:                             ;   in Loop: Header=BB2_4373 Depth=1
	ds_load_b64 v[6:7], v0
	s_mov_b32 s10, exec_lo
	s_waitcnt lgkmcnt(0)
	s_waitcnt_vscnt null, 0x0
	flat_load_b32 v0, v[6:7] glc
	s_waitcnt vmcnt(0) lgkmcnt(0)
	buffer_gl1_inv
	buffer_gl0_inv
	v_cmpx_ne_u32_e32 0, v0
	s_cbranch_execz .LBB2_4369
; %bb.4378:                             ;   in Loop: Header=BB2_4373 Depth=1
	ds_store_b32 v0, v0
	s_cbranch_execnz .LBB2_4402
; %bb.4379:                             ;   in Loop: Header=BB2_4373 Depth=1
	v_or_b32_e32 v64, 64, v64
	s_xor_b32 s7, exec_lo, -1
	s_branch .LBB2_4369
.LBB2_4380:
	s_trap 2
	s_sendmsg_rtn_b32 s0, sendmsg(MSG_RTN_GET_DOORBELL)
	s_mov_b32 ttmp2, m0
	s_waitcnt lgkmcnt(0)
	s_and_b32 s0, s0, 0x3ff
	s_delay_alu instid0(SALU_CYCLE_1) | instskip(NEXT) | instid1(SALU_CYCLE_1)
	s_bitset1_b32 s0, 10
	s_mov_b32 m0, s0
	s_sendmsg sendmsg(MSG_INTERRUPT)
	s_mov_b32 m0, ttmp2
.LBB2_4381:                             ; =>This Inner Loop Header: Depth=1
	s_sethalt 5
	s_branch .LBB2_4381
.LBB2_4382:
	s_trap 2
	s_sendmsg_rtn_b32 s0, sendmsg(MSG_RTN_GET_DOORBELL)
	s_mov_b32 ttmp2, m0
	s_waitcnt lgkmcnt(0)
	s_and_b32 s0, s0, 0x3ff
	s_delay_alu instid0(SALU_CYCLE_1) | instskip(NEXT) | instid1(SALU_CYCLE_1)
	s_bitset1_b32 s0, 10
	s_mov_b32 m0, s0
	s_sendmsg sendmsg(MSG_INTERRUPT)
	s_mov_b32 m0, ttmp2
.LBB2_4383:                             ; =>This Inner Loop Header: Depth=1
	s_sethalt 5
	s_branch .LBB2_4383
.LBB2_4384:
	s_trap 2
	s_sendmsg_rtn_b32 s0, sendmsg(MSG_RTN_GET_DOORBELL)
	s_mov_b32 ttmp2, m0
	s_waitcnt lgkmcnt(0)
	s_and_b32 s0, s0, 0x3ff
	s_delay_alu instid0(SALU_CYCLE_1) | instskip(NEXT) | instid1(SALU_CYCLE_1)
	s_bitset1_b32 s0, 10
	s_mov_b32 m0, s0
	s_sendmsg sendmsg(MSG_INTERRUPT)
	s_mov_b32 m0, ttmp2
.LBB2_4385:                             ; =>This Inner Loop Header: Depth=1
	s_sethalt 5
	s_branch .LBB2_4385
.LBB2_4386:
	s_trap 2
	s_sendmsg_rtn_b32 s0, sendmsg(MSG_RTN_GET_DOORBELL)
	s_mov_b32 ttmp2, m0
	s_waitcnt lgkmcnt(0)
	s_and_b32 s0, s0, 0x3ff
	s_delay_alu instid0(SALU_CYCLE_1) | instskip(NEXT) | instid1(SALU_CYCLE_1)
	s_bitset1_b32 s0, 10
	s_mov_b32 m0, s0
	s_sendmsg sendmsg(MSG_INTERRUPT)
	s_mov_b32 m0, ttmp2
.LBB2_4387:                             ; =>This Inner Loop Header: Depth=1
	s_sethalt 5
	s_branch .LBB2_4387
.LBB2_4388:
	s_or_b32 exec_lo, exec_lo, s2
.LBB2_4389:
	s_delay_alu instid0(SALU_CYCLE_1) | instskip(SKIP_2) | instid1(VALU_DEP_1)
	s_or_b32 exec_lo, exec_lo, s1
	v_and_b32_e32 v0, 0x2000, v64
	s_mov_b32 s1, exec_lo
	v_cmpx_ne_u32_e32 0, v0
	s_cbranch_execz .LBB2_4392
; %bb.4390:
	s_cbranch_execnz .LBB2_4400
; %bb.4391:
	ds_load_b64 v[4:5], v0
	s_waitcnt lgkmcnt(0)
	flat_store_b64 v[2:3], v[4:5] offset:16
.LBB2_4392:
	s_or_b32 exec_lo, exec_lo, s1
	v_cmp_ne_u32_e32 vcc_lo, 32, v1
	s_and_b32 exec_lo, exec_lo, vcc_lo
	s_cbranch_execz .LBB2_4551
; %bb.4393:
	s_mov_b32 s1, exec_lo
	v_cmpx_ne_u32_e64 v30, v1
	s_xor_b32 s1, exec_lo, s1
	s_cbranch_execz .LBB2_4549
; %bb.4394:
	v_and_b32_e32 v0, 31, v31
	s_mov_b32 s2, exec_lo
	s_delay_alu instid0(VALU_DEP_1)
	v_cmpx_eq_u32_e32 0, v0
	s_cbranch_execz .LBB2_4548
; %bb.4395:
	s_mov_b32 s4, exec_lo
	s_mov_b32 s3, exec_lo
	v_mbcnt_lo_u32_b32 v0, s4, 0
	s_waitcnt vmcnt(0) lgkmcnt(0)
	s_waitcnt_vscnt null, 0x0
	buffer_gl1_inv
	buffer_gl0_inv
	v_cmpx_eq_u32_e32 0, v0
	s_cbranch_execz .LBB2_4397
; %bb.4396:
	s_bcnt1_i32_b32 s4, s4
	s_delay_alu instid0(SALU_CYCLE_1)
	v_dual_mov_b32 v3, 0 :: v_dual_mov_b32 v2, s4
	ds_add_u64 v0, v[2:3]
	s_cbranch_execnz .LBB2_4445
.LBB2_4397:
	s_or_b32 exec_lo, exec_lo, s3
	s_cbranch_execnz .LBB2_4428
; %bb.4398:
	v_ashrrev_i32_e32 v0, 31, v1
	s_mov_b32 s3, exec_lo
	s_delay_alu instid0(VALU_DEP_1) | instskip(NEXT) | instid1(VALU_DEP_1)
	v_lshrrev_b32_e32 v0, 27, v0
	v_add_nc_u32_e32 v0, v1, v0
	ds_load_b64 v[2:3], v0
	v_ashrrev_i32_e32 v0, 5, v0
	s_delay_alu instid0(VALU_DEP_1) | instskip(SKIP_1) | instid1(VALU_DEP_2)
	v_ashrrev_i32_e32 v1, 31, v0
	v_add_co_u32 v0, vcc_lo, v28, v0
	v_add_co_ci_u32_e32 v1, vcc_lo, v29, v1, vcc_lo
	s_waitcnt lgkmcnt(0)
	s_delay_alu instid0(VALU_DEP_1)
	v_cmpx_lt_u64_e64 v[2:3], v[0:1]
	s_cbranch_execz .LBB2_4547
; %bb.4399:
	s_mov_b32 s4, 0
	s_mov_b32 s7, 0
                                        ; implicit-def: $sgpr5
                                        ; implicit-def: $sgpr6
	s_branch .LBB2_4435
.LBB2_4400:
	s_trap 2
	s_sendmsg_rtn_b32 s0, sendmsg(MSG_RTN_GET_DOORBELL)
	s_mov_b32 ttmp2, m0
	s_waitcnt lgkmcnt(0)
	s_and_b32 s0, s0, 0x3ff
	s_delay_alu instid0(SALU_CYCLE_1) | instskip(NEXT) | instid1(SALU_CYCLE_1)
	s_bitset1_b32 s0, 10
	s_mov_b32 m0, s0
	s_sendmsg sendmsg(MSG_INTERRUPT)
	s_mov_b32 m0, ttmp2
.LBB2_4401:                             ; =>This Inner Loop Header: Depth=1
	s_sethalt 5
	s_branch .LBB2_4401
.LBB2_4402:
	s_trap 2
	s_sendmsg_rtn_b32 s0, sendmsg(MSG_RTN_GET_DOORBELL)
	s_mov_b32 ttmp2, m0
	s_waitcnt lgkmcnt(0)
	s_and_b32 s0, s0, 0x3ff
	s_delay_alu instid0(SALU_CYCLE_1) | instskip(NEXT) | instid1(SALU_CYCLE_1)
	s_bitset1_b32 s0, 10
	s_mov_b32 m0, s0
	s_sendmsg sendmsg(MSG_INTERRUPT)
	s_mov_b32 m0, ttmp2
.LBB2_4403:                             ; =>This Inner Loop Header: Depth=1
	s_sethalt 5
	s_branch .LBB2_4403
.LBB2_4404:
	s_trap 2
	s_sendmsg_rtn_b32 s0, sendmsg(MSG_RTN_GET_DOORBELL)
	s_mov_b32 ttmp2, m0
	s_waitcnt lgkmcnt(0)
	s_and_b32 s0, s0, 0x3ff
	s_delay_alu instid0(SALU_CYCLE_1) | instskip(NEXT) | instid1(SALU_CYCLE_1)
	s_bitset1_b32 s0, 10
	s_mov_b32 m0, s0
	s_sendmsg sendmsg(MSG_INTERRUPT)
	s_mov_b32 m0, ttmp2
.LBB2_4405:                             ; =>This Inner Loop Header: Depth=1
	s_sethalt 5
	s_branch .LBB2_4405
.LBB2_4406:
	s_trap 2
	s_sendmsg_rtn_b32 s0, sendmsg(MSG_RTN_GET_DOORBELL)
	s_mov_b32 ttmp2, m0
	s_waitcnt lgkmcnt(0)
	s_and_b32 s0, s0, 0x3ff
	s_delay_alu instid0(SALU_CYCLE_1) | instskip(NEXT) | instid1(SALU_CYCLE_1)
	s_bitset1_b32 s0, 10
	s_mov_b32 m0, s0
	s_sendmsg sendmsg(MSG_INTERRUPT)
	s_mov_b32 m0, ttmp2
.LBB2_4407:                             ; =>This Inner Loop Header: Depth=1
	s_sethalt 5
	s_branch .LBB2_4407
.LBB2_4408:
	s_trap 2
	s_sendmsg_rtn_b32 s0, sendmsg(MSG_RTN_GET_DOORBELL)
	s_mov_b32 ttmp2, m0
	s_waitcnt lgkmcnt(0)
	s_and_b32 s0, s0, 0x3ff
	s_delay_alu instid0(SALU_CYCLE_1) | instskip(NEXT) | instid1(SALU_CYCLE_1)
	s_bitset1_b32 s0, 10
	s_mov_b32 m0, s0
	s_sendmsg sendmsg(MSG_INTERRUPT)
	s_mov_b32 m0, ttmp2
.LBB2_4409:                             ; =>This Inner Loop Header: Depth=1
	s_sethalt 5
	s_branch .LBB2_4409
.LBB2_4410:
	s_trap 2
	s_sendmsg_rtn_b32 s0, sendmsg(MSG_RTN_GET_DOORBELL)
	s_mov_b32 ttmp2, m0
	s_waitcnt lgkmcnt(0)
	s_and_b32 s0, s0, 0x3ff
	s_delay_alu instid0(SALU_CYCLE_1) | instskip(NEXT) | instid1(SALU_CYCLE_1)
	s_bitset1_b32 s0, 10
	s_mov_b32 m0, s0
	s_sendmsg sendmsg(MSG_INTERRUPT)
	s_mov_b32 m0, ttmp2
.LBB2_4411:                             ; =>This Inner Loop Header: Depth=1
	s_sethalt 5
	s_branch .LBB2_4411
.LBB2_4412:
	s_trap 2
	s_sendmsg_rtn_b32 s0, sendmsg(MSG_RTN_GET_DOORBELL)
	s_mov_b32 ttmp2, m0
	s_waitcnt lgkmcnt(0)
	s_and_b32 s0, s0, 0x3ff
	s_delay_alu instid0(SALU_CYCLE_1) | instskip(NEXT) | instid1(SALU_CYCLE_1)
	s_bitset1_b32 s0, 10
	s_mov_b32 m0, s0
	s_sendmsg sendmsg(MSG_INTERRUPT)
	s_mov_b32 m0, ttmp2
.LBB2_4413:                             ; =>This Inner Loop Header: Depth=1
	s_sethalt 5
	s_branch .LBB2_4413
.LBB2_4414:
	s_trap 2
	s_sendmsg_rtn_b32 s0, sendmsg(MSG_RTN_GET_DOORBELL)
	s_mov_b32 ttmp2, m0
	s_waitcnt lgkmcnt(0)
	s_and_b32 s0, s0, 0x3ff
	s_delay_alu instid0(SALU_CYCLE_1) | instskip(NEXT) | instid1(SALU_CYCLE_1)
	s_bitset1_b32 s0, 10
	s_mov_b32 m0, s0
	s_sendmsg sendmsg(MSG_INTERRUPT)
	s_mov_b32 m0, ttmp2
.LBB2_4415:                             ; =>This Inner Loop Header: Depth=1
	s_sethalt 5
	s_branch .LBB2_4415
.LBB2_4416:
	s_trap 2
	s_sendmsg_rtn_b32 s0, sendmsg(MSG_RTN_GET_DOORBELL)
	s_mov_b32 ttmp2, m0
	s_waitcnt lgkmcnt(0)
	s_and_b32 s0, s0, 0x3ff
	s_delay_alu instid0(SALU_CYCLE_1) | instskip(NEXT) | instid1(SALU_CYCLE_1)
	s_bitset1_b32 s0, 10
	s_mov_b32 m0, s0
	s_sendmsg sendmsg(MSG_INTERRUPT)
	s_mov_b32 m0, ttmp2
.LBB2_4417:                             ; =>This Inner Loop Header: Depth=1
	s_sethalt 5
	s_branch .LBB2_4417
.LBB2_4418:
	s_trap 2
	s_sendmsg_rtn_b32 s0, sendmsg(MSG_RTN_GET_DOORBELL)
	s_mov_b32 ttmp2, m0
	s_waitcnt lgkmcnt(0)
	s_and_b32 s0, s0, 0x3ff
	s_delay_alu instid0(SALU_CYCLE_1) | instskip(NEXT) | instid1(SALU_CYCLE_1)
	s_bitset1_b32 s0, 10
	s_mov_b32 m0, s0
	s_sendmsg sendmsg(MSG_INTERRUPT)
	s_mov_b32 m0, ttmp2
.LBB2_4419:                             ; =>This Inner Loop Header: Depth=1
	s_sethalt 5
	s_branch .LBB2_4419
.LBB2_4420:
	s_trap 2
	s_sendmsg_rtn_b32 s0, sendmsg(MSG_RTN_GET_DOORBELL)
	s_mov_b32 ttmp2, m0
	s_waitcnt lgkmcnt(0)
	s_and_b32 s0, s0, 0x3ff
	s_delay_alu instid0(SALU_CYCLE_1) | instskip(NEXT) | instid1(SALU_CYCLE_1)
	s_bitset1_b32 s0, 10
	s_mov_b32 m0, s0
	s_sendmsg sendmsg(MSG_INTERRUPT)
	s_mov_b32 m0, ttmp2
.LBB2_4421:                             ; =>This Inner Loop Header: Depth=1
	s_sethalt 5
	s_branch .LBB2_4421
.LBB2_4422:
	s_trap 2
	s_sendmsg_rtn_b32 s0, sendmsg(MSG_RTN_GET_DOORBELL)
	s_mov_b32 ttmp2, m0
	s_waitcnt lgkmcnt(0)
	s_and_b32 s0, s0, 0x3ff
	s_delay_alu instid0(SALU_CYCLE_1) | instskip(NEXT) | instid1(SALU_CYCLE_1)
	s_bitset1_b32 s0, 10
	s_mov_b32 m0, s0
	s_sendmsg sendmsg(MSG_INTERRUPT)
	s_mov_b32 m0, ttmp2
.LBB2_4423:                             ; =>This Inner Loop Header: Depth=1
	s_sethalt 5
	s_branch .LBB2_4423
.LBB2_4424:
	s_trap 2
	s_sendmsg_rtn_b32 s0, sendmsg(MSG_RTN_GET_DOORBELL)
	s_mov_b32 ttmp2, m0
	s_waitcnt lgkmcnt(0)
	s_and_b32 s0, s0, 0x3ff
	s_delay_alu instid0(SALU_CYCLE_1) | instskip(NEXT) | instid1(SALU_CYCLE_1)
	s_bitset1_b32 s0, 10
	s_mov_b32 m0, s0
	s_sendmsg sendmsg(MSG_INTERRUPT)
	s_mov_b32 m0, ttmp2
.LBB2_4425:                             ; =>This Inner Loop Header: Depth=1
	s_sethalt 5
	s_branch .LBB2_4425
.LBB2_4426:
	s_trap 2
	s_sendmsg_rtn_b32 s0, sendmsg(MSG_RTN_GET_DOORBELL)
	s_mov_b32 ttmp2, m0
	s_waitcnt lgkmcnt(0)
	s_and_b32 s0, s0, 0x3ff
	s_delay_alu instid0(SALU_CYCLE_1) | instskip(NEXT) | instid1(SALU_CYCLE_1)
	s_bitset1_b32 s0, 10
	s_mov_b32 m0, s0
	s_sendmsg sendmsg(MSG_INTERRUPT)
	s_mov_b32 m0, ttmp2
.LBB2_4427:                             ; =>This Inner Loop Header: Depth=1
	s_sethalt 5
	s_branch .LBB2_4427
.LBB2_4428:
	s_trap 2
	s_sendmsg_rtn_b32 s0, sendmsg(MSG_RTN_GET_DOORBELL)
	s_mov_b32 ttmp2, m0
	s_waitcnt lgkmcnt(0)
	s_and_b32 s0, s0, 0x3ff
	s_delay_alu instid0(SALU_CYCLE_1) | instskip(NEXT) | instid1(SALU_CYCLE_1)
	s_bitset1_b32 s0, 10
	s_mov_b32 m0, s0
	s_sendmsg sendmsg(MSG_INTERRUPT)
	s_mov_b32 m0, ttmp2
.LBB2_4429:                             ; =>This Inner Loop Header: Depth=1
	s_sethalt 5
	s_branch .LBB2_4429
.LBB2_4430:
	s_trap 2
	s_sendmsg_rtn_b32 s0, sendmsg(MSG_RTN_GET_DOORBELL)
	s_mov_b32 ttmp2, m0
	s_waitcnt lgkmcnt(0)
	s_and_b32 s0, s0, 0x3ff
	s_delay_alu instid0(SALU_CYCLE_1) | instskip(NEXT) | instid1(SALU_CYCLE_1)
	s_bitset1_b32 s0, 10
	s_mov_b32 m0, s0
	s_sendmsg sendmsg(MSG_INTERRUPT)
	s_mov_b32 m0, ttmp2
.LBB2_4431:                             ; =>This Inner Loop Header: Depth=1
	s_sethalt 5
	s_branch .LBB2_4431
.LBB2_4432:
	s_trap 2
	s_sendmsg_rtn_b32 s0, sendmsg(MSG_RTN_GET_DOORBELL)
	s_mov_b32 ttmp2, m0
	s_waitcnt lgkmcnt(0)
	s_and_b32 s0, s0, 0x3ff
	s_delay_alu instid0(SALU_CYCLE_1) | instskip(NEXT) | instid1(SALU_CYCLE_1)
	s_bitset1_b32 s0, 10
	s_mov_b32 m0, s0
	s_sendmsg sendmsg(MSG_INTERRUPT)
	s_mov_b32 m0, ttmp2
.LBB2_4433:                             ; =>This Inner Loop Header: Depth=1
	s_sethalt 5
	s_branch .LBB2_4433
.LBB2_4434:                             ;   in Loop: Header=BB2_4435 Depth=1
	s_or_b32 exec_lo, exec_lo, s12
	s_delay_alu instid0(SALU_CYCLE_1) | instskip(NEXT) | instid1(SALU_CYCLE_1)
	s_and_b32 s10, exec_lo, s11
	s_or_b32 s4, s10, s4
	s_and_not1_b32 s5, s5, exec_lo
	s_and_b32 s10, s6, exec_lo
	s_delay_alu instid0(SALU_CYCLE_1)
	s_or_b32 s5, s5, s10
	s_and_not1_b32 exec_lo, exec_lo, s4
	s_cbranch_execz .LBB2_4545
.LBB2_4435:                             ; =>This Inner Loop Header: Depth=1
	s_add_i32 s7, s7, 1
                                        ; implicit-def: $sgpr11
	s_delay_alu instid0(SALU_CYCLE_1) | instskip(SKIP_1) | instid1(SALU_CYCLE_1)
	s_cmpk_lg_i32 s7, 0x2710
	s_cselect_b32 s10, -1, 0
	s_and_b32 vcc_lo, exec_lo, s10
	s_cbranch_vccz .LBB2_4439
.LBB2_4436:                             ;   in Loop: Header=BB2_4435 Depth=1
	s_and_not1_b32 s6, s6, exec_lo
	s_and_b32 s12, s11, exec_lo
	s_mov_b32 s11, -1
	s_or_b32 s6, s6, s12
	s_and_saveexec_b32 s12, s10
	s_cbranch_execz .LBB2_4434
; %bb.4437:                             ;   in Loop: Header=BB2_4435 Depth=1
	s_sleep 1
	s_cbranch_execnz .LBB2_4461
; %bb.4438:                             ;   in Loop: Header=BB2_4435 Depth=1
	ds_load_b64 v[2:3], v0
	s_and_not1_b32 s6, s6, exec_lo
	s_waitcnt lgkmcnt(0)
	v_cmp_ge_u64_e32 vcc_lo, v[2:3], v[0:1]
	s_or_not1_b32 s11, vcc_lo, exec_lo
	s_branch .LBB2_4434
.LBB2_4439:                             ;   in Loop: Header=BB2_4435 Depth=1
	s_cbranch_execnz .LBB2_4469
; %bb.4440:                             ;   in Loop: Header=BB2_4435 Depth=1
	ds_load_b64 v[2:3], v0
	s_and_not1_b32 s10, s10, exec_lo
	s_mov_b32 s7, 0
	s_mov_b32 s11, -1
	s_waitcnt lgkmcnt(0)
	flat_load_b32 v2, v[2:3] glc
	s_waitcnt vmcnt(0) lgkmcnt(0)
	buffer_gl1_inv
	buffer_gl0_inv
	v_cmp_eq_u32_e32 vcc_lo, 0, v2
	s_and_b32 s12, vcc_lo, exec_lo
	s_delay_alu instid0(SALU_CYCLE_1)
	s_or_b32 s10, s10, s12
	s_branch .LBB2_4436
.LBB2_4441:
	s_trap 2
	s_sendmsg_rtn_b32 s0, sendmsg(MSG_RTN_GET_DOORBELL)
	s_mov_b32 ttmp2, m0
	s_waitcnt lgkmcnt(0)
	s_and_b32 s0, s0, 0x3ff
	s_delay_alu instid0(SALU_CYCLE_1) | instskip(NEXT) | instid1(SALU_CYCLE_1)
	s_bitset1_b32 s0, 10
	s_mov_b32 m0, s0
	s_sendmsg sendmsg(MSG_INTERRUPT)
	s_mov_b32 m0, ttmp2
.LBB2_4442:                             ; =>This Inner Loop Header: Depth=1
	s_sethalt 5
	s_branch .LBB2_4442
.LBB2_4443:
	s_trap 2
	s_sendmsg_rtn_b32 s0, sendmsg(MSG_RTN_GET_DOORBELL)
	s_mov_b32 ttmp2, m0
	s_waitcnt lgkmcnt(0)
	s_and_b32 s0, s0, 0x3ff
	s_delay_alu instid0(SALU_CYCLE_1) | instskip(NEXT) | instid1(SALU_CYCLE_1)
	s_bitset1_b32 s0, 10
	s_mov_b32 m0, s0
	s_sendmsg sendmsg(MSG_INTERRUPT)
	s_mov_b32 m0, ttmp2
.LBB2_4444:                             ; =>This Inner Loop Header: Depth=1
	s_sethalt 5
	s_branch .LBB2_4444
.LBB2_4445:
	s_trap 2
	s_sendmsg_rtn_b32 s0, sendmsg(MSG_RTN_GET_DOORBELL)
	s_mov_b32 ttmp2, m0
	s_waitcnt lgkmcnt(0)
	s_and_b32 s0, s0, 0x3ff
	s_delay_alu instid0(SALU_CYCLE_1) | instskip(NEXT) | instid1(SALU_CYCLE_1)
	s_bitset1_b32 s0, 10
	s_mov_b32 m0, s0
	s_sendmsg sendmsg(MSG_INTERRUPT)
	s_mov_b32 m0, ttmp2
.LBB2_4446:                             ; =>This Inner Loop Header: Depth=1
	s_sethalt 5
	s_branch .LBB2_4446
.LBB2_4447:
	s_trap 2
	s_sendmsg_rtn_b32 s0, sendmsg(MSG_RTN_GET_DOORBELL)
	s_mov_b32 ttmp2, m0
	s_waitcnt lgkmcnt(0)
	s_and_b32 s0, s0, 0x3ff
	s_delay_alu instid0(SALU_CYCLE_1) | instskip(NEXT) | instid1(SALU_CYCLE_1)
	s_bitset1_b32 s0, 10
	s_mov_b32 m0, s0
	s_sendmsg sendmsg(MSG_INTERRUPT)
	s_mov_b32 m0, ttmp2
.LBB2_4448:                             ; =>This Inner Loop Header: Depth=1
	s_sethalt 5
	s_branch .LBB2_4448
.LBB2_4449:
	s_trap 2
	s_sendmsg_rtn_b32 s0, sendmsg(MSG_RTN_GET_DOORBELL)
	s_mov_b32 ttmp2, m0
	s_waitcnt lgkmcnt(0)
	s_and_b32 s0, s0, 0x3ff
	s_delay_alu instid0(SALU_CYCLE_1) | instskip(NEXT) | instid1(SALU_CYCLE_1)
	s_bitset1_b32 s0, 10
	s_mov_b32 m0, s0
	s_sendmsg sendmsg(MSG_INTERRUPT)
	s_mov_b32 m0, ttmp2
.LBB2_4450:                             ; =>This Inner Loop Header: Depth=1
	s_sethalt 5
	s_branch .LBB2_4450
.LBB2_4451:
	s_trap 2
	s_sendmsg_rtn_b32 s0, sendmsg(MSG_RTN_GET_DOORBELL)
	s_mov_b32 ttmp2, m0
	s_waitcnt lgkmcnt(0)
	s_and_b32 s0, s0, 0x3ff
	s_delay_alu instid0(SALU_CYCLE_1) | instskip(NEXT) | instid1(SALU_CYCLE_1)
	s_bitset1_b32 s0, 10
	s_mov_b32 m0, s0
	s_sendmsg sendmsg(MSG_INTERRUPT)
	s_mov_b32 m0, ttmp2
.LBB2_4452:                             ; =>This Inner Loop Header: Depth=1
	s_sethalt 5
	s_branch .LBB2_4452
.LBB2_4453:
	s_trap 2
	s_sendmsg_rtn_b32 s0, sendmsg(MSG_RTN_GET_DOORBELL)
	s_mov_b32 ttmp2, m0
	s_waitcnt lgkmcnt(0)
	s_and_b32 s0, s0, 0x3ff
	s_delay_alu instid0(SALU_CYCLE_1) | instskip(NEXT) | instid1(SALU_CYCLE_1)
	s_bitset1_b32 s0, 10
	s_mov_b32 m0, s0
	s_sendmsg sendmsg(MSG_INTERRUPT)
	s_mov_b32 m0, ttmp2
.LBB2_4454:                             ; =>This Inner Loop Header: Depth=1
	s_sethalt 5
	s_branch .LBB2_4454
.LBB2_4455:
	s_trap 2
	s_sendmsg_rtn_b32 s0, sendmsg(MSG_RTN_GET_DOORBELL)
	s_mov_b32 ttmp2, m0
	s_waitcnt lgkmcnt(0)
	s_and_b32 s0, s0, 0x3ff
	s_delay_alu instid0(SALU_CYCLE_1) | instskip(NEXT) | instid1(SALU_CYCLE_1)
	s_bitset1_b32 s0, 10
	s_mov_b32 m0, s0
	s_sendmsg sendmsg(MSG_INTERRUPT)
	s_mov_b32 m0, ttmp2
.LBB2_4456:                             ; =>This Inner Loop Header: Depth=1
	s_sethalt 5
	s_branch .LBB2_4456
.LBB2_4457:
	s_trap 2
	s_sendmsg_rtn_b32 s0, sendmsg(MSG_RTN_GET_DOORBELL)
	s_mov_b32 ttmp2, m0
	s_waitcnt lgkmcnt(0)
	s_and_b32 s0, s0, 0x3ff
	s_delay_alu instid0(SALU_CYCLE_1) | instskip(NEXT) | instid1(SALU_CYCLE_1)
	s_bitset1_b32 s0, 10
	s_mov_b32 m0, s0
	s_sendmsg sendmsg(MSG_INTERRUPT)
	s_mov_b32 m0, ttmp2
.LBB2_4458:                             ; =>This Inner Loop Header: Depth=1
	s_sethalt 5
	s_branch .LBB2_4458
.LBB2_4459:
	s_trap 2
	s_sendmsg_rtn_b32 s0, sendmsg(MSG_RTN_GET_DOORBELL)
	s_mov_b32 ttmp2, m0
	s_waitcnt lgkmcnt(0)
	s_and_b32 s0, s0, 0x3ff
	s_delay_alu instid0(SALU_CYCLE_1) | instskip(NEXT) | instid1(SALU_CYCLE_1)
	s_bitset1_b32 s0, 10
	s_mov_b32 m0, s0
	s_sendmsg sendmsg(MSG_INTERRUPT)
	s_mov_b32 m0, ttmp2
.LBB2_4460:                             ; =>This Inner Loop Header: Depth=1
	s_sethalt 5
	s_branch .LBB2_4460
.LBB2_4461:
	s_trap 2
	s_sendmsg_rtn_b32 s0, sendmsg(MSG_RTN_GET_DOORBELL)
	s_mov_b32 ttmp2, m0
	s_waitcnt lgkmcnt(0)
	s_and_b32 s0, s0, 0x3ff
	s_delay_alu instid0(SALU_CYCLE_1) | instskip(NEXT) | instid1(SALU_CYCLE_1)
	s_bitset1_b32 s0, 10
	s_mov_b32 m0, s0
	s_sendmsg sendmsg(MSG_INTERRUPT)
	s_mov_b32 m0, ttmp2
.LBB2_4462:                             ; =>This Inner Loop Header: Depth=1
	s_sethalt 5
	s_branch .LBB2_4462
.LBB2_4463:
	s_trap 2
	s_sendmsg_rtn_b32 s0, sendmsg(MSG_RTN_GET_DOORBELL)
	s_mov_b32 ttmp2, m0
	s_waitcnt lgkmcnt(0)
	s_and_b32 s0, s0, 0x3ff
	s_delay_alu instid0(SALU_CYCLE_1) | instskip(NEXT) | instid1(SALU_CYCLE_1)
	s_bitset1_b32 s0, 10
	s_mov_b32 m0, s0
	s_sendmsg sendmsg(MSG_INTERRUPT)
	s_mov_b32 m0, ttmp2
.LBB2_4464:                             ; =>This Inner Loop Header: Depth=1
	s_sethalt 5
	s_branch .LBB2_4464
.LBB2_4465:
	s_trap 2
	s_sendmsg_rtn_b32 s0, sendmsg(MSG_RTN_GET_DOORBELL)
	s_mov_b32 ttmp2, m0
	s_waitcnt lgkmcnt(0)
	s_and_b32 s0, s0, 0x3ff
	s_delay_alu instid0(SALU_CYCLE_1) | instskip(NEXT) | instid1(SALU_CYCLE_1)
	s_bitset1_b32 s0, 10
	s_mov_b32 m0, s0
	s_sendmsg sendmsg(MSG_INTERRUPT)
	s_mov_b32 m0, ttmp2
.LBB2_4466:                             ; =>This Inner Loop Header: Depth=1
	s_sethalt 5
	s_branch .LBB2_4466
.LBB2_4467:
	s_trap 2
	s_sendmsg_rtn_b32 s0, sendmsg(MSG_RTN_GET_DOORBELL)
	s_mov_b32 ttmp2, m0
	s_waitcnt lgkmcnt(0)
	s_and_b32 s0, s0, 0x3ff
	s_delay_alu instid0(SALU_CYCLE_1) | instskip(NEXT) | instid1(SALU_CYCLE_1)
	s_bitset1_b32 s0, 10
	s_mov_b32 m0, s0
	s_sendmsg sendmsg(MSG_INTERRUPT)
	s_mov_b32 m0, ttmp2
.LBB2_4468:                             ; =>This Inner Loop Header: Depth=1
	s_sethalt 5
	s_branch .LBB2_4468
.LBB2_4469:
	s_trap 2
	s_sendmsg_rtn_b32 s0, sendmsg(MSG_RTN_GET_DOORBELL)
	s_mov_b32 ttmp2, m0
	s_waitcnt lgkmcnt(0)
	s_and_b32 s0, s0, 0x3ff
	s_delay_alu instid0(SALU_CYCLE_1) | instskip(NEXT) | instid1(SALU_CYCLE_1)
	s_bitset1_b32 s0, 10
	s_mov_b32 m0, s0
	s_sendmsg sendmsg(MSG_INTERRUPT)
	s_mov_b32 m0, ttmp2
.LBB2_4470:                             ; =>This Inner Loop Header: Depth=1
	s_sethalt 5
	s_branch .LBB2_4470
.LBB2_4471:
	s_trap 2
	s_sendmsg_rtn_b32 s0, sendmsg(MSG_RTN_GET_DOORBELL)
	s_mov_b32 ttmp2, m0
	s_waitcnt lgkmcnt(0)
	s_and_b32 s0, s0, 0x3ff
	s_delay_alu instid0(SALU_CYCLE_1) | instskip(NEXT) | instid1(SALU_CYCLE_1)
	s_bitset1_b32 s0, 10
	s_mov_b32 m0, s0
	s_sendmsg sendmsg(MSG_INTERRUPT)
	s_mov_b32 m0, ttmp2
.LBB2_4472:                             ; =>This Inner Loop Header: Depth=1
	s_sethalt 5
	s_branch .LBB2_4472
.LBB2_4473:
	s_trap 2
	s_sendmsg_rtn_b32 s0, sendmsg(MSG_RTN_GET_DOORBELL)
	s_mov_b32 ttmp2, m0
	s_waitcnt lgkmcnt(0)
	s_and_b32 s0, s0, 0x3ff
	s_delay_alu instid0(SALU_CYCLE_1) | instskip(NEXT) | instid1(SALU_CYCLE_1)
	s_bitset1_b32 s0, 10
	s_mov_b32 m0, s0
	s_sendmsg sendmsg(MSG_INTERRUPT)
	s_mov_b32 m0, ttmp2
.LBB2_4474:                             ; =>This Inner Loop Header: Depth=1
	s_sethalt 5
	s_branch .LBB2_4474
.LBB2_4475:
	s_trap 2
	s_sendmsg_rtn_b32 s0, sendmsg(MSG_RTN_GET_DOORBELL)
	s_mov_b32 ttmp2, m0
	s_waitcnt lgkmcnt(0)
	s_and_b32 s0, s0, 0x3ff
	s_delay_alu instid0(SALU_CYCLE_1) | instskip(NEXT) | instid1(SALU_CYCLE_1)
	s_bitset1_b32 s0, 10
	s_mov_b32 m0, s0
	s_sendmsg sendmsg(MSG_INTERRUPT)
	s_mov_b32 m0, ttmp2
.LBB2_4476:                             ; =>This Inner Loop Header: Depth=1
	s_sethalt 5
	s_branch .LBB2_4476
.LBB2_4477:
	s_trap 2
	s_sendmsg_rtn_b32 s0, sendmsg(MSG_RTN_GET_DOORBELL)
	s_mov_b32 ttmp2, m0
	s_waitcnt lgkmcnt(0)
	s_and_b32 s0, s0, 0x3ff
	s_delay_alu instid0(SALU_CYCLE_1) | instskip(NEXT) | instid1(SALU_CYCLE_1)
	s_bitset1_b32 s0, 10
	s_mov_b32 m0, s0
	s_sendmsg sendmsg(MSG_INTERRUPT)
	s_mov_b32 m0, ttmp2
.LBB2_4478:                             ; =>This Inner Loop Header: Depth=1
	s_sethalt 5
	s_branch .LBB2_4478
.LBB2_4479:
	s_trap 2
	s_sendmsg_rtn_b32 s0, sendmsg(MSG_RTN_GET_DOORBELL)
	s_mov_b32 ttmp2, m0
	s_waitcnt lgkmcnt(0)
	s_and_b32 s0, s0, 0x3ff
	s_delay_alu instid0(SALU_CYCLE_1) | instskip(NEXT) | instid1(SALU_CYCLE_1)
	s_bitset1_b32 s0, 10
	s_mov_b32 m0, s0
	s_sendmsg sendmsg(MSG_INTERRUPT)
	s_mov_b32 m0, ttmp2
.LBB2_4480:                             ; =>This Inner Loop Header: Depth=1
	s_sethalt 5
	s_branch .LBB2_4480
.LBB2_4481:
	s_trap 2
	s_sendmsg_rtn_b32 s0, sendmsg(MSG_RTN_GET_DOORBELL)
	s_mov_b32 ttmp2, m0
	s_waitcnt lgkmcnt(0)
	s_and_b32 s0, s0, 0x3ff
	s_delay_alu instid0(SALU_CYCLE_1) | instskip(NEXT) | instid1(SALU_CYCLE_1)
	s_bitset1_b32 s0, 10
	s_mov_b32 m0, s0
	s_sendmsg sendmsg(MSG_INTERRUPT)
	s_mov_b32 m0, ttmp2
.LBB2_4482:                             ; =>This Inner Loop Header: Depth=1
	s_sethalt 5
	s_branch .LBB2_4482
.LBB2_4483:
	s_trap 2
	s_sendmsg_rtn_b32 s0, sendmsg(MSG_RTN_GET_DOORBELL)
	s_mov_b32 ttmp2, m0
	s_waitcnt lgkmcnt(0)
	s_and_b32 s0, s0, 0x3ff
	s_delay_alu instid0(SALU_CYCLE_1) | instskip(NEXT) | instid1(SALU_CYCLE_1)
	s_bitset1_b32 s0, 10
	s_mov_b32 m0, s0
	s_sendmsg sendmsg(MSG_INTERRUPT)
	s_mov_b32 m0, ttmp2
.LBB2_4484:                             ; =>This Inner Loop Header: Depth=1
	s_sethalt 5
	s_branch .LBB2_4484
.LBB2_4485:
	s_trap 2
	s_sendmsg_rtn_b32 s0, sendmsg(MSG_RTN_GET_DOORBELL)
	s_mov_b32 ttmp2, m0
	s_waitcnt lgkmcnt(0)
	s_and_b32 s0, s0, 0x3ff
	s_delay_alu instid0(SALU_CYCLE_1) | instskip(NEXT) | instid1(SALU_CYCLE_1)
	s_bitset1_b32 s0, 10
	s_mov_b32 m0, s0
	s_sendmsg sendmsg(MSG_INTERRUPT)
	s_mov_b32 m0, ttmp2
.LBB2_4486:                             ; =>This Inner Loop Header: Depth=1
	s_sethalt 5
	s_branch .LBB2_4486
.LBB2_4487:
	s_trap 2
	s_sendmsg_rtn_b32 s0, sendmsg(MSG_RTN_GET_DOORBELL)
	s_mov_b32 ttmp2, m0
	s_waitcnt lgkmcnt(0)
	s_and_b32 s0, s0, 0x3ff
	s_delay_alu instid0(SALU_CYCLE_1) | instskip(NEXT) | instid1(SALU_CYCLE_1)
	s_bitset1_b32 s0, 10
	s_mov_b32 m0, s0
	s_sendmsg sendmsg(MSG_INTERRUPT)
	s_mov_b32 m0, ttmp2
.LBB2_4488:                             ; =>This Inner Loop Header: Depth=1
	s_sethalt 5
	s_branch .LBB2_4488
.LBB2_4489:
	s_trap 2
	s_sendmsg_rtn_b32 s0, sendmsg(MSG_RTN_GET_DOORBELL)
	s_mov_b32 ttmp2, m0
	s_waitcnt lgkmcnt(0)
	s_and_b32 s0, s0, 0x3ff
	s_delay_alu instid0(SALU_CYCLE_1) | instskip(NEXT) | instid1(SALU_CYCLE_1)
	s_bitset1_b32 s0, 10
	s_mov_b32 m0, s0
	s_sendmsg sendmsg(MSG_INTERRUPT)
	s_mov_b32 m0, ttmp2
.LBB2_4490:                             ; =>This Inner Loop Header: Depth=1
	s_sethalt 5
	s_branch .LBB2_4490
.LBB2_4491:
	s_trap 2
	s_sendmsg_rtn_b32 s0, sendmsg(MSG_RTN_GET_DOORBELL)
	s_mov_b32 ttmp2, m0
	s_waitcnt lgkmcnt(0)
	s_and_b32 s0, s0, 0x3ff
	s_delay_alu instid0(SALU_CYCLE_1) | instskip(NEXT) | instid1(SALU_CYCLE_1)
	s_bitset1_b32 s0, 10
	s_mov_b32 m0, s0
	s_sendmsg sendmsg(MSG_INTERRUPT)
	s_mov_b32 m0, ttmp2
.LBB2_4492:                             ; =>This Inner Loop Header: Depth=1
	s_sethalt 5
	s_branch .LBB2_4492
.LBB2_4493:
	s_trap 2
	s_sendmsg_rtn_b32 s0, sendmsg(MSG_RTN_GET_DOORBELL)
	s_mov_b32 ttmp2, m0
	s_waitcnt lgkmcnt(0)
	s_and_b32 s0, s0, 0x3ff
	s_delay_alu instid0(SALU_CYCLE_1) | instskip(NEXT) | instid1(SALU_CYCLE_1)
	s_bitset1_b32 s0, 10
	s_mov_b32 m0, s0
	s_sendmsg sendmsg(MSG_INTERRUPT)
	s_mov_b32 m0, ttmp2
.LBB2_4494:                             ; =>This Inner Loop Header: Depth=1
	s_sethalt 5
	s_branch .LBB2_4494
.LBB2_4495:
	s_trap 2
	s_sendmsg_rtn_b32 s0, sendmsg(MSG_RTN_GET_DOORBELL)
	s_mov_b32 ttmp2, m0
	s_waitcnt lgkmcnt(0)
	s_and_b32 s0, s0, 0x3ff
	s_delay_alu instid0(SALU_CYCLE_1) | instskip(NEXT) | instid1(SALU_CYCLE_1)
	s_bitset1_b32 s0, 10
	s_mov_b32 m0, s0
	s_sendmsg sendmsg(MSG_INTERRUPT)
	s_mov_b32 m0, ttmp2
.LBB2_4496:                             ; =>This Inner Loop Header: Depth=1
	s_sethalt 5
	s_branch .LBB2_4496
.LBB2_4497:
	s_trap 2
	s_sendmsg_rtn_b32 s0, sendmsg(MSG_RTN_GET_DOORBELL)
	s_mov_b32 ttmp2, m0
	s_waitcnt lgkmcnt(0)
	s_and_b32 s0, s0, 0x3ff
	s_delay_alu instid0(SALU_CYCLE_1) | instskip(NEXT) | instid1(SALU_CYCLE_1)
	s_bitset1_b32 s0, 10
	s_mov_b32 m0, s0
	s_sendmsg sendmsg(MSG_INTERRUPT)
	s_mov_b32 m0, ttmp2
.LBB2_4498:                             ; =>This Inner Loop Header: Depth=1
	s_sethalt 5
	s_branch .LBB2_4498
.LBB2_4499:
	s_trap 2
	s_sendmsg_rtn_b32 s0, sendmsg(MSG_RTN_GET_DOORBELL)
	s_mov_b32 ttmp2, m0
	s_waitcnt lgkmcnt(0)
	s_and_b32 s0, s0, 0x3ff
	s_delay_alu instid0(SALU_CYCLE_1) | instskip(NEXT) | instid1(SALU_CYCLE_1)
	s_bitset1_b32 s0, 10
	s_mov_b32 m0, s0
	s_sendmsg sendmsg(MSG_INTERRUPT)
	s_mov_b32 m0, ttmp2
.LBB2_4500:                             ; =>This Inner Loop Header: Depth=1
	s_sethalt 5
	s_branch .LBB2_4500
.LBB2_4501:
	s_trap 2
	s_sendmsg_rtn_b32 s0, sendmsg(MSG_RTN_GET_DOORBELL)
	s_mov_b32 ttmp2, m0
	s_waitcnt lgkmcnt(0)
	s_and_b32 s0, s0, 0x3ff
	s_delay_alu instid0(SALU_CYCLE_1) | instskip(NEXT) | instid1(SALU_CYCLE_1)
	s_bitset1_b32 s0, 10
	s_mov_b32 m0, s0
	s_sendmsg sendmsg(MSG_INTERRUPT)
	s_mov_b32 m0, ttmp2
.LBB2_4502:                             ; =>This Inner Loop Header: Depth=1
	s_sethalt 5
	s_branch .LBB2_4502
.LBB2_4503:
	s_trap 2
	s_sendmsg_rtn_b32 s0, sendmsg(MSG_RTN_GET_DOORBELL)
	s_mov_b32 ttmp2, m0
	s_waitcnt lgkmcnt(0)
	s_and_b32 s0, s0, 0x3ff
	s_delay_alu instid0(SALU_CYCLE_1) | instskip(NEXT) | instid1(SALU_CYCLE_1)
	s_bitset1_b32 s0, 10
	s_mov_b32 m0, s0
	s_sendmsg sendmsg(MSG_INTERRUPT)
	s_mov_b32 m0, ttmp2
.LBB2_4504:                             ; =>This Inner Loop Header: Depth=1
	s_sethalt 5
	s_branch .LBB2_4504
.LBB2_4505:
	s_trap 2
	s_sendmsg_rtn_b32 s0, sendmsg(MSG_RTN_GET_DOORBELL)
	s_mov_b32 ttmp2, m0
	s_waitcnt lgkmcnt(0)
	s_and_b32 s0, s0, 0x3ff
	s_delay_alu instid0(SALU_CYCLE_1) | instskip(NEXT) | instid1(SALU_CYCLE_1)
	s_bitset1_b32 s0, 10
	s_mov_b32 m0, s0
	s_sendmsg sendmsg(MSG_INTERRUPT)
	s_mov_b32 m0, ttmp2
.LBB2_4506:                             ; =>This Inner Loop Header: Depth=1
	s_sethalt 5
	s_branch .LBB2_4506
.LBB2_4507:
	s_trap 2
	s_sendmsg_rtn_b32 s0, sendmsg(MSG_RTN_GET_DOORBELL)
	s_mov_b32 ttmp2, m0
	s_waitcnt lgkmcnt(0)
	s_and_b32 s0, s0, 0x3ff
	s_delay_alu instid0(SALU_CYCLE_1) | instskip(NEXT) | instid1(SALU_CYCLE_1)
	s_bitset1_b32 s0, 10
	s_mov_b32 m0, s0
	s_sendmsg sendmsg(MSG_INTERRUPT)
	s_mov_b32 m0, ttmp2
.LBB2_4508:                             ; =>This Inner Loop Header: Depth=1
	s_sethalt 5
	s_branch .LBB2_4508
.LBB2_4509:
	s_trap 2
	s_sendmsg_rtn_b32 s0, sendmsg(MSG_RTN_GET_DOORBELL)
	s_mov_b32 ttmp2, m0
	s_waitcnt lgkmcnt(0)
	s_and_b32 s0, s0, 0x3ff
	s_delay_alu instid0(SALU_CYCLE_1) | instskip(NEXT) | instid1(SALU_CYCLE_1)
	s_bitset1_b32 s0, 10
	s_mov_b32 m0, s0
	s_sendmsg sendmsg(MSG_INTERRUPT)
	s_mov_b32 m0, ttmp2
.LBB2_4510:                             ; =>This Inner Loop Header: Depth=1
	s_sethalt 5
	s_branch .LBB2_4510
.LBB2_4511:
	s_trap 2
	s_sendmsg_rtn_b32 s0, sendmsg(MSG_RTN_GET_DOORBELL)
	s_mov_b32 ttmp2, m0
	s_waitcnt lgkmcnt(0)
	s_and_b32 s0, s0, 0x3ff
	s_delay_alu instid0(SALU_CYCLE_1) | instskip(NEXT) | instid1(SALU_CYCLE_1)
	s_bitset1_b32 s0, 10
	s_mov_b32 m0, s0
	s_sendmsg sendmsg(MSG_INTERRUPT)
	s_mov_b32 m0, ttmp2
.LBB2_4512:                             ; =>This Inner Loop Header: Depth=1
	s_sethalt 5
	s_branch .LBB2_4512
.LBB2_4513:
	s_trap 2
	s_sendmsg_rtn_b32 s0, sendmsg(MSG_RTN_GET_DOORBELL)
	s_mov_b32 ttmp2, m0
	s_waitcnt lgkmcnt(0)
	s_and_b32 s0, s0, 0x3ff
	s_delay_alu instid0(SALU_CYCLE_1) | instskip(NEXT) | instid1(SALU_CYCLE_1)
	s_bitset1_b32 s0, 10
	s_mov_b32 m0, s0
	s_sendmsg sendmsg(MSG_INTERRUPT)
	s_mov_b32 m0, ttmp2
.LBB2_4514:                             ; =>This Inner Loop Header: Depth=1
	s_sethalt 5
	s_branch .LBB2_4514
.LBB2_4515:
	s_trap 2
	s_sendmsg_rtn_b32 s0, sendmsg(MSG_RTN_GET_DOORBELL)
	s_mov_b32 ttmp2, m0
	s_waitcnt lgkmcnt(0)
	s_and_b32 s0, s0, 0x3ff
	s_delay_alu instid0(SALU_CYCLE_1) | instskip(NEXT) | instid1(SALU_CYCLE_1)
	s_bitset1_b32 s0, 10
	s_mov_b32 m0, s0
	s_sendmsg sendmsg(MSG_INTERRUPT)
	s_mov_b32 m0, ttmp2
.LBB2_4516:                             ; =>This Inner Loop Header: Depth=1
	s_sethalt 5
	s_branch .LBB2_4516
.LBB2_4517:
	s_trap 2
	s_sendmsg_rtn_b32 s0, sendmsg(MSG_RTN_GET_DOORBELL)
	s_mov_b32 ttmp2, m0
	s_waitcnt lgkmcnt(0)
	s_and_b32 s0, s0, 0x3ff
	s_delay_alu instid0(SALU_CYCLE_1) | instskip(NEXT) | instid1(SALU_CYCLE_1)
	s_bitset1_b32 s0, 10
	s_mov_b32 m0, s0
	s_sendmsg sendmsg(MSG_INTERRUPT)
	s_mov_b32 m0, ttmp2
.LBB2_4518:                             ; =>This Inner Loop Header: Depth=1
	s_sethalt 5
	s_branch .LBB2_4518
.LBB2_4519:
	s_trap 2
	s_sendmsg_rtn_b32 s0, sendmsg(MSG_RTN_GET_DOORBELL)
	s_mov_b32 ttmp2, m0
	s_waitcnt lgkmcnt(0)
	s_and_b32 s0, s0, 0x3ff
	s_delay_alu instid0(SALU_CYCLE_1) | instskip(NEXT) | instid1(SALU_CYCLE_1)
	s_bitset1_b32 s0, 10
	s_mov_b32 m0, s0
	s_sendmsg sendmsg(MSG_INTERRUPT)
	s_mov_b32 m0, ttmp2
.LBB2_4520:                             ; =>This Inner Loop Header: Depth=1
	s_sethalt 5
	s_branch .LBB2_4520
.LBB2_4521:
	s_trap 2
	s_sendmsg_rtn_b32 s0, sendmsg(MSG_RTN_GET_DOORBELL)
	s_mov_b32 ttmp2, m0
	s_waitcnt lgkmcnt(0)
	s_and_b32 s0, s0, 0x3ff
	s_delay_alu instid0(SALU_CYCLE_1) | instskip(NEXT) | instid1(SALU_CYCLE_1)
	s_bitset1_b32 s0, 10
	s_mov_b32 m0, s0
	s_sendmsg sendmsg(MSG_INTERRUPT)
	s_mov_b32 m0, ttmp2
.LBB2_4522:                             ; =>This Inner Loop Header: Depth=1
	s_sethalt 5
	s_branch .LBB2_4522
.LBB2_4523:
	s_trap 2
	s_sendmsg_rtn_b32 s0, sendmsg(MSG_RTN_GET_DOORBELL)
	s_mov_b32 ttmp2, m0
	s_waitcnt lgkmcnt(0)
	s_and_b32 s0, s0, 0x3ff
	s_delay_alu instid0(SALU_CYCLE_1) | instskip(NEXT) | instid1(SALU_CYCLE_1)
	s_bitset1_b32 s0, 10
	s_mov_b32 m0, s0
	s_sendmsg sendmsg(MSG_INTERRUPT)
	s_mov_b32 m0, ttmp2
.LBB2_4524:                             ; =>This Inner Loop Header: Depth=1
	s_sethalt 5
	s_branch .LBB2_4524
.LBB2_4525:
	s_trap 2
	s_sendmsg_rtn_b32 s0, sendmsg(MSG_RTN_GET_DOORBELL)
	s_mov_b32 ttmp2, m0
	s_waitcnt lgkmcnt(0)
	s_and_b32 s0, s0, 0x3ff
	s_delay_alu instid0(SALU_CYCLE_1) | instskip(NEXT) | instid1(SALU_CYCLE_1)
	s_bitset1_b32 s0, 10
	s_mov_b32 m0, s0
	s_sendmsg sendmsg(MSG_INTERRUPT)
	s_mov_b32 m0, ttmp2
.LBB2_4526:                             ; =>This Inner Loop Header: Depth=1
	s_sethalt 5
	s_branch .LBB2_4526
.LBB2_4527:
	s_trap 2
	s_sendmsg_rtn_b32 s0, sendmsg(MSG_RTN_GET_DOORBELL)
	s_mov_b32 ttmp2, m0
	s_waitcnt lgkmcnt(0)
	s_and_b32 s0, s0, 0x3ff
	s_delay_alu instid0(SALU_CYCLE_1) | instskip(NEXT) | instid1(SALU_CYCLE_1)
	s_bitset1_b32 s0, 10
	s_mov_b32 m0, s0
	s_sendmsg sendmsg(MSG_INTERRUPT)
	s_mov_b32 m0, ttmp2
.LBB2_4528:                             ; =>This Inner Loop Header: Depth=1
	s_sethalt 5
	s_branch .LBB2_4528
.LBB2_4529:
	s_trap 2
	s_sendmsg_rtn_b32 s0, sendmsg(MSG_RTN_GET_DOORBELL)
	s_mov_b32 ttmp2, m0
	s_waitcnt lgkmcnt(0)
	s_and_b32 s0, s0, 0x3ff
	s_delay_alu instid0(SALU_CYCLE_1) | instskip(NEXT) | instid1(SALU_CYCLE_1)
	s_bitset1_b32 s0, 10
	s_mov_b32 m0, s0
	s_sendmsg sendmsg(MSG_INTERRUPT)
	s_mov_b32 m0, ttmp2
.LBB2_4530:                             ; =>This Inner Loop Header: Depth=1
	s_sethalt 5
	s_branch .LBB2_4530
.LBB2_4531:
	s_trap 2
	s_sendmsg_rtn_b32 s0, sendmsg(MSG_RTN_GET_DOORBELL)
	s_mov_b32 ttmp2, m0
	s_waitcnt lgkmcnt(0)
	s_and_b32 s0, s0, 0x3ff
	s_delay_alu instid0(SALU_CYCLE_1) | instskip(NEXT) | instid1(SALU_CYCLE_1)
	s_bitset1_b32 s0, 10
	s_mov_b32 m0, s0
	s_sendmsg sendmsg(MSG_INTERRUPT)
	s_mov_b32 m0, ttmp2
.LBB2_4532:                             ; =>This Inner Loop Header: Depth=1
	s_sethalt 5
	s_branch .LBB2_4532
.LBB2_4533:
	s_trap 2
	s_sendmsg_rtn_b32 s0, sendmsg(MSG_RTN_GET_DOORBELL)
	s_mov_b32 ttmp2, m0
	s_waitcnt lgkmcnt(0)
	s_and_b32 s0, s0, 0x3ff
	s_delay_alu instid0(SALU_CYCLE_1) | instskip(NEXT) | instid1(SALU_CYCLE_1)
	s_bitset1_b32 s0, 10
	s_mov_b32 m0, s0
	s_sendmsg sendmsg(MSG_INTERRUPT)
	s_mov_b32 m0, ttmp2
.LBB2_4534:                             ; =>This Inner Loop Header: Depth=1
	s_sethalt 5
	s_branch .LBB2_4534
.LBB2_4535:
	s_trap 2
	s_sendmsg_rtn_b32 s0, sendmsg(MSG_RTN_GET_DOORBELL)
	s_mov_b32 ttmp2, m0
	s_waitcnt lgkmcnt(0)
	s_and_b32 s0, s0, 0x3ff
	s_delay_alu instid0(SALU_CYCLE_1) | instskip(NEXT) | instid1(SALU_CYCLE_1)
	s_bitset1_b32 s0, 10
	s_mov_b32 m0, s0
	s_sendmsg sendmsg(MSG_INTERRUPT)
	s_mov_b32 m0, ttmp2
.LBB2_4536:                             ; =>This Inner Loop Header: Depth=1
	s_sethalt 5
	s_branch .LBB2_4536
.LBB2_4537:
	s_trap 2
	s_sendmsg_rtn_b32 s0, sendmsg(MSG_RTN_GET_DOORBELL)
	s_mov_b32 ttmp2, m0
	s_waitcnt lgkmcnt(0)
	s_and_b32 s0, s0, 0x3ff
	s_delay_alu instid0(SALU_CYCLE_1) | instskip(NEXT) | instid1(SALU_CYCLE_1)
	s_bitset1_b32 s0, 10
	s_mov_b32 m0, s0
	s_sendmsg sendmsg(MSG_INTERRUPT)
	s_mov_b32 m0, ttmp2
.LBB2_4538:                             ; =>This Inner Loop Header: Depth=1
	s_sethalt 5
	s_branch .LBB2_4538
.LBB2_4539:
	s_trap 2
	s_sendmsg_rtn_b32 s0, sendmsg(MSG_RTN_GET_DOORBELL)
	s_mov_b32 ttmp2, m0
	s_waitcnt lgkmcnt(0)
	s_and_b32 s0, s0, 0x3ff
	s_delay_alu instid0(SALU_CYCLE_1) | instskip(NEXT) | instid1(SALU_CYCLE_1)
	s_bitset1_b32 s0, 10
	s_mov_b32 m0, s0
	s_sendmsg sendmsg(MSG_INTERRUPT)
	s_mov_b32 m0, ttmp2
.LBB2_4540:                             ; =>This Inner Loop Header: Depth=1
	s_sethalt 5
	s_branch .LBB2_4540
.LBB2_4541:
	s_trap 2
	s_sendmsg_rtn_b32 s0, sendmsg(MSG_RTN_GET_DOORBELL)
	s_mov_b32 ttmp2, m0
	s_waitcnt lgkmcnt(0)
	s_and_b32 s0, s0, 0x3ff
	s_delay_alu instid0(SALU_CYCLE_1) | instskip(NEXT) | instid1(SALU_CYCLE_1)
	s_bitset1_b32 s0, 10
	s_mov_b32 m0, s0
	s_sendmsg sendmsg(MSG_INTERRUPT)
	s_mov_b32 m0, ttmp2
.LBB2_4542:                             ; =>This Inner Loop Header: Depth=1
	s_sethalt 5
	s_branch .LBB2_4542
.LBB2_4543:
	s_trap 2
	s_sendmsg_rtn_b32 s0, sendmsg(MSG_RTN_GET_DOORBELL)
	s_mov_b32 ttmp2, m0
	s_waitcnt lgkmcnt(0)
	s_and_b32 s0, s0, 0x3ff
	s_delay_alu instid0(SALU_CYCLE_1) | instskip(NEXT) | instid1(SALU_CYCLE_1)
	s_bitset1_b32 s0, 10
	s_mov_b32 m0, s0
	s_sendmsg sendmsg(MSG_INTERRUPT)
	s_mov_b32 m0, ttmp2
.LBB2_4544:                             ; =>This Inner Loop Header: Depth=1
	s_sethalt 5
	s_branch .LBB2_4544
.LBB2_4545:
	s_or_b32 exec_lo, exec_lo, s4
	s_and_saveexec_b32 s4, s5
	s_delay_alu instid0(SALU_CYCLE_1)
	s_xor_b32 s4, exec_lo, s4
	s_cbranch_execz .LBB2_4547
; %bb.4546:
	v_mov_b32_e32 v0, 1
	ds_store_b32 v0, v0
	s_cbranch_execnz .LBB2_4593
.LBB2_4547:
	s_or_b32 exec_lo, exec_lo, s3
	;;#ASMSTART
	s_wakeup
	;;#ASMEND
.LBB2_4548:
	s_or_b32 exec_lo, exec_lo, s2
.LBB2_4549:
	s_and_not1_saveexec_b32 s1, s1
	s_cbranch_execz .LBB2_4551
; %bb.4550:
	s_waitcnt vmcnt(0) lgkmcnt(0)
	s_waitcnt_vscnt null, 0x0
	buffer_gl1_inv
	buffer_gl0_inv
	s_barrier
.LBB2_4551:
	s_or_b32 exec_lo, exec_lo, s0
.LBB2_4552:
	s_and_not1_saveexec_b32 s21, s13
	s_cbranch_execz .LBB2_4554
; %bb.4553:
	s_getpc_b64 s[0:1]
	s_add_u32 s0, s0, __PRETTY_FUNCTION__._ZN10PrimitivesI11rccl_float810FuncMinMaxIS0_E12FanSymmetricILi1EELi0E11ProtoSimpleILi1ELi1ELi0ELi1ELi0ELi0EELi0ELb0ELi0ELi0ELi0EEC2EiiPKiS9_PKvPvmhhhP15ncclDevWorkCollP14ncclDevWorkP2pii@rel32@lo+4
	s_addc_u32 s1, s1, __PRETTY_FUNCTION__._ZN10PrimitivesI11rccl_float810FuncMinMaxIS0_E12FanSymmetricILi1EELi0E11ProtoSimpleILi1ELi1ELi0ELi1ELi0ELi0EELi0ELb0ELi0ELi0ELi0EEC2EiiPKiS9_PKvPvmhhhP15ncclDevWorkCollP14ncclDevWorkP2pii@rel32@hi+12
	s_delay_alu instid0(SALU_CYCLE_1) | instskip(SKIP_3) | instid1(SALU_CYCLE_1)
	v_dual_mov_b32 v0, s0 :: v_dual_mov_b32 v1, s1
	s_getpc_b64 s[2:3]
	s_add_u32 s2, s2, __assert_fail@rel32@lo+4
	s_addc_u32 s3, s3, __assert_fail@rel32@hi+12
	s_swappc_b64 s[30:31], s[2:3]
	; divergent unreachable
.LBB2_4554:
	s_or_b32 exec_lo, exec_lo, s21
	scratch_load_b32 v40, off, s33          ; 4-byte Folded Reload
	v_readlane_b32 s30, v41, 0
	v_readlane_b32 s31, v41, 1
	;; [unrolled: 1-line block ×3, first 2 shown]
	s_or_saveexec_b32 s1, -1
	scratch_load_b32 v41, off, s33 offset:4 ; 4-byte Folded Reload
	s_mov_b32 exec_lo, s1
	s_add_i32 s32, s32, -16
	s_mov_b32 s33, s0
	s_waitcnt vmcnt(0) lgkmcnt(0)
	s_setpc_b64 s[30:31]
.LBB2_4555:
	s_trap 2
	s_sendmsg_rtn_b32 s0, sendmsg(MSG_RTN_GET_DOORBELL)
	s_mov_b32 ttmp2, m0
	s_waitcnt lgkmcnt(0)
	s_and_b32 s0, s0, 0x3ff
	s_delay_alu instid0(SALU_CYCLE_1) | instskip(NEXT) | instid1(SALU_CYCLE_1)
	s_bitset1_b32 s0, 10
	s_mov_b32 m0, s0
	s_sendmsg sendmsg(MSG_INTERRUPT)
	s_mov_b32 m0, ttmp2
.LBB2_4556:                             ; =>This Inner Loop Header: Depth=1
	s_sethalt 5
	s_branch .LBB2_4556
.LBB2_4557:
	s_trap 2
	s_sendmsg_rtn_b32 s0, sendmsg(MSG_RTN_GET_DOORBELL)
	s_mov_b32 ttmp2, m0
	s_waitcnt lgkmcnt(0)
	s_and_b32 s0, s0, 0x3ff
	s_delay_alu instid0(SALU_CYCLE_1) | instskip(NEXT) | instid1(SALU_CYCLE_1)
	s_bitset1_b32 s0, 10
	s_mov_b32 m0, s0
	s_sendmsg sendmsg(MSG_INTERRUPT)
	s_mov_b32 m0, ttmp2
.LBB2_4558:                             ; =>This Inner Loop Header: Depth=1
	s_sethalt 5
	s_branch .LBB2_4558
.LBB2_4559:
	s_trap 2
	s_sendmsg_rtn_b32 s0, sendmsg(MSG_RTN_GET_DOORBELL)
	s_mov_b32 ttmp2, m0
	s_waitcnt lgkmcnt(0)
	s_and_b32 s0, s0, 0x3ff
	s_delay_alu instid0(SALU_CYCLE_1) | instskip(NEXT) | instid1(SALU_CYCLE_1)
	s_bitset1_b32 s0, 10
	s_mov_b32 m0, s0
	s_sendmsg sendmsg(MSG_INTERRUPT)
	s_mov_b32 m0, ttmp2
.LBB2_4560:                             ; =>This Inner Loop Header: Depth=1
	s_sethalt 5
	s_branch .LBB2_4560
.LBB2_4561:
	s_trap 2
	s_sendmsg_rtn_b32 s0, sendmsg(MSG_RTN_GET_DOORBELL)
	s_mov_b32 ttmp2, m0
	s_waitcnt lgkmcnt(0)
	s_and_b32 s0, s0, 0x3ff
	s_delay_alu instid0(SALU_CYCLE_1) | instskip(NEXT) | instid1(SALU_CYCLE_1)
	s_bitset1_b32 s0, 10
	s_mov_b32 m0, s0
	s_sendmsg sendmsg(MSG_INTERRUPT)
	s_mov_b32 m0, ttmp2
.LBB2_4562:                             ; =>This Inner Loop Header: Depth=1
	s_sethalt 5
	s_branch .LBB2_4562
.LBB2_4563:
	s_trap 2
	s_sendmsg_rtn_b32 s0, sendmsg(MSG_RTN_GET_DOORBELL)
	s_mov_b32 ttmp2, m0
	s_waitcnt lgkmcnt(0)
	s_and_b32 s0, s0, 0x3ff
	s_delay_alu instid0(SALU_CYCLE_1) | instskip(NEXT) | instid1(SALU_CYCLE_1)
	s_bitset1_b32 s0, 10
	s_mov_b32 m0, s0
	s_sendmsg sendmsg(MSG_INTERRUPT)
	s_mov_b32 m0, ttmp2
.LBB2_4564:                             ; =>This Inner Loop Header: Depth=1
	s_sethalt 5
	s_branch .LBB2_4564
.LBB2_4565:
	s_trap 2
	s_sendmsg_rtn_b32 s0, sendmsg(MSG_RTN_GET_DOORBELL)
	s_mov_b32 ttmp2, m0
	s_waitcnt lgkmcnt(0)
	s_and_b32 s0, s0, 0x3ff
	s_delay_alu instid0(SALU_CYCLE_1) | instskip(NEXT) | instid1(SALU_CYCLE_1)
	s_bitset1_b32 s0, 10
	s_mov_b32 m0, s0
	s_sendmsg sendmsg(MSG_INTERRUPT)
	s_mov_b32 m0, ttmp2
.LBB2_4566:                             ; =>This Inner Loop Header: Depth=1
	s_sethalt 5
	s_branch .LBB2_4566
.LBB2_4567:
	s_trap 2
	s_sendmsg_rtn_b32 s0, sendmsg(MSG_RTN_GET_DOORBELL)
	s_mov_b32 ttmp2, m0
	s_waitcnt lgkmcnt(0)
	s_and_b32 s0, s0, 0x3ff
	s_delay_alu instid0(SALU_CYCLE_1) | instskip(NEXT) | instid1(SALU_CYCLE_1)
	s_bitset1_b32 s0, 10
	s_mov_b32 m0, s0
	s_sendmsg sendmsg(MSG_INTERRUPT)
	s_mov_b32 m0, ttmp2
.LBB2_4568:                             ; =>This Inner Loop Header: Depth=1
	s_sethalt 5
	s_branch .LBB2_4568
.LBB2_4569:
	s_trap 2
	s_sendmsg_rtn_b32 s0, sendmsg(MSG_RTN_GET_DOORBELL)
	s_mov_b32 ttmp2, m0
	s_waitcnt lgkmcnt(0)
	s_and_b32 s0, s0, 0x3ff
	s_delay_alu instid0(SALU_CYCLE_1) | instskip(NEXT) | instid1(SALU_CYCLE_1)
	s_bitset1_b32 s0, 10
	s_mov_b32 m0, s0
	s_sendmsg sendmsg(MSG_INTERRUPT)
	s_mov_b32 m0, ttmp2
.LBB2_4570:                             ; =>This Inner Loop Header: Depth=1
	s_sethalt 5
	s_branch .LBB2_4570
.LBB2_4571:
	s_trap 2
	s_sendmsg_rtn_b32 s0, sendmsg(MSG_RTN_GET_DOORBELL)
	s_mov_b32 ttmp2, m0
	s_waitcnt lgkmcnt(0)
	s_and_b32 s0, s0, 0x3ff
	s_delay_alu instid0(SALU_CYCLE_1) | instskip(NEXT) | instid1(SALU_CYCLE_1)
	s_bitset1_b32 s0, 10
	s_mov_b32 m0, s0
	s_sendmsg sendmsg(MSG_INTERRUPT)
	s_mov_b32 m0, ttmp2
.LBB2_4572:                             ; =>This Inner Loop Header: Depth=1
	s_sethalt 5
	s_branch .LBB2_4572
.LBB2_4573:
	s_trap 2
	s_sendmsg_rtn_b32 s0, sendmsg(MSG_RTN_GET_DOORBELL)
	s_mov_b32 ttmp2, m0
	s_waitcnt lgkmcnt(0)
	s_and_b32 s0, s0, 0x3ff
	s_delay_alu instid0(SALU_CYCLE_1) | instskip(NEXT) | instid1(SALU_CYCLE_1)
	s_bitset1_b32 s0, 10
	s_mov_b32 m0, s0
	s_sendmsg sendmsg(MSG_INTERRUPT)
	s_mov_b32 m0, ttmp2
.LBB2_4574:                             ; =>This Inner Loop Header: Depth=1
	s_sethalt 5
	s_branch .LBB2_4574
.LBB2_4575:
	s_trap 2
	s_sendmsg_rtn_b32 s0, sendmsg(MSG_RTN_GET_DOORBELL)
	s_mov_b32 ttmp2, m0
	s_waitcnt lgkmcnt(0)
	s_and_b32 s0, s0, 0x3ff
	s_delay_alu instid0(SALU_CYCLE_1) | instskip(NEXT) | instid1(SALU_CYCLE_1)
	s_bitset1_b32 s0, 10
	s_mov_b32 m0, s0
	s_sendmsg sendmsg(MSG_INTERRUPT)
	s_mov_b32 m0, ttmp2
.LBB2_4576:                             ; =>This Inner Loop Header: Depth=1
	s_sethalt 5
	s_branch .LBB2_4576
.LBB2_4577:
	s_trap 2
	s_sendmsg_rtn_b32 s0, sendmsg(MSG_RTN_GET_DOORBELL)
	s_mov_b32 ttmp2, m0
	s_waitcnt lgkmcnt(0)
	s_and_b32 s0, s0, 0x3ff
	s_delay_alu instid0(SALU_CYCLE_1) | instskip(NEXT) | instid1(SALU_CYCLE_1)
	s_bitset1_b32 s0, 10
	s_mov_b32 m0, s0
	s_sendmsg sendmsg(MSG_INTERRUPT)
	s_mov_b32 m0, ttmp2
.LBB2_4578:                             ; =>This Inner Loop Header: Depth=1
	s_sethalt 5
	s_branch .LBB2_4578
.LBB2_4579:
	s_trap 2
	s_sendmsg_rtn_b32 s0, sendmsg(MSG_RTN_GET_DOORBELL)
	s_mov_b32 ttmp2, m0
	s_waitcnt lgkmcnt(0)
	s_and_b32 s0, s0, 0x3ff
	s_delay_alu instid0(SALU_CYCLE_1) | instskip(NEXT) | instid1(SALU_CYCLE_1)
	s_bitset1_b32 s0, 10
	s_mov_b32 m0, s0
	s_sendmsg sendmsg(MSG_INTERRUPT)
	s_mov_b32 m0, ttmp2
.LBB2_4580:                             ; =>This Inner Loop Header: Depth=1
	s_sethalt 5
	s_branch .LBB2_4580
.LBB2_4581:
	s_trap 2
	s_sendmsg_rtn_b32 s0, sendmsg(MSG_RTN_GET_DOORBELL)
	s_mov_b32 ttmp2, m0
	s_waitcnt lgkmcnt(0)
	s_and_b32 s0, s0, 0x3ff
	s_delay_alu instid0(SALU_CYCLE_1) | instskip(NEXT) | instid1(SALU_CYCLE_1)
	s_bitset1_b32 s0, 10
	s_mov_b32 m0, s0
	s_sendmsg sendmsg(MSG_INTERRUPT)
	s_mov_b32 m0, ttmp2
.LBB2_4582:                             ; =>This Inner Loop Header: Depth=1
	s_sethalt 5
	s_branch .LBB2_4582
.LBB2_4583:
	s_trap 2
	s_sendmsg_rtn_b32 s0, sendmsg(MSG_RTN_GET_DOORBELL)
	s_mov_b32 ttmp2, m0
	s_waitcnt lgkmcnt(0)
	s_and_b32 s0, s0, 0x3ff
	s_delay_alu instid0(SALU_CYCLE_1) | instskip(NEXT) | instid1(SALU_CYCLE_1)
	s_bitset1_b32 s0, 10
	s_mov_b32 m0, s0
	s_sendmsg sendmsg(MSG_INTERRUPT)
	s_mov_b32 m0, ttmp2
.LBB2_4584:                             ; =>This Inner Loop Header: Depth=1
	s_sethalt 5
	s_branch .LBB2_4584
.LBB2_4585:
	s_trap 2
	s_sendmsg_rtn_b32 s0, sendmsg(MSG_RTN_GET_DOORBELL)
	s_mov_b32 ttmp2, m0
	s_waitcnt lgkmcnt(0)
	s_and_b32 s0, s0, 0x3ff
	s_delay_alu instid0(SALU_CYCLE_1) | instskip(NEXT) | instid1(SALU_CYCLE_1)
	s_bitset1_b32 s0, 10
	s_mov_b32 m0, s0
	s_sendmsg sendmsg(MSG_INTERRUPT)
	s_mov_b32 m0, ttmp2
.LBB2_4586:                             ; =>This Inner Loop Header: Depth=1
	s_sethalt 5
	s_branch .LBB2_4586
.LBB2_4587:
	s_trap 2
	s_sendmsg_rtn_b32 s0, sendmsg(MSG_RTN_GET_DOORBELL)
	s_mov_b32 ttmp2, m0
	s_waitcnt lgkmcnt(0)
	s_and_b32 s0, s0, 0x3ff
	s_delay_alu instid0(SALU_CYCLE_1) | instskip(NEXT) | instid1(SALU_CYCLE_1)
	s_bitset1_b32 s0, 10
	s_mov_b32 m0, s0
	s_sendmsg sendmsg(MSG_INTERRUPT)
	s_mov_b32 m0, ttmp2
.LBB2_4588:                             ; =>This Inner Loop Header: Depth=1
	s_sethalt 5
	s_branch .LBB2_4588
.LBB2_4589:
	s_trap 2
	s_sendmsg_rtn_b32 s0, sendmsg(MSG_RTN_GET_DOORBELL)
	s_mov_b32 ttmp2, m0
	s_waitcnt lgkmcnt(0)
	s_and_b32 s0, s0, 0x3ff
	s_delay_alu instid0(SALU_CYCLE_1) | instskip(NEXT) | instid1(SALU_CYCLE_1)
	s_bitset1_b32 s0, 10
	s_mov_b32 m0, s0
	s_sendmsg sendmsg(MSG_INTERRUPT)
	s_mov_b32 m0, ttmp2
.LBB2_4590:                             ; =>This Inner Loop Header: Depth=1
	s_sethalt 5
	s_branch .LBB2_4590
.LBB2_4591:
	s_trap 2
	s_sendmsg_rtn_b32 s0, sendmsg(MSG_RTN_GET_DOORBELL)
	s_mov_b32 ttmp2, m0
	s_waitcnt lgkmcnt(0)
	s_and_b32 s0, s0, 0x3ff
	s_delay_alu instid0(SALU_CYCLE_1) | instskip(NEXT) | instid1(SALU_CYCLE_1)
	s_bitset1_b32 s0, 10
	s_mov_b32 m0, s0
	s_sendmsg sendmsg(MSG_INTERRUPT)
	s_mov_b32 m0, ttmp2
.LBB2_4592:                             ; =>This Inner Loop Header: Depth=1
	s_sethalt 5
	s_branch .LBB2_4592
.LBB2_4593:
	s_trap 2
	s_sendmsg_rtn_b32 s0, sendmsg(MSG_RTN_GET_DOORBELL)
	s_mov_b32 ttmp2, m0
	s_waitcnt lgkmcnt(0)
	s_and_b32 s0, s0, 0x3ff
	s_delay_alu instid0(SALU_CYCLE_1) | instskip(NEXT) | instid1(SALU_CYCLE_1)
	s_bitset1_b32 s0, 10
	s_mov_b32 m0, s0
	s_sendmsg sendmsg(MSG_INTERRUPT)
	s_mov_b32 m0, ttmp2
.LBB2_4594:                             ; =>This Inner Loop Header: Depth=1
	s_sethalt 5
	s_branch .LBB2_4594
.LBB2_4595:
	s_trap 2
	s_sendmsg_rtn_b32 s0, sendmsg(MSG_RTN_GET_DOORBELL)
	s_mov_b32 ttmp2, m0
	s_waitcnt lgkmcnt(0)
	s_and_b32 s0, s0, 0x3ff
	s_delay_alu instid0(SALU_CYCLE_1) | instskip(NEXT) | instid1(SALU_CYCLE_1)
	s_bitset1_b32 s0, 10
	s_mov_b32 m0, s0
	s_sendmsg sendmsg(MSG_INTERRUPT)
	s_mov_b32 m0, ttmp2
.LBB2_4596:                             ; =>This Inner Loop Header: Depth=1
	s_sethalt 5
	s_branch .LBB2_4596
.LBB2_4597:
	s_trap 2
	s_sendmsg_rtn_b32 s0, sendmsg(MSG_RTN_GET_DOORBELL)
	s_mov_b32 ttmp2, m0
	s_waitcnt lgkmcnt(0)
	s_and_b32 s0, s0, 0x3ff
	s_delay_alu instid0(SALU_CYCLE_1) | instskip(NEXT) | instid1(SALU_CYCLE_1)
	s_bitset1_b32 s0, 10
	s_mov_b32 m0, s0
	s_sendmsg sendmsg(MSG_INTERRUPT)
	s_mov_b32 m0, ttmp2
.LBB2_4598:                             ; =>This Inner Loop Header: Depth=1
	s_sethalt 5
	s_branch .LBB2_4598
.LBB2_4599:
	s_trap 2
	s_sendmsg_rtn_b32 s0, sendmsg(MSG_RTN_GET_DOORBELL)
	s_mov_b32 ttmp2, m0
	s_waitcnt lgkmcnt(0)
	s_and_b32 s0, s0, 0x3ff
	s_delay_alu instid0(SALU_CYCLE_1) | instskip(NEXT) | instid1(SALU_CYCLE_1)
	s_bitset1_b32 s0, 10
	s_mov_b32 m0, s0
	s_sendmsg sendmsg(MSG_INTERRUPT)
	s_mov_b32 m0, ttmp2
.LBB2_4600:                             ; =>This Inner Loop Header: Depth=1
	s_sethalt 5
	s_branch .LBB2_4600
.LBB2_4601:
	s_trap 2
	s_sendmsg_rtn_b32 s0, sendmsg(MSG_RTN_GET_DOORBELL)
	s_mov_b32 ttmp2, m0
	s_waitcnt lgkmcnt(0)
	s_and_b32 s0, s0, 0x3ff
	s_delay_alu instid0(SALU_CYCLE_1) | instskip(NEXT) | instid1(SALU_CYCLE_1)
	s_bitset1_b32 s0, 10
	s_mov_b32 m0, s0
	s_sendmsg sendmsg(MSG_INTERRUPT)
	s_mov_b32 m0, ttmp2
.LBB2_4602:                             ; =>This Inner Loop Header: Depth=1
	s_sethalt 5
	s_branch .LBB2_4602
.LBB2_4603:
	s_trap 2
	s_sendmsg_rtn_b32 s0, sendmsg(MSG_RTN_GET_DOORBELL)
	s_mov_b32 ttmp2, m0
	s_waitcnt lgkmcnt(0)
	s_and_b32 s0, s0, 0x3ff
	s_delay_alu instid0(SALU_CYCLE_1) | instskip(NEXT) | instid1(SALU_CYCLE_1)
	s_bitset1_b32 s0, 10
	s_mov_b32 m0, s0
	s_sendmsg sendmsg(MSG_INTERRUPT)
	s_mov_b32 m0, ttmp2
.LBB2_4604:                             ; =>This Inner Loop Header: Depth=1
	s_sethalt 5
	s_branch .LBB2_4604
.LBB2_4605:
	s_trap 2
	s_sendmsg_rtn_b32 s0, sendmsg(MSG_RTN_GET_DOORBELL)
	s_mov_b32 ttmp2, m0
	s_waitcnt lgkmcnt(0)
	s_and_b32 s0, s0, 0x3ff
	s_delay_alu instid0(SALU_CYCLE_1) | instskip(NEXT) | instid1(SALU_CYCLE_1)
	s_bitset1_b32 s0, 10
	s_mov_b32 m0, s0
	s_sendmsg sendmsg(MSG_INTERRUPT)
	s_mov_b32 m0, ttmp2
.LBB2_4606:                             ; =>This Inner Loop Header: Depth=1
	s_sethalt 5
	s_branch .LBB2_4606
.LBB2_4607:
	s_trap 2
	s_sendmsg_rtn_b32 s0, sendmsg(MSG_RTN_GET_DOORBELL)
	s_mov_b32 ttmp2, m0
	s_waitcnt lgkmcnt(0)
	s_and_b32 s0, s0, 0x3ff
	s_delay_alu instid0(SALU_CYCLE_1) | instskip(NEXT) | instid1(SALU_CYCLE_1)
	s_bitset1_b32 s0, 10
	s_mov_b32 m0, s0
	s_sendmsg sendmsg(MSG_INTERRUPT)
	s_mov_b32 m0, ttmp2
.LBB2_4608:                             ; =>This Inner Loop Header: Depth=1
	s_sethalt 5
	s_branch .LBB2_4608
.LBB2_4609:
	s_trap 2
	s_sendmsg_rtn_b32 s0, sendmsg(MSG_RTN_GET_DOORBELL)
	s_mov_b32 ttmp2, m0
	s_waitcnt lgkmcnt(0)
	s_and_b32 s0, s0, 0x3ff
	s_delay_alu instid0(SALU_CYCLE_1) | instskip(NEXT) | instid1(SALU_CYCLE_1)
	s_bitset1_b32 s0, 10
	s_mov_b32 m0, s0
	s_sendmsg sendmsg(MSG_INTERRUPT)
	s_mov_b32 m0, ttmp2
.LBB2_4610:                             ; =>This Inner Loop Header: Depth=1
	s_sethalt 5
	s_branch .LBB2_4610
.LBB2_4611:
	s_trap 2
	s_sendmsg_rtn_b32 s0, sendmsg(MSG_RTN_GET_DOORBELL)
	s_mov_b32 ttmp2, m0
	s_waitcnt lgkmcnt(0)
	s_and_b32 s0, s0, 0x3ff
	s_delay_alu instid0(SALU_CYCLE_1) | instskip(NEXT) | instid1(SALU_CYCLE_1)
	s_bitset1_b32 s0, 10
	s_mov_b32 m0, s0
	s_sendmsg sendmsg(MSG_INTERRUPT)
	s_mov_b32 m0, ttmp2
.LBB2_4612:                             ; =>This Inner Loop Header: Depth=1
	s_sethalt 5
	s_branch .LBB2_4612
.LBB2_4613:
	s_trap 2
	s_sendmsg_rtn_b32 s0, sendmsg(MSG_RTN_GET_DOORBELL)
	s_mov_b32 ttmp2, m0
	s_waitcnt lgkmcnt(0)
	s_and_b32 s0, s0, 0x3ff
	s_delay_alu instid0(SALU_CYCLE_1) | instskip(NEXT) | instid1(SALU_CYCLE_1)
	s_bitset1_b32 s0, 10
	s_mov_b32 m0, s0
	s_sendmsg sendmsg(MSG_INTERRUPT)
	s_mov_b32 m0, ttmp2
.LBB2_4614:                             ; =>This Inner Loop Header: Depth=1
	s_sethalt 5
	s_branch .LBB2_4614
.LBB2_4615:
	s_trap 2
	s_sendmsg_rtn_b32 s0, sendmsg(MSG_RTN_GET_DOORBELL)
	s_mov_b32 ttmp2, m0
	s_waitcnt lgkmcnt(0)
	s_and_b32 s0, s0, 0x3ff
	s_delay_alu instid0(SALU_CYCLE_1) | instskip(NEXT) | instid1(SALU_CYCLE_1)
	s_bitset1_b32 s0, 10
	s_mov_b32 m0, s0
	s_sendmsg sendmsg(MSG_INTERRUPT)
	s_mov_b32 m0, ttmp2
.LBB2_4616:                             ; =>This Inner Loop Header: Depth=1
	s_sethalt 5
	s_branch .LBB2_4616
.LBB2_4617:
	s_trap 2
	s_sendmsg_rtn_b32 s0, sendmsg(MSG_RTN_GET_DOORBELL)
	s_mov_b32 ttmp2, m0
	s_waitcnt lgkmcnt(0)
	s_and_b32 s0, s0, 0x3ff
	s_delay_alu instid0(SALU_CYCLE_1) | instskip(NEXT) | instid1(SALU_CYCLE_1)
	s_bitset1_b32 s0, 10
	s_mov_b32 m0, s0
	s_sendmsg sendmsg(MSG_INTERRUPT)
	s_mov_b32 m0, ttmp2
.LBB2_4618:                             ; =>This Inner Loop Header: Depth=1
	s_sethalt 5
	s_branch .LBB2_4618
.LBB2_4619:
	s_trap 2
	s_sendmsg_rtn_b32 s0, sendmsg(MSG_RTN_GET_DOORBELL)
	s_mov_b32 ttmp2, m0
	s_waitcnt lgkmcnt(0)
	s_and_b32 s0, s0, 0x3ff
	s_delay_alu instid0(SALU_CYCLE_1) | instskip(NEXT) | instid1(SALU_CYCLE_1)
	s_bitset1_b32 s0, 10
	s_mov_b32 m0, s0
	s_sendmsg sendmsg(MSG_INTERRUPT)
	s_mov_b32 m0, ttmp2
.LBB2_4620:                             ; =>This Inner Loop Header: Depth=1
	s_sethalt 5
	s_branch .LBB2_4620
.LBB2_4621:
	s_trap 2
	s_sendmsg_rtn_b32 s0, sendmsg(MSG_RTN_GET_DOORBELL)
	s_mov_b32 ttmp2, m0
	s_waitcnt lgkmcnt(0)
	s_and_b32 s0, s0, 0x3ff
	s_delay_alu instid0(SALU_CYCLE_1) | instskip(NEXT) | instid1(SALU_CYCLE_1)
	s_bitset1_b32 s0, 10
	s_mov_b32 m0, s0
	s_sendmsg sendmsg(MSG_INTERRUPT)
	s_mov_b32 m0, ttmp2
.LBB2_4622:                             ; =>This Inner Loop Header: Depth=1
	s_sethalt 5
	s_branch .LBB2_4622
.LBB2_4623:
	s_trap 2
	s_sendmsg_rtn_b32 s0, sendmsg(MSG_RTN_GET_DOORBELL)
	s_mov_b32 ttmp2, m0
	s_waitcnt lgkmcnt(0)
	s_and_b32 s0, s0, 0x3ff
	s_delay_alu instid0(SALU_CYCLE_1) | instskip(NEXT) | instid1(SALU_CYCLE_1)
	s_bitset1_b32 s0, 10
	s_mov_b32 m0, s0
	s_sendmsg sendmsg(MSG_INTERRUPT)
	s_mov_b32 m0, ttmp2
.LBB2_4624:                             ; =>This Inner Loop Header: Depth=1
	s_sethalt 5
	s_branch .LBB2_4624
.LBB2_4625:
	s_trap 2
	s_sendmsg_rtn_b32 s0, sendmsg(MSG_RTN_GET_DOORBELL)
	s_mov_b32 ttmp2, m0
	s_waitcnt lgkmcnt(0)
	s_and_b32 s0, s0, 0x3ff
	s_delay_alu instid0(SALU_CYCLE_1) | instskip(NEXT) | instid1(SALU_CYCLE_1)
	s_bitset1_b32 s0, 10
	s_mov_b32 m0, s0
	s_sendmsg sendmsg(MSG_INTERRUPT)
	s_mov_b32 m0, ttmp2
.LBB2_4626:                             ; =>This Inner Loop Header: Depth=1
	s_sethalt 5
	s_branch .LBB2_4626
.LBB2_4627:
	s_trap 2
	s_sendmsg_rtn_b32 s0, sendmsg(MSG_RTN_GET_DOORBELL)
	s_mov_b32 ttmp2, m0
	s_waitcnt lgkmcnt(0)
	s_and_b32 s0, s0, 0x3ff
	s_delay_alu instid0(SALU_CYCLE_1) | instskip(NEXT) | instid1(SALU_CYCLE_1)
	s_bitset1_b32 s0, 10
	s_mov_b32 m0, s0
	s_sendmsg sendmsg(MSG_INTERRUPT)
	s_mov_b32 m0, ttmp2
.LBB2_4628:                             ; =>This Inner Loop Header: Depth=1
	s_sethalt 5
	s_branch .LBB2_4628
.LBB2_4629:
	s_trap 2
	s_sendmsg_rtn_b32 s0, sendmsg(MSG_RTN_GET_DOORBELL)
	s_mov_b32 ttmp2, m0
	s_waitcnt lgkmcnt(0)
	s_and_b32 s0, s0, 0x3ff
	s_delay_alu instid0(SALU_CYCLE_1) | instskip(NEXT) | instid1(SALU_CYCLE_1)
	s_bitset1_b32 s0, 10
	s_mov_b32 m0, s0
	s_sendmsg sendmsg(MSG_INTERRUPT)
	s_mov_b32 m0, ttmp2
.LBB2_4630:                             ; =>This Inner Loop Header: Depth=1
	s_sethalt 5
	s_branch .LBB2_4630
.Lfunc_end2:
	.size	_ZN12_GLOBAL__N_17runRingI11rccl_float810FuncMinMaxIS1_E11ProtoSimpleILi1ELi1ELi0ELi1ELi0ELi0EELi0ELi1ELi0EEEviiP15ncclDevWorkColl, .Lfunc_end2-_ZN12_GLOBAL__N_17runRingI11rccl_float810FuncMinMaxIS1_E11ProtoSimpleILi1ELi1ELi0ELi1ELi0ELi0EELi0ELi1ELi0EEEviiP15ncclDevWorkColl
                                        ; -- End function
	.section	.AMDGPU.csdata,"",@progbits
; Function info:
; codeLenInByte = 155888
; NumSgprs: 38
; NumVgprs: 134
; ScratchSize: 80
; MemoryBound: 1
	.text
	.p2align	2                               ; -- Begin function _Z50ncclDevFunc_Reduce_RING_SIMPLE_MinMax_f8e4m3_0_0_1v
	.type	_Z50ncclDevFunc_Reduce_RING_SIMPLE_MinMax_f8e4m3_0_0_1v,@function
_Z50ncclDevFunc_Reduce_RING_SIMPLE_MinMax_f8e4m3_0_0_1v: ; @_Z50ncclDevFunc_Reduce_RING_SIMPLE_MinMax_f8e4m3_0_0_1v
; %bb.0:
	s_waitcnt vmcnt(0) expcnt(0) lgkmcnt(0)
	s_mov_b32 s0, s33
	s_mov_b32 s33, s32
	s_or_saveexec_b32 s1, -1
	scratch_store_b32 off, v40, s33 offset:4 ; 4-byte Folded Spill
	s_mov_b32 exec_lo, s1
	v_writelane_b32 v40, s0, 10
	s_add_i32 s32, s32, 16
	scratch_store_b32 off, v41, s33         ; 4-byte Folded Spill
	v_writelane_b32 v40, s34, 0
	v_writelane_b32 v40, s35, 1
	;; [unrolled: 1-line block ×10, first 2 shown]
	s_cbranch_execnz .LBB3_7
; %bb.1:
	ds_load_b32 v0, v0
	v_and_b32_e32 v134, 0x3ff, v31
	s_mov_b32 s0, exec_lo
	s_waitcnt lgkmcnt(0)
	s_delay_alu instid0(VALU_DEP_1)
	v_cmpx_lt_i32_e64 v134, v0
	s_cbranch_execz .LBB3_9
; %bb.2:
	s_load_b32 s1, s[8:9], 0x0
	v_mov_b32_e32 v1, 0
	s_waitcnt lgkmcnt(0)
	s_cmp_lt_u32 s12, s1
	s_cselect_b32 s1, 12, 18
	s_delay_alu instid0(SALU_CYCLE_1)
	s_add_u32 s2, s8, s1
	s_addc_u32 s3, s9, 0
	s_mov_b32 s1, 0
	global_load_u16 v1, v1, s[2:3]
	s_cbranch_execnz .LBB3_24
; %bb.3:
	ds_load_b32 v2, v0
	v_mov_b32_e32 v3, v134
	s_mov_b32 s2, 0
                                        ; implicit-def: $vgpr4
	s_waitcnt vmcnt(0) lgkmcnt(0)
	v_mul_lo_u32 v2, v2, v1
	s_branch .LBB3_5
	.p2align	6
.LBB3_4:                                ;   in Loop: Header=BB3_5 Depth=1
	s_or_b32 exec_lo, exec_lo, s3
	v_add_nc_u32_e32 v3, v3, v1
	v_add_nc_u32_e32 v4, v4, v2
	s_delay_alu instid0(VALU_DEP_2) | instskip(SKIP_1) | instid1(SALU_CYCLE_1)
	v_cmp_ge_i32_e32 vcc_lo, v3, v0
	s_or_b32 s1, vcc_lo, s1
	s_and_not1_b32 exec_lo, exec_lo, s1
	s_cbranch_execz .LBB3_9
.LBB3_5:                                ; =>This Inner Loop Header: Depth=1
	ds_load_b32 v5, v4
	s_mov_b32 s3, exec_lo
	s_waitcnt lgkmcnt(0)
	v_and_b32_e32 v5, 0x1000000, v5
	s_delay_alu instid0(VALU_DEP_1)
	v_cmpx_ne_u32_e32 0, v5
	s_cbranch_execz .LBB3_4
; %bb.6:                                ;   in Loop: Header=BB3_5 Depth=1
	ds_load_b64 v[5:6], v4 offset:104
	s_waitcnt lgkmcnt(0)
	flat_load_u8 v5, v[5:6]
	s_waitcnt vmcnt(0) lgkmcnt(0)
	v_dual_mov_b32 v6, s2 :: v_dual_and_b32 v5, 0xffff, v5
	ds_store_b64 v4, v[5:6] offset:104
	s_branch .LBB3_4
.LBB3_7:
	s_trap 2
	s_sendmsg_rtn_b32 s0, sendmsg(MSG_RTN_GET_DOORBELL)
	s_mov_b32 ttmp2, m0
	s_waitcnt lgkmcnt(0)
	s_and_b32 s0, s0, 0x3ff
	s_delay_alu instid0(SALU_CYCLE_1) | instskip(NEXT) | instid1(SALU_CYCLE_1)
	s_bitset1_b32 s0, 10
	s_mov_b32 m0, s0
	s_sendmsg sendmsg(MSG_INTERRUPT)
	s_mov_b32 m0, ttmp2
.LBB3_8:                                ; =>This Inner Loop Header: Depth=1
	s_sethalt 5
	s_branch .LBB3_8
.LBB3_9:
	s_or_b32 exec_lo, exec_lo, s0
	s_waitcnt lgkmcnt(0)
	s_waitcnt_vscnt null, 0x0
	s_barrier
	buffer_gl0_inv
	s_cbranch_execnz .LBB3_22
; %bb.10:
	ds_load_b32 v0, v0
	s_waitcnt lgkmcnt(0)
	v_cmp_gt_i32_e32 vcc_lo, 1, v0
	s_cbranch_vccnz .LBB3_21
; %bb.11:
	s_mov_b32 s40, 0
	s_mov_b64 s[38:39], src_shared_base
.LBB3_12:                               ; =>This Inner Loop Header: Depth=1
	s_cbranch_execnz .LBB3_26
; %bb.13:                               ;   in Loop: Header=BB3_12 Depth=1
	ds_load_b32 v0, v0
	s_cmp_eq_u32 s40, 0
	s_cbranch_scc1 .LBB3_17
; %bb.14:                               ;   in Loop: Header=BB3_12 Depth=1
	s_cbranch_execnz .LBB3_30
; %bb.15:                               ;   in Loop: Header=BB3_12 Depth=1
	s_waitcnt lgkmcnt(0)
	ds_load_b32 v1, v0
	s_waitcnt lgkmcnt(0)
	v_xor_b32_e32 v1, v1, v0
	s_delay_alu instid0(VALU_DEP_1) | instskip(NEXT) | instid1(VALU_DEP_1)
	v_and_b32_e32 v1, 0xff0000, v1
	v_cmp_eq_u32_e32 vcc_lo, 0, v1
	s_cbranch_vccnz .LBB3_17
; %bb.16:                               ;   in Loop: Header=BB3_12 Depth=1
	s_waitcnt_vscnt null, 0x0
	s_barrier
	buffer_gl0_inv
	ds_load_b32 v0, v0
.LBB3_17:                               ;   in Loop: Header=BB3_12 Depth=1
	s_waitcnt lgkmcnt(0)
	v_lshrrev_b32_e32 v0, 11, v0
	s_mov_b32 s41, exec_lo
	s_delay_alu instid0(VALU_DEP_1) | instskip(NEXT) | instid1(VALU_DEP_1)
	v_and_b32_e32 v1, 0x1fe0, v0
	v_cmpx_lt_u32_e64 v134, v1
	s_cbranch_execz .LBB3_19
; %bb.18:                               ;   in Loop: Header=BB3_12 Depth=1
	v_dual_mov_b32 v135, v31 :: v_dual_mov_b32 v0, v134
	v_mov_b32_e32 v3, s39
	s_getpc_b64 s[0:1]
	s_add_u32 s0, s0, _ZN12_GLOBAL__N_17runRingI11rccl_float810FuncMinMaxIS1_E11ProtoSimpleILi1ELi1ELi0ELi1ELi0ELi0EELi0ELi1ELi0EEEviiP15ncclDevWorkColl@rel32@lo+4
	s_addc_u32 s1, s1, _ZN12_GLOBAL__N_17runRingI11rccl_float810FuncMinMaxIS1_E11ProtoSimpleILi1ELi1ELi0ELi1ELi0ELi0EELi0ELi1ELi0EEEviiP15ncclDevWorkColl@rel32@hi+12
	s_mov_b64 s[36:37], s[8:9]
	s_mov_b32 s38, s12
	s_swappc_b64 s[30:31], s[0:1]
	v_mov_b32_e32 v31, v135
	s_mov_b32 s12, s38
	s_mov_b64 s[8:9], s[36:37]
.LBB3_19:                               ;   in Loop: Header=BB3_12 Depth=1
	s_or_b32 exec_lo, exec_lo, s41
	s_cbranch_execnz .LBB3_28
; %bb.20:                               ;   in Loop: Header=BB3_12 Depth=1
	ds_load_b32 v0, v0
	s_add_i32 s40, s40, 1
	s_waitcnt lgkmcnt(0)
	v_cmp_lt_i32_e32 vcc_lo, s40, v0
	s_cbranch_vccnz .LBB3_12
.LBB3_21:
	scratch_load_b32 v41, off, s33          ; 4-byte Folded Reload
	v_readlane_b32 s30, v40, 8
	v_readlane_b32 s31, v40, 9
	;; [unrolled: 1-line block ×11, first 2 shown]
	s_or_saveexec_b32 s1, -1
	scratch_load_b32 v40, off, s33 offset:4 ; 4-byte Folded Reload
	s_mov_b32 exec_lo, s1
	s_add_i32 s32, s32, -16
	s_mov_b32 s33, s0
	s_waitcnt vmcnt(0)
	s_setpc_b64 s[30:31]
.LBB3_22:
	s_trap 2
	s_sendmsg_rtn_b32 s0, sendmsg(MSG_RTN_GET_DOORBELL)
	s_mov_b32 ttmp2, m0
	s_waitcnt lgkmcnt(0)
	s_and_b32 s0, s0, 0x3ff
	s_delay_alu instid0(SALU_CYCLE_1) | instskip(NEXT) | instid1(SALU_CYCLE_1)
	s_bitset1_b32 s0, 10
	s_mov_b32 m0, s0
	s_sendmsg sendmsg(MSG_INTERRUPT)
	s_mov_b32 m0, ttmp2
.LBB3_23:                               ; =>This Inner Loop Header: Depth=1
	s_sethalt 5
	s_branch .LBB3_23
.LBB3_24:
	s_trap 2
	s_sendmsg_rtn_b32 s0, sendmsg(MSG_RTN_GET_DOORBELL)
	s_mov_b32 ttmp2, m0
	s_waitcnt lgkmcnt(0)
	s_and_b32 s0, s0, 0x3ff
	s_delay_alu instid0(SALU_CYCLE_1) | instskip(NEXT) | instid1(SALU_CYCLE_1)
	s_bitset1_b32 s0, 10
	s_mov_b32 m0, s0
	s_sendmsg sendmsg(MSG_INTERRUPT)
	s_mov_b32 m0, ttmp2
.LBB3_25:                               ; =>This Inner Loop Header: Depth=1
	s_sethalt 5
	s_branch .LBB3_25
.LBB3_26:
	s_trap 2
	s_sendmsg_rtn_b32 s0, sendmsg(MSG_RTN_GET_DOORBELL)
	s_mov_b32 ttmp2, m0
	s_waitcnt lgkmcnt(0)
	s_and_b32 s0, s0, 0x3ff
	s_delay_alu instid0(SALU_CYCLE_1) | instskip(NEXT) | instid1(SALU_CYCLE_1)
	s_bitset1_b32 s0, 10
	s_mov_b32 m0, s0
	s_sendmsg sendmsg(MSG_INTERRUPT)
	s_mov_b32 m0, ttmp2
.LBB3_27:                               ; =>This Inner Loop Header: Depth=1
	s_sethalt 5
	s_branch .LBB3_27
.LBB3_28:
	s_trap 2
	s_sendmsg_rtn_b32 s0, sendmsg(MSG_RTN_GET_DOORBELL)
	s_mov_b32 ttmp2, m0
	s_waitcnt lgkmcnt(0)
	s_and_b32 s0, s0, 0x3ff
	s_delay_alu instid0(SALU_CYCLE_1) | instskip(NEXT) | instid1(SALU_CYCLE_1)
	s_bitset1_b32 s0, 10
	s_mov_b32 m0, s0
	s_sendmsg sendmsg(MSG_INTERRUPT)
	s_mov_b32 m0, ttmp2
.LBB3_29:                               ; =>This Inner Loop Header: Depth=1
	s_sethalt 5
	s_branch .LBB3_29
.LBB3_30:
	s_trap 2
	s_sendmsg_rtn_b32 s0, sendmsg(MSG_RTN_GET_DOORBELL)
	s_mov_b32 ttmp2, m0
	s_waitcnt lgkmcnt(0)
	s_and_b32 s0, s0, 0x3ff
	s_delay_alu instid0(SALU_CYCLE_1) | instskip(NEXT) | instid1(SALU_CYCLE_1)
	s_bitset1_b32 s0, 10
	s_mov_b32 m0, s0
	s_sendmsg sendmsg(MSG_INTERRUPT)
	s_mov_b32 m0, ttmp2
.LBB3_31:                               ; =>This Inner Loop Header: Depth=1
	s_sethalt 5
	s_branch .LBB3_31
.Lfunc_end3:
	.size	_Z50ncclDevFunc_Reduce_RING_SIMPLE_MinMax_f8e4m3_0_0_1v, .Lfunc_end3-_Z50ncclDevFunc_Reduce_RING_SIMPLE_MinMax_f8e4m3_0_0_1v
                                        ; -- End function
	.section	.AMDGPU.csdata,"",@progbits
; Function info:
; codeLenInByte = 1080
; NumSgprs: 44
; NumVgprs: 136
; ScratchSize: 96
; MemoryBound: 0
	.text
	.p2align	2                               ; -- Begin function _ZN12_GLOBAL__N_17runRingI11rccl_float810FuncMinMaxIS1_E11ProtoSimpleILi1ELi1ELi0ELi2ELi0ELi0EELi0ELi2ELi0EEEviiP15ncclDevWorkColl
	.type	_ZN12_GLOBAL__N_17runRingI11rccl_float810FuncMinMaxIS1_E11ProtoSimpleILi1ELi1ELi0ELi2ELi0ELi0EELi0ELi2ELi0EEEviiP15ncclDevWorkColl,@function
_ZN12_GLOBAL__N_17runRingI11rccl_float810FuncMinMaxIS1_E11ProtoSimpleILi1ELi1ELi0ELi2ELi0ELi0EELi0ELi2ELi0EEEviiP15ncclDevWorkColl: ; @_ZN12_GLOBAL__N_17runRingI11rccl_float810FuncMinMaxIS1_E11ProtoSimpleILi1ELi1ELi0ELi2ELi0ELi0EELi0ELi2ELi0EEEviiP15ncclDevWorkColl
; %bb.0:
	s_waitcnt vmcnt(0) expcnt(0) lgkmcnt(0)
	s_mov_b32 s0, s33
	s_mov_b32 s33, s32
	s_or_saveexec_b32 s1, -1
	scratch_store_b32 off, v41, s33 offset:4 ; 4-byte Folded Spill
	s_mov_b32 exec_lo, s1
	v_writelane_b32 v41, s0, 2
	s_add_i32 s32, s32, 16
	scratch_store_b32 off, v40, s33         ; 4-byte Folded Spill
	v_writelane_b32 v41, s30, 0
	v_writelane_b32 v41, s31, 1
	s_cbranch_execz .LBB4_1
; %bb.6795:
	s_getpc_b64 s[34:35]
.Lpost_getpc37:
	s_add_u32 s34, s34, (.LBB4_6505-.Lpost_getpc37)&4294967295
	s_addc_u32 s35, s35, (.LBB4_6505-.Lpost_getpc37)>>32
	s_setpc_b64 s[34:35]
.LBB4_1:
	ds_load_b64 v[14:15], v0
	ds_load_b32 v9, v0
	flat_load_b64 v[6:7], v[2:3]
	s_mov_b32 s0, exec_lo
                                        ; implicit-def: $vgpr17_vgpr18
                                        ; implicit-def: $vgpr26_vgpr27
	s_waitcnt lgkmcnt(2)
	v_ashrrev_i32_e32 v5, 31, v15
	v_mov_b32_e32 v4, v15
	s_delay_alu instid0(VALU_DEP_1) | instskip(NEXT) | instid1(VALU_DEP_1)
	v_lshlrev_b64 v[4:5], 2, v[4:5]
	v_add_co_u32 v4, vcc_lo, v14, v4
	s_delay_alu instid0(VALU_DEP_2) | instskip(NEXT) | instid1(VALU_DEP_2)
	v_add_co_ci_u32_e32 v5, vcc_lo, v15, v5, vcc_lo
	v_add_co_u32 v4, vcc_lo, -4, v4
	s_delay_alu instid0(VALU_DEP_2) | instskip(SKIP_4) | instid1(VALU_DEP_1)
	v_add_co_ci_u32_e32 v5, vcc_lo, -1, v5, vcc_lo
	flat_load_u16 v16, v[2:3] offset:8
	flat_load_b32 v22, v[4:5]
                                        ; implicit-def: $vgpr4_vgpr5
	s_waitcnt vmcnt(2) lgkmcnt(2)
	v_dual_mov_b32 v15, v7 :: v_dual_and_b32 v8, 0xff, v6
	v_cmpx_ne_u32_e64 v8, v9
	s_xor_b32 s0, exec_lo, s0
	s_cbranch_execz .LBB4_2
; %bb.6797:
	s_getpc_b64 s[34:35]
.Lpost_getpc38:
	s_add_u32 s34, s34, (.LBB4_6507-.Lpost_getpc38)&4294967295
	s_addc_u32 s35, s35, (.LBB4_6507-.Lpost_getpc38)>>32
	s_setpc_b64 s[34:35]
.LBB4_2:
	s_and_not1_saveexec_b32 s0, s0
	s_cbranch_execz .LBB4_3
; %bb.6799:
	s_getpc_b64 s[34:35]
.Lpost_getpc39:
	s_add_u32 s34, s34, (.LBB4_6512-.Lpost_getpc39)&4294967295
	s_addc_u32 s35, s35, (.LBB4_6512-.Lpost_getpc39)>>32
	s_setpc_b64 s[34:35]
.LBB4_3:
	s_or_b32 exec_lo, exec_lo, s0
	s_cbranch_execz .LBB4_4
; %bb.6801:
	s_getpc_b64 s[34:35]
.Lpost_getpc40:
	s_add_u32 s34, s34, (.LBB4_6513-.Lpost_getpc40)&4294967295
	s_addc_u32 s35, s35, (.LBB4_6513-.Lpost_getpc40)>>32
	s_setpc_b64 s[34:35]
.LBB4_4:
	ds_load_b64 v[6:7], v0
	s_mov_b32 s1, exec_lo
	s_waitcnt lgkmcnt(0)
	v_cmp_ne_u32_e32 vcc_lo, -1, v6
	v_cndmask_b32_e64 v54, 0, 1, vcc_lo
	v_cmp_ne_u32_e32 vcc_lo, -1, v7
	s_delay_alu instid0(VALU_DEP_2) | instskip(NEXT) | instid1(VALU_DEP_1)
	v_add_co_ci_u32_e64 v6, s0, 0, v54, vcc_lo
	v_lshlrev_b32_e32 v7, 1, v6
	s_delay_alu instid0(VALU_DEP_1)
	v_cmpx_le_i32_e64 v7, v1
	s_xor_b32 s13, exec_lo, s1
	s_cbranch_execnz .LBB4_5
; %bb.6803:
	s_getpc_b64 s[34:35]
.Lpost_getpc41:
	s_add_u32 s34, s34, (.LBB4_6716-.Lpost_getpc41)&4294967295
	s_addc_u32 s35, s35, (.LBB4_6716-.Lpost_getpc41)>>32
	s_setpc_b64 s[34:35]
.LBB4_5:
	s_clause 0x1
	flat_load_b128 v[10:13], v[2:3] offset:16
	flat_load_b64 v[18:19], v[2:3] offset:104
	s_cbranch_execz .LBB4_6
; %bb.6805:
	s_getpc_b64 s[34:35]
.Lpost_getpc42:
	s_add_u32 s34, s34, (.LBB4_6515-.Lpost_getpc42)&4294967295
	s_addc_u32 s35, s35, (.LBB4_6515-.Lpost_getpc42)>>32
	s_setpc_b64 s[34:35]
.LBB4_6:
	s_load_b32 s0, s[8:9], 0x0
	v_mov_b32_e32 v2, 0
	v_mov_b32_e32 v30, 4
	s_waitcnt lgkmcnt(0)
	s_cmp_lt_u32 s12, s0
	s_cselect_b32 s0, 12, 18
	s_delay_alu instid0(SALU_CYCLE_1)
	s_add_u32 s0, s8, s0
	s_addc_u32 s1, s9, 0
	global_load_u16 v23, v2, s[0:1]
	ds_load_b32 v2, v0
	s_mov_b32 s1, exec_lo
	s_waitcnt lgkmcnt(0)
	v_readfirstlane_b32 s14, v2
	v_cmpx_ge_i32_e64 v0, v54
	s_cbranch_execz .LBB4_16
; %bb.7:
	v_cmp_le_u32_e64 s0, v6, v0
                                        ; implicit-def: $vgpr30
	s_delay_alu instid0(VALU_DEP_1) | instskip(NEXT) | instid1(SALU_CYCLE_1)
	s_and_saveexec_b32 s2, s0
	s_xor_b32 s0, exec_lo, s2
	s_cbranch_execz .LBB4_13
; %bb.8:
	v_cndmask_b32_e64 v2, 0, 1, vcc_lo
	s_mov_b32 s2, exec_lo
                                        ; implicit-def: $sgpr3
	s_delay_alu instid0(VALU_DEP_1) | instskip(NEXT) | instid1(VALU_DEP_1)
	v_sub_nc_u32_e32 v2, v1, v2
	v_cmpx_ge_u32_e64 v0, v2
	s_xor_b32 s2, exec_lo, s2
; %bb.9:
	s_mov_b32 s3, 16
                                        ; implicit-def: $vgpr6
; %bb.10:
	s_or_saveexec_b32 s2, s2
	v_mov_b32_e32 v30, s3
	s_xor_b32 exec_lo, exec_lo, s2
; %bb.11:
	v_sub_nc_u32_e32 v2, v1, v6
	s_delay_alu instid0(VALU_DEP_1) | instskip(SKIP_1) | instid1(VALU_DEP_1)
	v_cmp_ge_i32_e32 vcc_lo, v0, v2
	v_cndmask_b32_e64 v2, 0, 1, vcc_lo
	v_lshlrev_b32_e32 v30, 5, v2
; %bb.12:
	s_or_b32 exec_lo, exec_lo, s2
.LBB4_13:
	s_and_not1_saveexec_b32 s0, s0
; %bb.14:
	v_mov_b32_e32 v30, 8
; %bb.15:
	s_or_b32 exec_lo, exec_lo, s0
.LBB4_16:
	s_delay_alu instid0(SALU_CYCLE_1) | instskip(NEXT) | instid1(VALU_DEP_1)
	s_or_b32 exec_lo, exec_lo, s1
	v_and_b32_e32 v2, 36, v30
	v_mov_b32_e32 v20, -1
	s_delay_alu instid0(VALU_DEP_2)
	v_cmp_ne_u32_e32 vcc_lo, 0, v2
	s_and_saveexec_b32 s0, vcc_lo
	s_cbranch_execz .LBB4_19
; %bb.17:
	s_cbranch_execz .LBB4_18
; %bb.6807:
	s_getpc_b64 s[34:35]
.Lpost_getpc43:
	s_add_u32 s34, s34, (.LBB4_6517-.Lpost_getpc43)&4294967295
	s_addc_u32 s35, s35, (.LBB4_6517-.Lpost_getpc43)>>32
	s_setpc_b64 s[34:35]
.LBB4_18:
	ds_load_b32 v20, v0
.LBB4_19:
	s_or_b32 exec_lo, exec_lo, s0
	v_and_b32_e32 v2, 24, v30
	s_mov_b32 s1, exec_lo
	s_delay_alu instid0(VALU_DEP_1)
	v_cmpx_ne_u32_e32 0, v2
	s_cbranch_execz .LBB4_22
; %bb.20:
	s_cbranch_execz .LBB4_21
; %bb.6809:
	s_getpc_b64 s[34:35]
.Lpost_getpc44:
	s_add_u32 s34, s34, (.LBB4_6519-.Lpost_getpc44)&4294967295
	s_addc_u32 s35, s35, (.LBB4_6519-.Lpost_getpc44)>>32
	s_setpc_b64 s[34:35]
.LBB4_21:
	s_waitcnt lgkmcnt(0)
	ds_load_b32 v20, v0
.LBB4_22:
	s_or_b32 exec_lo, exec_lo, s1
	s_waitcnt vmcnt(4)
	v_lshrrev_b64 v[2:3], 31, v[15:16]
	v_mov_b32_e32 v28, 0
	v_mov_b32_e32 v29, 0
                                        ; implicit-def: $vgpr81
                                        ; implicit-def: $vgpr36_vgpr37
                                        ; implicit-def: $vgpr34_vgpr35
                                        ; implicit-def: $vgpr32_vgpr33
	s_delay_alu instid0(VALU_DEP_3) | instskip(NEXT) | instid1(VALU_DEP_2)
	v_and_b32_e32 v16, 3, v2
	v_dual_mov_b32 v6, v28 :: v_dual_mov_b32 v7, v29
                                        ; implicit-def: $vgpr2_vgpr3
	s_and_saveexec_b32 s0, vcc_lo
	s_cbranch_execz .LBB4_35
; %bb.23:
	s_cbranch_execz .LBB4_24
; %bb.6811:
	s_getpc_b64 s[34:35]
.Lpost_getpc45:
	s_add_u32 s34, s34, (.LBB4_6521-.Lpost_getpc45)&4294967295
	s_addc_u32 s35, s35, (.LBB4_6521-.Lpost_getpc45)>>32
	s_setpc_b64 s[34:35]
.LBB4_24:
	ds_load_b64 v[2:3], v0
	s_waitcnt lgkmcnt(1)
	v_ashrrev_i32_e32 v21, 31, v20
	v_and_b32_e32 v8, 0xffff, v16
	s_delay_alu instid0(VALU_DEP_2) | instskip(SKIP_1) | instid1(VALU_DEP_1)
	v_lshlrev_b64 v[6:7], 3, v[20:21]
	s_waitcnt lgkmcnt(0)
	v_add_co_u32 v2, vcc_lo, v2, v6
	s_delay_alu instid0(VALU_DEP_2)
	v_add_co_ci_u32_e32 v3, vcc_lo, v3, v7, vcc_lo
	flat_load_b64 v[2:3], v[2:3]
	s_waitcnt vmcnt(0) lgkmcnt(0)
	v_mad_u64_u32 v[6:7], null, 0xa8, v8, v[2:3]
	flat_load_b32 v2, v[6:7] offset:640
	v_add_co_u32 v28, vcc_lo, 0x1f8, v6
	v_add_co_ci_u32_e32 v29, vcc_lo, 0, v7, vcc_lo
	s_waitcnt vmcnt(0) lgkmcnt(0)
	v_cmp_eq_u32_e32 vcc_lo, 1, v2
                                        ; implicit-def: $vgpr2_vgpr3
	s_and_saveexec_b32 s1, vcc_lo
	s_cbranch_execz .LBB4_27
; %bb.25:
	flat_load_b64 v[2:3], v[28:29] offset:144
	s_waitcnt vmcnt(0) lgkmcnt(0)
	flat_load_b64 v[6:7], v[2:3]
	s_cbranch_execz .LBB4_26
; %bb.6813:
	s_getpc_b64 s[34:35]
.Lpost_getpc46:
	s_add_u32 s34, s34, (.LBB4_6527-.Lpost_getpc46)&4294967295
	s_addc_u32 s35, s35, (.LBB4_6527-.Lpost_getpc46)>>32
	s_setpc_b64 s[34:35]
.LBB4_26:
	s_waitcnt vmcnt(0) lgkmcnt(0)
	ds_store_b64 v0, v[6:7]
	flat_load_b64 v[6:7], v[2:3] offset:8
	v_or_b32_e32 v30, 0x2000, v30
	s_waitcnt vmcnt(0) lgkmcnt(0)
	ds_store_b64 v0, v[6:7]
	flat_load_b64 v[6:7], v[2:3] offset:16
	s_waitcnt vmcnt(0) lgkmcnt(0)
	ds_store_b64 v0, v[6:7]
.LBB4_27:
	s_or_b32 exec_lo, exec_lo, s1
	flat_load_b64 v[8:9], v[28:29] offset:104
	v_and_b32_e32 v6, 32, v30
	s_mov_b32 s1, exec_lo
                                        ; implicit-def: $vgpr32_vgpr33
	s_delay_alu instid0(VALU_DEP_1)
	v_cmpx_ne_u32_e32 0, v6
	s_cbranch_execz .LBB4_29
; %bb.28:
	flat_load_b64 v[32:33], v[28:29] offset:56
	s_waitcnt vmcnt(0) lgkmcnt(0)
	s_waitcnt_vscnt null, 0x0
	flat_store_b64 v[32:33], v[8:9]
.LBB4_29:
	s_or_b32 exec_lo, exec_lo, s1
	v_dual_mov_b32 v6, 0 :: v_dual_and_b32 v21, 4, v30
	v_mov_b32_e32 v7, 0
	s_mov_b32 s1, exec_lo
                                        ; implicit-def: $vgpr81
                                        ; implicit-def: $vgpr36_vgpr37
                                        ; implicit-def: $vgpr34_vgpr35
	s_delay_alu instid0(VALU_DEP_2)
	v_cmpx_ne_u32_e32 0, v21
	s_cbranch_execz .LBB4_34
; %bb.30:
	v_and_b32_e32 v6, 0x800, v30
	s_mov_b32 s2, exec_lo
	s_delay_alu instid0(VALU_DEP_1)
	v_cmpx_eq_u32_e32 0, v6
	s_cbranch_execz .LBB4_33
; %bb.31:
	s_cbranch_execz .LBB4_32
; %bb.6815:
	s_getpc_b64 s[34:35]
.Lpost_getpc47:
	s_add_u32 s34, s34, (.LBB4_6531-.Lpost_getpc47)&4294967295
	s_addc_u32 s35, s35, (.LBB4_6531-.Lpost_getpc47)>>32
	s_setpc_b64 s[34:35]
.LBB4_32:
	ds_store_b64 v0, v[28:29]
.LBB4_33:
	s_or_b32 exec_lo, exec_lo, s2
	flat_load_b64 v[32:33], v[28:29] offset:48
	v_or_b32_e32 v21, 0x100, v30
	s_waitcnt vmcnt(0) lgkmcnt(0)
	flat_load_b64 v[36:37], v[32:33] glc
	s_clause 0x2
	flat_load_b64 v[6:7], v[28:29] offset:96
	flat_load_b32 v81, v[28:29] offset:72
	flat_load_b64 v[34:35], v[28:29] offset:16
	s_waitcnt vmcnt(2) lgkmcnt(2)
	v_cmp_eq_u64_e32 vcc_lo, 0, v[6:7]
	v_cndmask_b32_e32 v30, v21, v30, vcc_lo
.LBB4_34:
	s_or_b32 exec_lo, exec_lo, s1
.LBB4_35:
	s_delay_alu instid0(SALU_CYCLE_1) | instskip(NEXT) | instid1(VALU_DEP_1)
	s_or_b32 exec_lo, exec_lo, s0
	v_and_b32_e32 v21, 24, v30
	s_mov_b32 s0, exec_lo
                                        ; implicit-def: $vgpr50_vgpr51
	s_delay_alu instid0(VALU_DEP_1)
	v_cmpx_ne_u32_e32 0, v21
	s_cbranch_execz .LBB4_45
; %bb.36:
	s_cbranch_execz .LBB4_37
; %bb.6817:
	s_getpc_b64 s[34:35]
.Lpost_getpc48:
	s_add_u32 s34, s34, (.LBB4_6523-.Lpost_getpc48)&4294967295
	s_addc_u32 s35, s35, (.LBB4_6523-.Lpost_getpc48)>>32
	s_setpc_b64 s[34:35]
.LBB4_37:
	ds_load_b64 v[6:7], v0
	s_waitcnt lgkmcnt(1)
	v_ashrrev_i32_e32 v21, 31, v20
	s_mov_b32 s1, exec_lo
                                        ; implicit-def: $vgpr50_vgpr51
	s_waitcnt vmcnt(0)
	s_delay_alu instid0(VALU_DEP_1) | instskip(SKIP_1) | instid1(VALU_DEP_1)
	v_lshlrev_b64 v[8:9], 3, v[20:21]
	s_waitcnt lgkmcnt(0)
	v_add_co_u32 v6, vcc_lo, v6, v8
	s_delay_alu instid0(VALU_DEP_2)
	v_add_co_ci_u32_e32 v7, vcc_lo, v7, v9, vcc_lo
	v_and_b32_e32 v8, 0xffff, v16
	v_or_b32_e32 v16, 0x100, v30
	flat_load_b64 v[6:7], v[6:7]
	s_waitcnt vmcnt(0) lgkmcnt(0)
	v_mad_u64_u32 v[28:29], null, 0xa8, v8, v[6:7]
	flat_load_b128 v[6:9], v[28:29] offset:96
	s_waitcnt vmcnt(0) lgkmcnt(0)
	v_cmp_eq_u64_e32 vcc_lo, 0, v[6:7]
	v_cndmask_b32_e32 v30, v16, v30, vcc_lo
	s_delay_alu instid0(VALU_DEP_1) | instskip(NEXT) | instid1(VALU_DEP_1)
	v_and_b32_e32 v16, 16, v30
	v_cmpx_ne_u32_e32 0, v16
; %bb.38:
	s_clause 0x2
	flat_load_b64 v[50:51], v[28:29] offset:120
	flat_load_b64 v[32:33], v[28:29] offset:48
	;; [unrolled: 1-line block ×3, first 2 shown]
; %bb.39:
	s_or_b32 exec_lo, exec_lo, s1
	v_and_b32_e32 v16, 8, v30
	s_mov_b32 s1, exec_lo
	s_delay_alu instid0(VALU_DEP_1)
	v_cmpx_ne_u32_e32 0, v16
	s_cbranch_execz .LBB4_44
; %bb.40:
	v_and_b32_e32 v16, 0x800, v30
	s_mov_b32 s2, exec_lo
	s_delay_alu instid0(VALU_DEP_1)
	v_cmpx_eq_u32_e32 0, v16
	s_cbranch_execz .LBB4_43
; %bb.41:
	s_cbranch_execz .LBB4_42
; %bb.6819:
	s_getpc_b64 s[34:35]
.Lpost_getpc49:
	s_add_u32 s34, s34, (.LBB4_6548-.Lpost_getpc49)&4294967295
	s_addc_u32 s35, s35, (.LBB4_6548-.Lpost_getpc49)>>32
	s_setpc_b64 s[34:35]
.LBB4_42:
	ds_store_b64 v0, v[28:29]
.LBB4_43:
	s_or_b32 exec_lo, exec_lo, s2
	s_waitcnt vmcnt(1) lgkmcnt(1)
	flat_load_b64 v[32:33], v[28:29] offset:56
	s_waitcnt vmcnt(0) lgkmcnt(0)
	flat_load_b64 v[36:37], v[32:33] glc
	s_clause 0x1
	flat_load_b32 v81, v[28:29] offset:72
	flat_load_b64 v[34:35], v[28:29] offset:16
.LBB4_44:
	s_or_b32 exec_lo, exec_lo, s1
.LBB4_45:
	s_delay_alu instid0(SALU_CYCLE_1) | instskip(SKIP_1) | instid1(VALU_DEP_1)
	s_or_b32 exec_lo, exec_lo, s0
	v_cmp_eq_u32_e64 s0, 0, v0
	s_and_saveexec_b32 s1, s0
	s_cbranch_execz .LBB4_48
; %bb.46:
	s_waitcnt vmcnt(2)
	ds_store_2addr_b64 v0, v[12:13], v[10:11] offset1:1
	s_cbranch_execz .LBB4_47
; %bb.6821:
	s_getpc_b64 s[34:35]
.Lpost_getpc50:
	s_add_u32 s34, s34, (.LBB4_6525-.Lpost_getpc50)&4294967295
	s_addc_u32 s35, s35, (.LBB4_6525-.Lpost_getpc50)>>32
	s_setpc_b64 s[34:35]
.LBB4_47:
	v_mov_b32_e32 v10, 0
	s_delay_alu instid0(VALU_DEP_1)
	v_mov_b32_e32 v11, v10
	ds_store_b64 v0, v[10:11]
	s_waitcnt vmcnt(1)
	ds_store_b64 v0, v[18:19]
.LBB4_48:
	s_or_b32 exec_lo, exec_lo, s1
	s_waitcnt vmcnt(2)
	v_bfe_u32 v10, v15, 1, 30
	v_dual_mov_b32 v49, 0 :: v_dual_and_b32 v48, 0x3ffffe00, v17
	s_waitcnt vmcnt(0)
	v_and_b32_e32 v80, 0xffff, v23
                                        ; implicit-def: $vgpr38_vgpr39
	s_mov_b32 s1, exec_lo
	v_cmpx_ne_u32_e64 v22, v10
	s_xor_b32 s15, exec_lo, s1
	s_cbranch_execnz .LBB4_49
; %bb.6823:
	s_getpc_b64 s[34:35]
.Lpost_getpc51:
	s_add_u32 s34, s34, (.LBB4_6302-.Lpost_getpc51)&4294967295
	s_addc_u32 s35, s35, (.LBB4_6302-.Lpost_getpc51)>>32
	s_setpc_b64 s[34:35]
.LBB4_49:
	v_cmp_ne_u64_e64 s1, 0, v[4:5]
                                        ; implicit-def: $vgpr38_vgpr39
	s_mov_b32 s2, exec_lo
	v_cmpx_ne_u32_e64 v14, v10
	s_xor_b32 s16, exec_lo, s2
	s_cbranch_execz .LBB4_3181
; %bb.50:
	v_mov_b32_e32 v38, 0
	v_mov_b32_e32 v39, 0
	s_and_saveexec_b32 s17, s1
	s_cbranch_execz .LBB4_3180
; %bb.51:
	v_cmp_ge_i32_e64 s2, v0, v1
	s_cbranch_execz .LBB4_52
; %bb.6825:
	s_getpc_b64 s[34:35]
.Lpost_getpc52:
	s_add_u32 s34, s34, (.LBB4_6546-.Lpost_getpc52)&4294967295
	s_addc_u32 s35, s35, (.LBB4_6546-.Lpost_getpc52)>>32
	s_setpc_b64 s[34:35]
.LBB4_52:
	v_ashrrev_i32_e32 v10, 31, v0
	v_lshrrev_b32_e32 v83, 5, v1
	v_and_b32_e32 v11, 31, v31
	s_ashr_i32 s5, s14, 31
	v_and_b32_e32 v99, 0xffffffe0, v1
	v_lshrrev_b32_e32 v10, 27, v10
	s_lshr_b32 s5, s5, 24
	v_cmp_eq_u32_e32 vcc_lo, 32, v1
	s_add_i32 s11, s14, s5
	v_cmp_eq_u32_e64 s5, 0, v11
	v_dual_mov_b32 v53, 0 :: v_dual_add_nc_u32 v10, v0, v10
	s_waitcnt lgkmcnt(1)
	v_ashrrev_i32_e32 v82, 31, v81
	v_cmp_ne_u32_e64 s3, 32, v1
	v_cmp_ne_u32_e64 s4, v80, v1
	v_and_b32_e32 v12, 0xffffffe0, v10
	v_ashrrev_i32_e32 v84, 5, v10
	v_lshl_add_u32 v10, v83, 10, 0xfffffc00
	v_ashrrev_i32_e32 v102, 31, v99
	s_ashr_i32 s19, s11, 8
	v_sub_nc_u32_e32 v86, v0, v12
	v_dual_mov_b32 v103, 1 :: v_dual_lshlrev_b32 v12, 10, v84
	v_ashrrev_i32_e32 v11, 31, v10
	v_add_co_u32 v96, s6, 0x400, v10
	s_delay_alu instid0(VALU_DEP_4) | instskip(NEXT) | instid1(VALU_DEP_4)
	v_cmp_lt_i32_e64 s7, v86, v54
	v_lshl_add_u32 v87, v86, 4, v12
	s_delay_alu instid0(VALU_DEP_4) | instskip(SKIP_3) | instid1(VALU_DEP_2)
	v_add_co_ci_u32_e64 v97, s6, 0, v11, s6
	v_cmp_le_i32_e64 s6, v86, v54
	v_mov_b32_e32 v54, 0
	v_mov_b32_e32 v55, 0
	v_dual_mov_b32 v38, v54 :: v_dual_lshlrev_b32 v85, 9, v83
	v_ashrrev_i32_e32 v98, 31, v87
	s_mov_b32 s18, 0
	s_delay_alu instid0(VALU_DEP_3) | instskip(NEXT) | instid1(VALU_DEP_3)
	v_mov_b32_e32 v39, v55
	v_add_nc_u32_e32 v13, 0xfffffe00, v85
	s_xor_b32 s20, vcc_lo, -1
	s_delay_alu instid0(VALU_DEP_1) | instskip(SKIP_1) | instid1(VALU_DEP_1)
	v_ashrrev_i32_e32 v10, 31, v13
	v_add_co_u32 v100, s10, 0x200, v13
	v_add_co_ci_u32_e64 v101, s10, 0, v10, s10
	v_cmp_eq_u64_e64 s10, 0, v[50:51]
.LBB4_53:                               ; =>This Loop Header: Depth=1
                                        ;     Child Loop BB4_63 Depth 2
                                        ;     Child Loop BB4_93 Depth 2
	;; [unrolled: 1-line block ×10, first 2 shown]
	v_sub_co_u32 v10, vcc_lo, v4, v54
	v_sub_co_ci_u32_e32 v11, vcc_lo, v5, v55, vcc_lo
	v_mov_b32_e32 v12, 0
	s_delay_alu instid0(VALU_DEP_2) | instskip(SKIP_2) | instid1(VALU_DEP_2)
	v_cmp_lt_u64_e32 vcc_lo, v[48:49], v[10:11]
	v_cndmask_b32_e32 v64, v10, v48, vcc_lo
	v_cndmask_b32_e64 v65, v11, 0, vcc_lo
	v_add_nc_u32_e32 v10, 15, v64
	s_delay_alu instid0(VALU_DEP_2) | instskip(NEXT) | instid1(VALU_DEP_2)
	v_cmp_eq_u64_e32 vcc_lo, 0, v[64:65]
	v_and_b32_e32 v10, 0x7ffffff0, v10
	s_or_b32 s21, s2, vcc_lo
	s_delay_alu instid0(SALU_CYCLE_1) | instskip(NEXT) | instid1(VALU_DEP_1)
	s_xor_b32 s11, s21, -1
	v_max_i32_e32 v65, s19, v10
	s_and_saveexec_b32 s22, s11
	s_cbranch_execz .LBB4_3118
; %bb.54:                               ;   in Loop: Header=BB4_53 Depth=1
	s_and_saveexec_b32 s11, s0
	s_cbranch_execz .LBB4_57
; %bb.55:                               ;   in Loop: Header=BB4_53 Depth=1
	s_cbranch_execz .LBB4_56
; %bb.6827:
	s_getpc_b64 s[34:35]
.Lpost_getpc53:
	s_add_u32 s34, s34, (.LBB4_6574-.Lpost_getpc53)&4294967295
	s_addc_u32 s35, s35, (.LBB4_6574-.Lpost_getpc53)>>32
	s_setpc_b64 s[34:35]
.LBB4_56:                               ;   in Loop: Header=BB4_53 Depth=1
	ds_load_b64 v[10:11], v0
	v_mov_b32_e32 v52, v53
	s_waitcnt lgkmcnt(0)
	v_add_co_u32 v10, vcc_lo, v10, v26
	v_add_co_ci_u32_e32 v11, vcc_lo, v11, v27, vcc_lo
	s_delay_alu instid0(VALU_DEP_2) | instskip(NEXT) | instid1(VALU_DEP_2)
	v_add_co_u32 v10, vcc_lo, v10, v54
	v_add_co_ci_u32_e32 v11, vcc_lo, v11, v55, vcc_lo
	ds_store_b64 v0, v[10:11]
	ds_store_b64 v0, v[52:53]
.LBB4_57:                               ;   in Loop: Header=BB4_53 Depth=1
	s_or_b32 exec_lo, exec_lo, s11
	v_and_b32_e32 v10, 12, v30
	s_mov_b32 s12, -1
	s_mov_b32 s11, exec_lo
	s_delay_alu instid0(VALU_DEP_1)
	v_cmpx_ne_u32_e32 0, v10
	s_cbranch_execz .LBB4_71
; %bb.58:                               ;   in Loop: Header=BB4_53 Depth=1
	v_and_b32_e32 v12, 8, v30
	s_delay_alu instid0(VALU_DEP_1) | instskip(SKIP_4) | instid1(VALU_DEP_1)
	v_add_co_u32 v13, vcc_lo, v36, v12
	v_add_co_ci_u32_e32 v14, vcc_lo, 0, v37, vcc_lo
	s_waitcnt lgkmcnt(0)
	v_add_co_u32 v10, vcc_lo, v8, 1
	v_add_co_ci_u32_e32 v11, vcc_lo, 0, v9, vcc_lo
	v_cmp_lt_u64_e32 vcc_lo, v[13:14], v[10:11]
	v_mov_b32_e32 v13, 1
	s_and_saveexec_b32 s12, vcc_lo
	s_cbranch_execz .LBB4_70
; %bb.59:                               ;   in Loop: Header=BB4_53 Depth=1
	v_mov_b32_e32 v13, 0
	s_mov_b32 s23, 0
                                        ; implicit-def: $sgpr24
	s_branch .LBB4_63
.LBB4_60:                               ;   in Loop: Header=BB4_63 Depth=2
	s_or_b32 exec_lo, exec_lo, s28
	v_mov_b32_e32 v14, 0
	s_or_not1_b32 s27, s27, exec_lo
.LBB4_61:                               ;   in Loop: Header=BB4_63 Depth=2
	s_or_b32 exec_lo, exec_lo, s26
	s_delay_alu instid0(VALU_DEP_1) | instskip(SKIP_2) | instid1(SALU_CYCLE_1)
	v_mov_b32_e32 v13, v14
	s_and_not1_b32 s24, s24, exec_lo
	s_and_b32 s26, s27, exec_lo
	s_or_b32 s24, s24, s26
.LBB4_62:                               ;   in Loop: Header=BB4_63 Depth=2
	s_or_b32 exec_lo, exec_lo, s25
	s_waitcnt vmcnt(0) lgkmcnt(0)
	v_add_co_u32 v14, vcc_lo, v36, v12
	v_add_co_ci_u32_e32 v15, vcc_lo, 0, v37, vcc_lo
	s_xor_b32 s25, s24, -1
	s_delay_alu instid0(VALU_DEP_1) | instskip(SKIP_1) | instid1(SALU_CYCLE_1)
	v_cmp_ge_u64_e32 vcc_lo, v[14:15], v[10:11]
	s_or_b32 s25, s25, vcc_lo
	s_and_b32 s25, exec_lo, s25
	s_delay_alu instid0(SALU_CYCLE_1) | instskip(NEXT) | instid1(SALU_CYCLE_1)
	s_or_b32 s23, s25, s23
	s_and_not1_b32 exec_lo, exec_lo, s23
	s_cbranch_execz .LBB4_69
.LBB4_63:                               ;   Parent Loop BB4_53 Depth=1
                                        ; =>  This Inner Loop Header: Depth=2
	s_sleep 1
	flat_load_b64 v[36:37], v[32:33] glc
	v_and_b32_e32 v14, 64, v30
	s_and_not1_b32 s24, s24, exec_lo
	s_mov_b32 s25, exec_lo
	s_delay_alu instid0(VALU_DEP_1)
	v_cmpx_eq_u32_e32 0, v14
	s_cbranch_execz .LBB4_62
; %bb.64:                               ;   in Loop: Header=BB4_63 Depth=2
	v_add_nc_u32_e32 v14, 1, v13
	s_mov_b32 s27, -1
	s_mov_b32 s26, exec_lo
	v_cmpx_lt_i32_e32 0x270e, v13
	s_cbranch_execz .LBB4_61
; %bb.65:                               ;   in Loop: Header=BB4_63 Depth=2
	s_cbranch_execz .LBB4_66
; %bb.6829:
	s_getpc_b64 s[34:35]
.Lpost_getpc54:
	s_add_u32 s34, s34, (.LBB4_6596-.Lpost_getpc54)&4294967295
	s_addc_u32 s35, s35, (.LBB4_6596-.Lpost_getpc54)>>32
	s_setpc_b64 s[34:35]
.LBB4_66:                               ;   in Loop: Header=BB4_63 Depth=2
	ds_load_b64 v[13:14], v0
	s_mov_b32 s28, exec_lo
	s_waitcnt vmcnt(0) lgkmcnt(0)
	s_waitcnt_vscnt null, 0x0
	flat_load_b32 v13, v[13:14] glc
	s_waitcnt vmcnt(0) lgkmcnt(0)
	buffer_gl1_inv
	buffer_gl0_inv
	v_cmpx_ne_u32_e32 0, v13
	s_cbranch_execz .LBB4_60
; %bb.67:                               ;   in Loop: Header=BB4_63 Depth=2
	ds_store_b32 v0, v13
	s_cbranch_execz .LBB4_68
; %bb.6831:
	s_getpc_b64 s[34:35]
.Lpost_getpc55:
	s_add_u32 s34, s34, (.LBB4_6629-.Lpost_getpc55)&4294967295
	s_addc_u32 s35, s35, (.LBB4_6629-.Lpost_getpc55)>>32
	s_setpc_b64 s[34:35]
.LBB4_68:                               ;   in Loop: Header=BB4_63 Depth=2
	v_or_b32_e32 v30, 64, v30
	s_xor_b32 s27, exec_lo, -1
	s_branch .LBB4_60
.LBB4_69:                               ;   in Loop: Header=BB4_53 Depth=1
	s_or_b32 exec_lo, exec_lo, s23
	v_and_b32_e32 v13, 12, v30
.LBB4_70:                               ;   in Loop: Header=BB4_53 Depth=1
	s_or_b32 exec_lo, exec_lo, s12
	s_delay_alu instid0(VALU_DEP_1)
	v_cmp_eq_u32_e32 vcc_lo, 0, v13
	;;#ASMSTART
	s_wakeup
	;;#ASMEND
	s_or_not1_b32 s12, vcc_lo, exec_lo
.LBB4_71:                               ;   in Loop: Header=BB4_53 Depth=1
	s_or_b32 exec_lo, exec_lo, s11
	v_min_u32_e32 v65, v65, v64
	s_xor_b32 s11, s12, -1
	s_delay_alu instid0(SALU_CYCLE_1)
	s_and_saveexec_b32 s12, s11
	s_cbranch_execz .LBB4_84
; %bb.72:                               ;   in Loop: Header=BB4_53 Depth=1
	v_and_b32_e32 v10, 0x108, v30
	s_waitcnt lgkmcnt(0)
	v_and_b32_e32 v14, 7, v8
	s_mov_b32 s11, exec_lo
	s_delay_alu instid0(VALU_DEP_2) | instskip(SKIP_1) | instid1(SALU_CYCLE_1)
	v_cmpx_ne_u32_e32 0x108, v10
	s_xor_b32 s11, exec_lo, s11
	s_and_not1_saveexec_b32 s11, s11
	s_cbranch_execz .LBB4_74
; %bb.73:                               ;   in Loop: Header=BB4_53 Depth=1
	v_mad_u64_u32 v[10:11], null, v14, 24, v[6:7]
	v_mov_b32_e32 v66, v53
	flat_store_b64 v[10:11], v[65:66] offset:8
.LBB4_74:                               ;   in Loop: Header=BB4_53 Depth=1
	s_or_b32 exec_lo, exec_lo, s11
	v_and_b32_e32 v10, 0x100, v30
	s_mov_b32 s11, -1
	s_delay_alu instid0(VALU_DEP_1)
	v_cmp_ne_u32_e32 vcc_lo, 0, v10
                                        ; implicit-def: $vgpr10_vgpr11
	s_and_saveexec_b32 s23, vcc_lo
	s_cbranch_execnz .LBB4_77
; %bb.75:                               ;   in Loop: Header=BB4_53 Depth=1
	s_or_b32 exec_lo, exec_lo, s23
	s_and_saveexec_b32 s23, s11
	s_cbranch_execnz .LBB4_80
.LBB4_76:                               ;   in Loop: Header=BB4_53 Depth=1
	s_or_b32 exec_lo, exec_lo, s23
	s_cbranch_execz .LBB4_81
; %bb.6833:
	s_getpc_b64 s[34:35]
.Lpost_getpc56:
	s_add_u32 s34, s34, (.LBB4_6590-.Lpost_getpc56)&4294967295
	s_addc_u32 s35, s35, (.LBB4_6590-.Lpost_getpc56)>>32
	s_setpc_b64 s[34:35]
.LBB4_77:                               ;   in Loop: Header=BB4_53 Depth=1
	v_mad_u64_u32 v[12:13], null, v14, 24, v[6:7]
	s_delay_alu instid0(VALU_DEP_1) | instskip(NEXT) | instid1(VALU_DEP_1)
	v_mov_b32_e32 v10, v13
	v_mad_u64_u32 v[15:16], null, v53, 24, v[10:11]
	s_delay_alu instid0(VALU_DEP_1) | instskip(SKIP_4) | instid1(VALU_DEP_1)
	v_mov_b32_e32 v13, v15
	flat_load_b32 v10, v[12:13]
	s_waitcnt vmcnt(0) lgkmcnt(0)
	v_cmp_ne_u32_e32 vcc_lo, 1, v10
	v_cmp_eq_u32_e64 s11, 1, v10
                                        ; implicit-def: $vgpr10_vgpr11
	s_and_saveexec_b32 s24, s11
	s_cbranch_execz .LBB4_79
; %bb.78:                               ;   in Loop: Header=BB4_53 Depth=1
	flat_load_b32 v10, v[12:13] offset:4 glc
	s_waitcnt vmcnt(0) lgkmcnt(0)
	v_ashrrev_i32_e32 v11, 31, v10
.LBB4_79:                               ;   in Loop: Header=BB4_53 Depth=1
	s_or_b32 exec_lo, exec_lo, s24
	s_delay_alu instid0(SALU_CYCLE_1)
	s_or_not1_b32 s11, vcc_lo, exec_lo
	s_or_b32 exec_lo, exec_lo, s23
	s_and_saveexec_b32 s23, s11
	s_cbranch_execz .LBB4_76
.LBB4_80:                               ;   in Loop: Header=BB4_53 Depth=1
	v_mul_lo_u32 v12, v53, v81
	v_mul_lo_u32 v13, v14, v82
	v_mad_u64_u32 v[10:11], null, v14, v81, 0
	s_delay_alu instid0(VALU_DEP_1)
	v_add3_u32 v11, v11, v13, v12
	s_or_b32 exec_lo, exec_lo, s23
	s_cbranch_execz .LBB4_81
; %bb.6835:
	s_getpc_b64 s[34:35]
.Lpost_getpc57:
	s_add_u32 s34, s34, (.LBB4_6590-.Lpost_getpc57)&4294967295
	s_addc_u32 s35, s35, (.LBB4_6590-.Lpost_getpc57)>>32
	s_setpc_b64 s[34:35]
.LBB4_81:                               ;   in Loop: Header=BB4_53 Depth=1
	s_delay_alu instid0(VALU_DEP_2)
	v_add_co_u32 v10, vcc_lo, v34, v10
	v_and_b32_e32 v12, 0x2000, v30
	v_add_co_ci_u32_e32 v11, vcc_lo, v35, v11, vcc_lo
	s_mov_b32 s11, exec_lo
	ds_store_b64 v0, v[10:11]
	v_cmpx_ne_u32_e32 0, v12
	s_cbranch_execz .LBB4_83
; %bb.82:                               ;   in Loop: Header=BB4_53 Depth=1
	ds_load_b64 v[10:11], v0 offset:584
	s_waitcnt lgkmcnt(0)
	v_add_co_u32 v10, vcc_lo, v10, 1
	v_add_co_ci_u32_e32 v11, vcc_lo, 0, v11, vcc_lo
	ds_store_b64 v0, v[10:11] offset:584
.LBB4_83:                               ;   in Loop: Header=BB4_53 Depth=1
	s_or_b32 exec_lo, exec_lo, s11
	v_add_co_u32 v8, vcc_lo, v8, 1
	v_add_co_ci_u32_e32 v9, vcc_lo, 0, v9, vcc_lo
.LBB4_84:                               ;   in Loop: Header=BB4_53 Depth=1
	s_or_b32 exec_lo, exec_lo, s12
	s_and_saveexec_b32 s11, s3
	s_cbranch_execz .LBB4_106
; %bb.85:                               ;   in Loop: Header=BB4_53 Depth=1
	s_and_saveexec_b32 s12, s4
	s_delay_alu instid0(SALU_CYCLE_1)
	s_xor_b32 s12, exec_lo, s12
	s_cbranch_execz .LBB4_103
; %bb.86:                               ;   in Loop: Header=BB4_53 Depth=1
	s_and_saveexec_b32 s23, s5
	s_cbranch_execz .LBB4_102
; %bb.87:                               ;   in Loop: Header=BB4_53 Depth=1
	s_mov_b32 s25, exec_lo
	s_mov_b32 s24, exec_lo
	v_mbcnt_lo_u32_b32 v10, s25, 0
	s_waitcnt vmcnt(0) lgkmcnt(0)
	s_waitcnt_vscnt null, 0x0
	buffer_gl1_inv
	buffer_gl0_inv
	v_cmpx_eq_u32_e32 0, v10
	s_cbranch_execz .LBB4_89
; %bb.88:                               ;   in Loop: Header=BB4_53 Depth=1
	s_bcnt1_i32_b32 s25, s25
	s_delay_alu instid0(SALU_CYCLE_1)
	v_mov_b32_e32 v52, s25
	ds_add_u64 v0, v[52:53]
	s_cbranch_execz .LBB4_89
; %bb.6837:
	s_getpc_b64 s[34:35]
.Lpost_getpc58:
	s_add_u32 s34, s34, (.LBB4_6659-.Lpost_getpc58)&4294967295
	s_addc_u32 s35, s35, (.LBB4_6659-.Lpost_getpc58)>>32
	s_setpc_b64 s[34:35]
.LBB4_89:                               ;   in Loop: Header=BB4_53 Depth=1
	s_or_b32 exec_lo, exec_lo, s24
	s_cbranch_execz .LBB4_90
; %bb.6839:
	s_getpc_b64 s[34:35]
.Lpost_getpc59:
	s_add_u32 s34, s34, (.LBB4_6647-.Lpost_getpc59)&4294967295
	s_addc_u32 s35, s35, (.LBB4_6647-.Lpost_getpc59)>>32
	s_setpc_b64 s[34:35]
.LBB4_90:                               ;   in Loop: Header=BB4_53 Depth=1
	ds_load_b64 v[10:11], v0
	v_add_co_u32 v38, vcc_lo, v38, v83
	v_add_co_ci_u32_e32 v39, vcc_lo, 0, v39, vcc_lo
	s_mov_b32 s24, exec_lo
	s_waitcnt lgkmcnt(0)
	s_delay_alu instid0(VALU_DEP_1)
	v_cmpx_lt_u64_e64 v[10:11], v[38:39]
	s_cbranch_execz .LBB4_101
; %bb.91:                               ;   in Loop: Header=BB4_53 Depth=1
	s_mov_b32 s25, 0
	s_mov_b32 s28, 0
                                        ; implicit-def: $sgpr26
                                        ; implicit-def: $sgpr27
	s_branch .LBB4_93
.LBB4_92:                               ;   in Loop: Header=BB4_93 Depth=2
	s_or_b32 exec_lo, exec_lo, vcc_hi
	s_delay_alu instid0(SALU_CYCLE_1) | instskip(NEXT) | instid1(SALU_CYCLE_1)
	s_and_b32 s29, exec_lo, vcc_lo
	s_or_b32 s25, s29, s25
	s_and_not1_b32 s26, s26, exec_lo
	s_and_b32 s29, s27, exec_lo
	s_delay_alu instid0(SALU_CYCLE_1)
	s_or_b32 s26, s26, s29
	s_and_not1_b32 exec_lo, exec_lo, s25
	s_cbranch_execz .LBB4_99
.LBB4_93:                               ;   Parent Loop BB4_53 Depth=1
                                        ; =>  This Inner Loop Header: Depth=2
	s_add_i32 s28, s28, 1
                                        ; implicit-def: $vcc_hi
	s_delay_alu instid0(SALU_CYCLE_1) | instskip(SKIP_1) | instid1(SALU_CYCLE_1)
	s_cmpk_lg_i32 s28, 0x2710
	s_cselect_b32 s29, -1, 0
	s_and_b32 vcc_lo, exec_lo, s29
	s_cbranch_vccz .LBB4_97
.LBB4_94:                               ;   in Loop: Header=BB4_93 Depth=2
	s_and_not1_b32 s27, s27, exec_lo
	s_and_b32 vcc_hi, vcc_hi, exec_lo
	s_mov_b32 vcc_lo, -1
	s_or_b32 s27, s27, vcc_hi
	s_and_saveexec_b32 vcc_hi, s29
	s_cbranch_execz .LBB4_92
; %bb.95:                               ;   in Loop: Header=BB4_93 Depth=2
	s_sleep 1
	s_cbranch_execz .LBB4_96
; %bb.6841:
	s_getpc_b64 s[34:35]
.Lpost_getpc60:
	s_add_u32 s34, s34, (.LBB4_6691-.Lpost_getpc60)&4294967295
	s_addc_u32 s35, s35, (.LBB4_6691-.Lpost_getpc60)>>32
	s_setpc_b64 s[34:35]
.LBB4_96:                               ;   in Loop: Header=BB4_93 Depth=2
	ds_load_b64 v[10:11], v0
	s_and_not1_b32 s27, s27, exec_lo
	s_waitcnt lgkmcnt(0)
	v_cmp_ge_u64_e32 vcc_lo, v[10:11], v[38:39]
	s_or_not1_b32 vcc_lo, vcc_lo, exec_lo
	s_branch .LBB4_92
.LBB4_97:                               ;   in Loop: Header=BB4_93 Depth=2
	s_cbranch_execz .LBB4_98
; %bb.6843:
	s_getpc_b64 s[34:35]
.Lpost_getpc61:
	s_add_u32 s34, s34, (.LBB4_6699-.Lpost_getpc61)&4294967295
	s_addc_u32 s35, s35, (.LBB4_6699-.Lpost_getpc61)>>32
	s_setpc_b64 s[34:35]
.LBB4_98:                               ;   in Loop: Header=BB4_93 Depth=2
	ds_load_b64 v[10:11], v0
	s_and_not1_b32 s29, s29, exec_lo
	s_mov_b32 s28, 0
	s_waitcnt lgkmcnt(0)
	flat_load_b32 v10, v[10:11] glc
	s_waitcnt vmcnt(0) lgkmcnt(0)
	buffer_gl1_inv
	buffer_gl0_inv
	v_cmp_eq_u32_e32 vcc_lo, 0, v10
	s_mov_b32 vcc_hi, -1
	s_and_b32 vcc_lo, vcc_lo, exec_lo
	s_delay_alu instid0(SALU_CYCLE_1)
	s_or_b32 s29, s29, vcc_lo
	s_branch .LBB4_94
.LBB4_99:                               ;   in Loop: Header=BB4_53 Depth=1
	s_or_b32 exec_lo, exec_lo, s25
	s_and_saveexec_b32 s25, s26
	s_delay_alu instid0(SALU_CYCLE_1)
	s_xor_b32 s25, exec_lo, s25
	s_cbranch_execz .LBB4_101
; %bb.100:                              ;   in Loop: Header=BB4_53 Depth=1
	ds_store_b32 v0, v103
	s_cbranch_execz .LBB4_101
; %bb.6845:
	s_getpc_b64 s[34:35]
.Lpost_getpc62:
	s_add_u32 s34, s34, (.LBB4_6777-.Lpost_getpc62)&4294967295
	s_addc_u32 s35, s35, (.LBB4_6777-.Lpost_getpc62)>>32
	s_setpc_b64 s[34:35]
.LBB4_101:                              ;   in Loop: Header=BB4_53 Depth=1
	s_or_b32 exec_lo, exec_lo, s24
	;;#ASMSTART
	s_wakeup
	;;#ASMEND
.LBB4_102:                              ;   in Loop: Header=BB4_53 Depth=1
	s_or_b32 exec_lo, exec_lo, s23
.LBB4_103:                              ;   in Loop: Header=BB4_53 Depth=1
	s_and_not1_saveexec_b32 s12, s12
	s_cbranch_execz .LBB4_105
; %bb.104:                              ;   in Loop: Header=BB4_53 Depth=1
	s_waitcnt vmcnt(0) lgkmcnt(0)
	s_waitcnt_vscnt null, 0x0
	buffer_gl1_inv
	buffer_gl0_inv
	s_barrier
.LBB4_105:                              ;   in Loop: Header=BB4_53 Depth=1
	s_or_b32 exec_lo, exec_lo, s12
.LBB4_106:                              ;   in Loop: Header=BB4_53 Depth=1
	s_delay_alu instid0(SALU_CYCLE_1)
	s_or_b32 exec_lo, exec_lo, s11
	s_cbranch_execz .LBB4_107
; %bb.6847:
	s_getpc_b64 s[34:35]
.Lpost_getpc63:
	s_add_u32 s34, s34, (.LBB4_6580-.Lpost_getpc63)&4294967295
	s_addc_u32 s35, s35, (.LBB4_6580-.Lpost_getpc63)>>32
	s_setpc_b64 s[34:35]
.LBB4_107:                              ;   in Loop: Header=BB4_53 Depth=1
	ds_load_b32 v10, v0
	v_and_b32_e32 v11, 0x4000, v30
	s_delay_alu instid0(VALU_DEP_1) | instskip(SKIP_1) | instid1(SALU_CYCLE_1)
	v_cmp_ne_u32_e32 vcc_lo, 0, v11
	s_and_b32 s12, s20, vcc_lo
	s_and_saveexec_b32 s11, s12
	s_cbranch_execz .LBB4_129
; %bb.108:                              ;   in Loop: Header=BB4_53 Depth=1
	s_and_saveexec_b32 s12, s4
	s_delay_alu instid0(SALU_CYCLE_1)
	s_xor_b32 s12, exec_lo, s12
	s_cbranch_execz .LBB4_126
; %bb.109:                              ;   in Loop: Header=BB4_53 Depth=1
	s_and_saveexec_b32 s23, s5
	s_cbranch_execz .LBB4_125
; %bb.110:                              ;   in Loop: Header=BB4_53 Depth=1
	s_mov_b32 s25, exec_lo
	s_mov_b32 s24, exec_lo
	v_mbcnt_lo_u32_b32 v11, s25, 0
	s_waitcnt vmcnt(0) lgkmcnt(0)
	s_waitcnt_vscnt null, 0x0
	buffer_gl1_inv
	buffer_gl0_inv
	v_cmpx_eq_u32_e32 0, v11
	s_cbranch_execz .LBB4_112
; %bb.111:                              ;   in Loop: Header=BB4_53 Depth=1
	s_bcnt1_i32_b32 s25, s25
	s_delay_alu instid0(SALU_CYCLE_1)
	v_mov_b32_e32 v52, s25
	ds_add_u64 v0, v[52:53]
	s_cbranch_execz .LBB4_112
; %bb.6849:
	s_getpc_b64 s[34:35]
.Lpost_getpc64:
	s_add_u32 s34, s34, (.LBB4_6687-.Lpost_getpc64)&4294967295
	s_addc_u32 s35, s35, (.LBB4_6687-.Lpost_getpc64)>>32
	s_setpc_b64 s[34:35]
.LBB4_112:                              ;   in Loop: Header=BB4_53 Depth=1
	s_or_b32 exec_lo, exec_lo, s24
	s_cbranch_execz .LBB4_113
; %bb.6851:
	s_getpc_b64 s[34:35]
.Lpost_getpc65:
	s_add_u32 s34, s34, (.LBB4_6675-.Lpost_getpc65)&4294967295
	s_addc_u32 s35, s35, (.LBB4_6675-.Lpost_getpc65)>>32
	s_setpc_b64 s[34:35]
.LBB4_113:                              ;   in Loop: Header=BB4_53 Depth=1
	ds_load_b64 v[11:12], v0
	v_add_co_u32 v38, vcc_lo, v38, v83
	v_add_co_ci_u32_e32 v39, vcc_lo, 0, v39, vcc_lo
	s_mov_b32 s24, exec_lo
	s_waitcnt lgkmcnt(0)
	s_delay_alu instid0(VALU_DEP_1)
	v_cmpx_lt_u64_e64 v[11:12], v[38:39]
	s_cbranch_execz .LBB4_124
; %bb.114:                              ;   in Loop: Header=BB4_53 Depth=1
	s_mov_b32 s25, 0
	s_mov_b32 s28, 0
                                        ; implicit-def: $sgpr26
                                        ; implicit-def: $sgpr27
	s_branch .LBB4_116
.LBB4_115:                              ;   in Loop: Header=BB4_116 Depth=2
	s_or_b32 exec_lo, exec_lo, vcc_hi
	s_delay_alu instid0(SALU_CYCLE_1) | instskip(NEXT) | instid1(SALU_CYCLE_1)
	s_and_b32 s29, exec_lo, vcc_lo
	s_or_b32 s25, s29, s25
	s_and_not1_b32 s26, s26, exec_lo
	s_and_b32 s29, s27, exec_lo
	s_delay_alu instid0(SALU_CYCLE_1)
	s_or_b32 s26, s26, s29
	s_and_not1_b32 exec_lo, exec_lo, s25
	s_cbranch_execz .LBB4_122
.LBB4_116:                              ;   Parent Loop BB4_53 Depth=1
                                        ; =>  This Inner Loop Header: Depth=2
	s_add_i32 s28, s28, 1
                                        ; implicit-def: $vcc_hi
	s_delay_alu instid0(SALU_CYCLE_1) | instskip(SKIP_1) | instid1(SALU_CYCLE_1)
	s_cmpk_lg_i32 s28, 0x2710
	s_cselect_b32 s29, -1, 0
	s_and_b32 vcc_lo, exec_lo, s29
	s_cbranch_vccz .LBB4_120
.LBB4_117:                              ;   in Loop: Header=BB4_116 Depth=2
	s_and_not1_b32 s27, s27, exec_lo
	s_and_b32 vcc_hi, vcc_hi, exec_lo
	s_mov_b32 vcc_lo, -1
	s_or_b32 s27, s27, vcc_hi
	s_and_saveexec_b32 vcc_hi, s29
	s_cbranch_execz .LBB4_115
; %bb.118:                              ;   in Loop: Header=BB4_116 Depth=2
	s_sleep 1
	s_cbranch_execz .LBB4_119
; %bb.6853:
	s_getpc_b64 s[34:35]
.Lpost_getpc66:
	s_add_u32 s34, s34, (.LBB4_6733-.Lpost_getpc66)&4294967295
	s_addc_u32 s35, s35, (.LBB4_6733-.Lpost_getpc66)>>32
	s_setpc_b64 s[34:35]
.LBB4_119:                              ;   in Loop: Header=BB4_116 Depth=2
	ds_load_b64 v[11:12], v0
	s_and_not1_b32 s27, s27, exec_lo
	s_waitcnt lgkmcnt(0)
	v_cmp_ge_u64_e32 vcc_lo, v[11:12], v[38:39]
	s_or_not1_b32 vcc_lo, vcc_lo, exec_lo
	s_branch .LBB4_115
.LBB4_120:                              ;   in Loop: Header=BB4_116 Depth=2
	s_cbranch_execz .LBB4_121
; %bb.6855:
	s_getpc_b64 s[34:35]
.Lpost_getpc67:
	s_add_u32 s34, s34, (.LBB4_6747-.Lpost_getpc67)&4294967295
	s_addc_u32 s35, s35, (.LBB4_6747-.Lpost_getpc67)>>32
	s_setpc_b64 s[34:35]
.LBB4_121:                              ;   in Loop: Header=BB4_116 Depth=2
	ds_load_b64 v[11:12], v0
	s_and_not1_b32 s29, s29, exec_lo
	s_mov_b32 s28, 0
	s_waitcnt lgkmcnt(0)
	flat_load_b32 v11, v[11:12] glc
	s_waitcnt vmcnt(0) lgkmcnt(0)
	buffer_gl1_inv
	buffer_gl0_inv
	v_cmp_eq_u32_e32 vcc_lo, 0, v11
	s_mov_b32 vcc_hi, -1
	s_and_b32 vcc_lo, vcc_lo, exec_lo
	s_delay_alu instid0(SALU_CYCLE_1)
	s_or_b32 s29, s29, vcc_lo
	s_branch .LBB4_117
.LBB4_122:                              ;   in Loop: Header=BB4_53 Depth=1
	s_or_b32 exec_lo, exec_lo, s25
	s_and_saveexec_b32 s25, s26
	s_delay_alu instid0(SALU_CYCLE_1)
	s_xor_b32 s25, exec_lo, s25
	s_cbranch_execz .LBB4_124
; %bb.123:                              ;   in Loop: Header=BB4_53 Depth=1
	ds_store_b32 v0, v103
	s_cbranch_execz .LBB4_124
; %bb.6857:
	s_getpc_b64 s[34:35]
.Lpost_getpc68:
	s_add_u32 s34, s34, (.LBB4_6787-.Lpost_getpc68)&4294967295
	s_addc_u32 s35, s35, (.LBB4_6787-.Lpost_getpc68)>>32
	s_setpc_b64 s[34:35]
.LBB4_124:                              ;   in Loop: Header=BB4_53 Depth=1
	s_or_b32 exec_lo, exec_lo, s24
	;;#ASMSTART
	s_wakeup
	;;#ASMEND
.LBB4_125:                              ;   in Loop: Header=BB4_53 Depth=1
	s_or_b32 exec_lo, exec_lo, s23
.LBB4_126:                              ;   in Loop: Header=BB4_53 Depth=1
	s_and_not1_saveexec_b32 s12, s12
	s_cbranch_execz .LBB4_128
; %bb.127:                              ;   in Loop: Header=BB4_53 Depth=1
	s_waitcnt vmcnt(0) lgkmcnt(0)
	s_waitcnt_vscnt null, 0x0
	buffer_gl1_inv
	buffer_gl0_inv
	s_barrier
.LBB4_128:                              ;   in Loop: Header=BB4_53 Depth=1
	s_or_b32 exec_lo, exec_lo, s12
.LBB4_129:                              ;   in Loop: Header=BB4_53 Depth=1
	s_delay_alu instid0(SALU_CYCLE_1)
	s_or_b32 exec_lo, exec_lo, s11
	s_cbranch_execz .LBB4_130
; %bb.6859:
	s_getpc_b64 s[34:35]
.Lpost_getpc69:
	s_add_u32 s34, s34, (.LBB4_6615-.Lpost_getpc69)&4294967295
	s_addc_u32 s35, s35, (.LBB4_6615-.Lpost_getpc69)>>32
	s_setpc_b64 s[34:35]
.LBB4_130:                              ;   in Loop: Header=BB4_53 Depth=1
	ds_load_b64 v[11:12], v0
	s_waitcnt lgkmcnt(0)
	v_cmp_eq_u64_e32 vcc_lo, 0, v[11:12]
	s_or_b32 s11, vcc_lo, vcc_lo
	s_delay_alu instid0(SALU_CYCLE_1)
	s_and_b32 vcc_lo, exec_lo, s11
	s_mov_b32 s11, 0
	s_cbranch_vccnz .LBB4_3089
; %bb.131:                              ;   in Loop: Header=BB4_53 Depth=1
	s_cbranch_execz .LBB4_132
; %bb.6861:
	s_getpc_b64 s[34:35]
.Lpost_getpc70:
	s_add_u32 s34, s34, (.LBB4_6641-.Lpost_getpc70)&4294967295
	s_addc_u32 s35, s35, (.LBB4_6641-.Lpost_getpc70)>>32
	s_setpc_b64 s[34:35]
.LBB4_132:                              ;   in Loop: Header=BB4_53 Depth=1
	ds_load_b64 v[11:12], v0
	s_mov_b32 s11, -1
	s_waitcnt lgkmcnt(0)
	v_readfirstlane_b32 s23, v11
	s_and_saveexec_b32 s12, s6
	s_cbranch_execz .LBB4_134
; %bb.133:                              ;   in Loop: Header=BB4_53 Depth=1
	ds_load_b32 v11, v0 offset:720
	s_waitcnt lgkmcnt(0)
	v_and_b32_e32 v11, 15, v11
	s_delay_alu instid0(VALU_DEP_1)
	v_cmp_eq_u32_e32 vcc_lo, 0, v11
	s_or_not1_b32 s11, vcc_lo, exec_lo
.LBB4_134:                              ;   in Loop: Header=BB4_53 Depth=1
	s_or_b32 exec_lo, exec_lo, s12
	s_and_saveexec_b32 s12, s7
	s_cbranch_execz .LBB4_136
; %bb.135:                              ;   in Loop: Header=BB4_53 Depth=1
	ds_load_b32 v11, v0 offset:784
	s_waitcnt lgkmcnt(0)
	v_and_b32_e32 v11, 15, v11
	s_delay_alu instid0(VALU_DEP_1) | instskip(SKIP_3) | instid1(SALU_CYCLE_1)
	v_cmp_eq_u32_e32 vcc_lo, 0, v11
	s_and_b32 s24, s11, vcc_lo
	s_and_not1_b32 s11, s11, exec_lo
	s_and_b32 s24, s24, exec_lo
	s_or_b32 s11, s11, s24
.LBB4_136:                              ;   in Loop: Header=BB4_53 Depth=1
	s_or_b32 exec_lo, exec_lo, s12
	v_cmp_eq_u32_e32 vcc_lo, 0, v10
	s_xor_b32 s11, s11, -1
	v_mov_b32_e32 v18, v0
	v_cndmask_b32_e64 v11, 0, 1, s11
	;;#ASMSTART
	;;#ASMEND
	v_cndmask_b32_e32 v52, 0, v65, vcc_lo
	s_delay_alu instid0(VALU_DEP_2)
	v_cmp_ne_u32_e32 vcc_lo, 0, v11
	v_mov_b32_e32 v16, 0
	v_mov_b32_e32 v10, v84
	s_mov_b32 s11, -1
	v_mov_b32_e32 v17, v52
	s_cbranch_vccnz .LBB4_2312
; %bb.137:                              ;   in Loop: Header=BB4_53 Depth=1
	v_lshrrev_b32_e32 v10, 10, v52
	s_mov_b32 s12, exec_lo
	s_delay_alu instid0(VALU_DEP_1) | instskip(NEXT) | instid1(VALU_DEP_1)
	v_sub_nc_u32_e32 v112, v10, v84
	v_cmpx_lt_i32_e32 0, v112
	s_cbranch_execz .LBB4_1582
; %bb.138:                              ;   in Loop: Header=BB4_53 Depth=1
	s_cbranch_execz .LBB4_139
; %bb.6863:
	s_getpc_b64 s[34:35]
.Lpost_getpc71:
	s_add_u32 s34, s34, (.LBB4_6741-.Lpost_getpc71)&4294967295
	s_addc_u32 s35, s35, (.LBB4_6741-.Lpost_getpc71)>>32
	s_setpc_b64 s[34:35]
.LBB4_139:                              ;   in Loop: Header=BB4_53 Depth=1
	ds_load_b128 v[10:13], v0
	ds_load_b64 v[14:15], v0
	s_bitcmp1_b32 s23, 0
	s_mov_b32 s24, 0
	s_cselect_b32 s25, -1, 0
	s_waitcnt lgkmcnt(1)
	v_add_co_u32 v66, vcc_lo, v10, v87
	v_add_co_ci_u32_e32 v67, vcc_lo, v11, v98, vcc_lo
	v_add_co_u32 v68, vcc_lo, v12, v87
	v_add_co_ci_u32_e32 v69, vcc_lo, v13, v98, vcc_lo
	s_waitcnt lgkmcnt(0)
	v_add_co_u32 v70, vcc_lo, v14, v87
	v_add_co_ci_u32_e32 v71, vcc_lo, v15, v98, vcc_lo
	s_branch .LBB4_143
.LBB4_140:                              ;   in Loop: Header=BB4_143 Depth=2
	s_or_b32 exec_lo, exec_lo, s11
	s_delay_alu instid0(VALU_DEP_1) | instskip(NEXT) | instid1(VALU_DEP_2)
	v_lshrrev_b32_e32 v17, 20, v17
	v_cmp_gt_i32_e32 vcc_lo, 16, v13
	v_min_i32_e32 v146, 15, v13
	v_lshrrev_b32_e32 v147, 24, v148
	s_delay_alu instid0(VALU_DEP_2) | instskip(NEXT) | instid1(VALU_DEP_2)
	v_dual_cndmask_b32 v17, 7, v17 :: v_dual_lshlrev_b32 v146, 3, v146
	v_and_b32_e32 v147, 0x80, v147
	s_delay_alu instid0(VALU_DEP_2) | instskip(SKIP_1) | instid1(VALU_DEP_2)
	v_or_b32_e32 v13, v13, v17
	v_and_b32_e32 v148, 7, v17
	v_cmp_ne_u32_e32 vcc_lo, 0, v13
	v_and_b32_e32 v146, 0xf8, v146
	s_delay_alu instid0(VALU_DEP_1) | instskip(NEXT) | instid1(VALU_DEP_1)
	v_or3_b32 v146, v147, v146, v148
	v_lshlrev_b32_e32 v17, 8, v146
	s_delay_alu instid0(VALU_DEP_1)
	v_cndmask_b32_e32 v13, 0, v17, vcc_lo
.LBB4_141:                              ;   in Loop: Header=BB4_143 Depth=2
	s_or_b32 exec_lo, exec_lo, s27
.LBB4_142:                              ;   in Loop: Header=BB4_143 Depth=2
	s_delay_alu instid0(SALU_CYCLE_1)
	s_or_b32 exec_lo, exec_lo, s26
	v_lshlrev_b32_e32 v17, 8, v116
	v_lshlrev_b32_e32 v116, 24, v18
	;; [unrolled: 1-line block ×4, first 2 shown]
	v_or_b32_e32 v19, v19, v117
	v_perm_b32 v17, v17, v22, 0xc0c0500
	v_and_b32_e32 v22, 0xff, v119
	v_and_b32_e32 v115, 0xff, v115
	v_lshlrev_b32_e32 v20, 24, v20
	v_perm_b32 v23, v114, v23, 0xc0c0500
	v_perm_b32 v113, v18, v113, 0xc0c0500
	v_lshlrev_b32_e32 v22, 16, v22
	v_lshlrev_b32_e32 v115, 16, v115
	;; [unrolled: 1-line block ×3, first 2 shown]
	v_lshl_or_b32 v18, v19, 16, v17
	v_or_b32_e32 v21, v21, v129
	v_or3_b32 v19, v20, v22, v23
	v_lshlrev_b32_e32 v20, 8, v132
	v_or3_b32 v17, v116, v115, v113
	v_perm_b32 v22, v114, v24, 0xc0c0500
	v_and_b32_e32 v23, 0xff, v131
	v_and_b32_e32 v24, 0xff, v135
	v_perm_b32 v14, v20, v14, 0xc0c0500
	v_lshlrev_b32_e32 v20, 8, v130
	v_lshlrev_b32_e32 v113, 8, v134
	;; [unrolled: 1-line block ×3, first 2 shown]
	v_or_b32_e32 v11, v11, v133
	v_lshlrev_b32_e32 v10, 24, v10
	v_lshlrev_b32_e32 v23, 16, v23
	v_perm_b32 v25, v20, v25, 0xc0c0500
	v_lshlrev_b32_e32 v12, 24, v12
	v_lshlrev_b32_e32 v24, 16, v24
	v_perm_b32 v15, v113, v15, 0xc0c0500
	v_perm_b32 v16, v114, v16, 0xc0c0500
	v_or_b32_e32 v13, v13, v145
	v_add_co_u32 v66, vcc_lo, v66, v96
	v_lshl_or_b32 v20, v21, 16, v22
	v_sub_nc_u32_e32 v112, v112, v83
	v_lshl_or_b32 v11, v11, 16, v14
	v_or3_b32 v10, v10, v23, v25
	v_or3_b32 v12, v12, v24, v15
	v_lshl_or_b32 v13, v13, 16, v16
	v_add_co_ci_u32_e32 v67, vcc_lo, v67, v97, vcc_lo
	v_add_co_u32 v68, vcc_lo, v68, v96
	v_add_co_ci_u32_e32 v69, vcc_lo, v69, v97, vcc_lo
	s_clause 0x1
	global_store_b128 v[70:71], v[17:20], off glc slc dlc
	global_store_b128 v[70:71], v[10:13], off offset:512 glc slc dlc
	v_cmp_gt_i32_e32 vcc_lo, 1, v112
	v_add_co_u32 v70, s11, v70, v96
	s_delay_alu instid0(VALU_DEP_1) | instskip(SKIP_1) | instid1(SALU_CYCLE_1)
	v_add_co_ci_u32_e64 v71, s11, v71, v97, s11
	s_or_b32 s24, vcc_lo, s24
	s_and_not1_b32 exec_lo, exec_lo, s24
	s_cbranch_execz .LBB4_1581
.LBB4_143:                              ;   Parent Loop BB4_53 Depth=1
                                        ; =>  This Inner Loop Header: Depth=2
	s_clause 0x1
	global_load_b128 v[22:25], v[66:67], off slc dlc
	global_load_b128 v[14:17], v[66:67], off offset:512 slc dlc
	s_clause 0x1
	global_load_b128 v[18:21], v[68:69], off slc dlc
	global_load_b128 v[10:13], v[68:69], off offset:512 slc dlc
	s_and_b32 vcc_lo, exec_lo, s25
	s_cbranch_vccz .LBB4_153
; %bb.144:                              ;   in Loop: Header=BB4_143 Depth=2
	s_waitcnt vmcnt(3)
	v_and_b32_e32 v114, 0xff, v22
	s_mov_b32 s11, 0
	s_mov_b32 s27, exec_lo
                                        ; implicit-def: $sgpr26
	s_delay_alu instid0(VALU_DEP_1)
	v_cmpx_lt_i16_e32 0x7f, v114
	s_xor_b32 s27, exec_lo, s27
	s_cbranch_execnz .LBB4_1069
; %bb.145:                              ;   in Loop: Header=BB4_143 Depth=2
	s_or_saveexec_b32 s27, s27
	v_mov_b32_e32 v113, s26
	s_xor_b32 exec_lo, exec_lo, s27
	s_cbranch_execnz .LBB4_1072
.LBB4_146:                              ;   in Loop: Header=BB4_143 Depth=2
	s_or_b32 exec_lo, exec_lo, s27
	s_and_saveexec_b32 s26, s11
	s_cbranch_execz .LBB4_148
.LBB4_147:                              ;   in Loop: Header=BB4_143 Depth=2
	v_and_b32_e32 v113, 7, v22
	v_bfe_u32 v116, v22, 3, 4
	v_lshlrev_b32_e32 v117, 24, v22
	s_delay_alu instid0(VALU_DEP_3) | instskip(NEXT) | instid1(VALU_DEP_3)
	v_clz_i32_u32_e32 v114, v113
	v_cmp_eq_u32_e32 vcc_lo, 0, v116
	s_delay_alu instid0(VALU_DEP_2) | instskip(NEXT) | instid1(VALU_DEP_1)
	v_min_u32_e32 v114, 32, v114
	v_subrev_nc_u32_e32 v115, 28, v114
	v_sub_nc_u32_e32 v114, 29, v114
	s_delay_alu instid0(VALU_DEP_2) | instskip(NEXT) | instid1(VALU_DEP_1)
	v_lshlrev_b32_e32 v115, v115, v22
	v_dual_cndmask_b32 v114, v116, v114 :: v_dual_and_b32 v115, 7, v115
	s_delay_alu instid0(VALU_DEP_1) | instskip(NEXT) | instid1(VALU_DEP_2)
	v_lshl_add_u32 v114, v114, 23, 0x3b800000
	v_cndmask_b32_e32 v113, v113, v115, vcc_lo
	v_and_b32_e32 v115, 0x80000000, v117
	s_delay_alu instid0(VALU_DEP_2) | instskip(NEXT) | instid1(VALU_DEP_1)
	v_lshlrev_b32_e32 v113, 20, v113
	v_or3_b32 v113, v115, v114, v113
.LBB4_148:                              ;   in Loop: Header=BB4_143 Depth=2
	s_or_b32 exec_lo, exec_lo, s26
	s_waitcnt vmcnt(1)
	v_and_b32_e32 v115, 0xff, v18
	s_mov_b32 s11, 0
	s_mov_b32 s27, exec_lo
                                        ; implicit-def: $sgpr26
	s_delay_alu instid0(VALU_DEP_1)
	v_cmpx_lt_i16_e32 0x7f, v115
	s_xor_b32 s27, exec_lo, s27
	s_cbranch_execnz .LBB4_1073
; %bb.149:                              ;   in Loop: Header=BB4_143 Depth=2
	s_or_saveexec_b32 s27, s27
	v_mov_b32_e32 v114, s26
	s_xor_b32 exec_lo, exec_lo, s27
	s_cbranch_execnz .LBB4_1076
.LBB4_150:                              ;   in Loop: Header=BB4_143 Depth=2
	s_or_b32 exec_lo, exec_lo, s27
	s_and_saveexec_b32 s26, s11
	s_cbranch_execz .LBB4_152
.LBB4_151:                              ;   in Loop: Header=BB4_143 Depth=2
	v_bfe_u32 v117, v18, 3, 4
	v_lshlrev_b32_e32 v118, 24, v18
	s_delay_alu instid0(VALU_DEP_2) | instskip(SKIP_1) | instid1(VALU_DEP_1)
	v_cmp_eq_u32_e32 vcc_lo, 0, v117
	v_and_b32_e32 v114, 7, v18
	v_clz_i32_u32_e32 v115, v114
	s_delay_alu instid0(VALU_DEP_1) | instskip(NEXT) | instid1(VALU_DEP_1)
	v_min_u32_e32 v115, 32, v115
	v_subrev_nc_u32_e32 v116, 28, v115
	v_sub_nc_u32_e32 v115, 29, v115
	s_delay_alu instid0(VALU_DEP_1) | instskip(NEXT) | instid1(VALU_DEP_1)
	v_dual_cndmask_b32 v115, v117, v115 :: v_dual_lshlrev_b32 v116, v116, v18
	v_and_b32_e32 v116, 7, v116
	s_delay_alu instid0(VALU_DEP_2) | instskip(NEXT) | instid1(VALU_DEP_2)
	v_lshl_add_u32 v115, v115, 23, 0x3b800000
	v_cndmask_b32_e32 v114, v114, v116, vcc_lo
	v_and_b32_e32 v116, 0x80000000, v118
	s_delay_alu instid0(VALU_DEP_2) | instskip(NEXT) | instid1(VALU_DEP_1)
	v_lshlrev_b32_e32 v114, 20, v114
	v_or3_b32 v114, v116, v115, v114
.LBB4_152:                              ;   in Loop: Header=BB4_143 Depth=2
	s_or_b32 exec_lo, exec_lo, s26
	s_delay_alu instid0(VALU_DEP_1) | instskip(SKIP_1) | instid1(VALU_DEP_1)
	v_dual_max_f32 v114, v114, v114 :: v_dual_max_f32 v113, v113, v113
	s_mov_b32 s11, 0
	v_max_f32_e32 v114, v113, v114
	s_branch .LBB4_154
.LBB4_153:                              ;   in Loop: Header=BB4_143 Depth=2
	s_mov_b32 s11, -1
                                        ; implicit-def: $vgpr114
.LBB4_154:                              ;   in Loop: Header=BB4_143 Depth=2
	s_delay_alu instid0(SALU_CYCLE_1)
	s_and_b32 vcc_lo, exec_lo, s11
	s_cbranch_vccz .LBB4_164
; %bb.155:                              ;   in Loop: Header=BB4_143 Depth=2
	s_waitcnt vmcnt(3)
	v_and_b32_e32 v114, 0xff, v22
	s_mov_b32 s11, 0
	s_mov_b32 s27, exec_lo
                                        ; implicit-def: $sgpr26
	s_delay_alu instid0(VALU_DEP_1)
	v_cmpx_lt_i16_e32 0x7f, v114
	s_xor_b32 s27, exec_lo, s27
	s_cbranch_execnz .LBB4_1077
; %bb.156:                              ;   in Loop: Header=BB4_143 Depth=2
	s_or_saveexec_b32 s27, s27
	v_mov_b32_e32 v113, s26
	s_xor_b32 exec_lo, exec_lo, s27
	s_cbranch_execnz .LBB4_1080
.LBB4_157:                              ;   in Loop: Header=BB4_143 Depth=2
	s_or_b32 exec_lo, exec_lo, s27
	s_and_saveexec_b32 s26, s11
	s_cbranch_execz .LBB4_159
.LBB4_158:                              ;   in Loop: Header=BB4_143 Depth=2
	v_and_b32_e32 v113, 7, v22
	v_bfe_u32 v116, v22, 3, 4
	v_lshlrev_b32_e32 v117, 24, v22
	s_delay_alu instid0(VALU_DEP_3) | instskip(NEXT) | instid1(VALU_DEP_3)
	v_clz_i32_u32_e32 v114, v113
	v_cmp_eq_u32_e32 vcc_lo, 0, v116
	s_delay_alu instid0(VALU_DEP_2) | instskip(NEXT) | instid1(VALU_DEP_1)
	v_min_u32_e32 v114, 32, v114
	v_subrev_nc_u32_e32 v115, 28, v114
	v_sub_nc_u32_e32 v114, 29, v114
	s_delay_alu instid0(VALU_DEP_2) | instskip(NEXT) | instid1(VALU_DEP_1)
	v_lshlrev_b32_e32 v115, v115, v22
	v_dual_cndmask_b32 v114, v116, v114 :: v_dual_and_b32 v115, 7, v115
	s_delay_alu instid0(VALU_DEP_1) | instskip(NEXT) | instid1(VALU_DEP_2)
	v_lshl_add_u32 v114, v114, 23, 0x3b800000
	v_cndmask_b32_e32 v113, v113, v115, vcc_lo
	v_and_b32_e32 v115, 0x80000000, v117
	s_delay_alu instid0(VALU_DEP_2) | instskip(NEXT) | instid1(VALU_DEP_1)
	v_lshlrev_b32_e32 v113, 20, v113
	v_or3_b32 v113, v115, v114, v113
.LBB4_159:                              ;   in Loop: Header=BB4_143 Depth=2
	s_or_b32 exec_lo, exec_lo, s26
	s_waitcnt vmcnt(1)
	v_and_b32_e32 v115, 0xff, v18
	s_mov_b32 s11, 0
	s_mov_b32 s27, exec_lo
                                        ; implicit-def: $sgpr26
	s_delay_alu instid0(VALU_DEP_1)
	v_cmpx_lt_i16_e32 0x7f, v115
	s_xor_b32 s27, exec_lo, s27
	s_cbranch_execnz .LBB4_1081
; %bb.160:                              ;   in Loop: Header=BB4_143 Depth=2
	s_or_saveexec_b32 s27, s27
	v_mov_b32_e32 v114, s26
	s_xor_b32 exec_lo, exec_lo, s27
	s_cbranch_execnz .LBB4_1084
.LBB4_161:                              ;   in Loop: Header=BB4_143 Depth=2
	s_or_b32 exec_lo, exec_lo, s27
	s_and_saveexec_b32 s26, s11
	s_cbranch_execz .LBB4_163
.LBB4_162:                              ;   in Loop: Header=BB4_143 Depth=2
	v_bfe_u32 v117, v18, 3, 4
	v_lshlrev_b32_e32 v118, 24, v18
	s_delay_alu instid0(VALU_DEP_2) | instskip(SKIP_1) | instid1(VALU_DEP_1)
	v_cmp_eq_u32_e32 vcc_lo, 0, v117
	v_and_b32_e32 v114, 7, v18
	v_clz_i32_u32_e32 v115, v114
	s_delay_alu instid0(VALU_DEP_1) | instskip(NEXT) | instid1(VALU_DEP_1)
	v_min_u32_e32 v115, 32, v115
	v_subrev_nc_u32_e32 v116, 28, v115
	v_sub_nc_u32_e32 v115, 29, v115
	s_delay_alu instid0(VALU_DEP_1) | instskip(NEXT) | instid1(VALU_DEP_1)
	v_dual_cndmask_b32 v115, v117, v115 :: v_dual_lshlrev_b32 v116, v116, v18
	v_and_b32_e32 v116, 7, v116
	s_delay_alu instid0(VALU_DEP_2) | instskip(NEXT) | instid1(VALU_DEP_2)
	v_lshl_add_u32 v115, v115, 23, 0x3b800000
	v_cndmask_b32_e32 v114, v114, v116, vcc_lo
	v_and_b32_e32 v116, 0x80000000, v118
	s_delay_alu instid0(VALU_DEP_2) | instskip(NEXT) | instid1(VALU_DEP_1)
	v_lshlrev_b32_e32 v114, 20, v114
	v_or3_b32 v114, v116, v115, v114
.LBB4_163:                              ;   in Loop: Header=BB4_143 Depth=2
	s_or_b32 exec_lo, exec_lo, s26
	s_delay_alu instid0(VALU_DEP_1) | instskip(NEXT) | instid1(VALU_DEP_1)
	v_dual_max_f32 v114, v114, v114 :: v_dual_max_f32 v113, v113, v113
	v_min_f32_e32 v114, v113, v114
.LBB4_164:                              ;   in Loop: Header=BB4_143 Depth=2
	s_delay_alu instid0(VALU_DEP_1) | instskip(NEXT) | instid1(VALU_DEP_1)
	v_and_b32_e32 v113, 0x7f800000, v114
	v_cmp_ne_u32_e32 vcc_lo, 0x7f800000, v113
	v_mov_b32_e32 v113, 0x80
	s_and_saveexec_b32 s26, vcc_lo
	s_cbranch_execz .LBB4_172
; %bb.165:                              ;   in Loop: Header=BB4_143 Depth=2
	v_mov_b32_e32 v113, 0
	s_mov_b32 s27, exec_lo
	v_cmpx_ne_u32_e32 0, v114
	s_cbranch_execz .LBB4_171
; %bb.166:                              ;   in Loop: Header=BB4_143 Depth=2
	v_bfe_u32 v113, v114, 23, 8
	s_delay_alu instid0(VALU_DEP_1) | instskip(SKIP_1) | instid1(VALU_DEP_2)
	v_sub_nc_u32_e32 v116, 0x78, v113
	v_cmp_gt_u32_e32 vcc_lo, 0x79, v113
	v_dual_cndmask_b32 v116, 0, v116 :: v_dual_and_b32 v115, 0x7fffff, v114
	s_delay_alu instid0(VALU_DEP_1) | instskip(SKIP_2) | instid1(VALU_DEP_4)
	v_or_b32_e32 v117, 0x800000, v115
	v_cmp_eq_u32_e32 vcc_lo, 0, v113
	v_add_nc_u32_e32 v113, 0xffffff89, v113
	v_cndmask_b32_e64 v116, v116, 0x77, vcc_lo
	s_delay_alu instid0(VALU_DEP_2) | instskip(SKIP_1) | instid1(VALU_DEP_3)
	v_cndmask_b32_e64 v113, v113, 0xffffff8a, vcc_lo
	v_cndmask_b32_e32 v115, v117, v115, vcc_lo
	v_lshl_add_u32 v117, 0x100000, v116, -1
	v_lshlrev_b32_e64 v128, v116, 0x80000
	s_delay_alu instid0(VALU_DEP_3) | instskip(SKIP_1) | instid1(VALU_DEP_4)
	v_lshrrev_b32_e32 v118, v116, v115
	v_add_nc_u32_e32 v116, v116, v113
	v_and_b32_e32 v115, v117, v115
	s_delay_alu instid0(VALU_DEP_3) | instskip(NEXT) | instid1(VALU_DEP_2)
	v_bfe_u32 v119, v118, 20, 1
	v_cmp_eq_u32_e64 s11, v115, v128
	s_delay_alu instid0(VALU_DEP_2) | instskip(NEXT) | instid1(VALU_DEP_1)
	v_add_nc_u32_e32 v117, -1, v119
	v_cndmask_b32_e64 v115, 0, v117, s11
	v_lshrrev_b32_e32 v117, 23, v118
	s_mov_b32 s11, exec_lo
	s_delay_alu instid0(VALU_DEP_2) | instskip(NEXT) | instid1(VALU_DEP_2)
	v_add_nc_u32_e32 v115, v115, v118
	v_xor_b32_e32 v117, 1, v117
	s_delay_alu instid0(VALU_DEP_2) | instskip(NEXT) | instid1(VALU_DEP_1)
	v_and_b32_e32 v113, 0xfffff, v115
	v_add_nc_u32_e32 v115, v113, v118
                                        ; implicit-def: $vgpr113
	s_delay_alu instid0(VALU_DEP_3)
	v_cmpx_ne_u32_e64 v116, v117
	s_xor_b32 s11, exec_lo, s11
; %bb.167:                              ;   in Loop: Header=BB4_143 Depth=2
	s_delay_alu instid0(VALU_DEP_2) | instskip(SKIP_2) | instid1(VALU_DEP_2)
	v_cmp_lt_u32_e32 vcc_lo, 0xffffff, v115
	v_sub_nc_u32_e32 v113, v116, v117
	v_cndmask_b32_e64 v116, 0, 1, vcc_lo
	v_add_co_ci_u32_e32 v113, vcc_lo, 0, v113, vcc_lo
	s_delay_alu instid0(VALU_DEP_2)
	v_lshrrev_b32_e32 v115, v116, v115
; %bb.168:                              ;   in Loop: Header=BB4_143 Depth=2
	s_and_not1_saveexec_b32 s11, s11
; %bb.169:                              ;   in Loop: Header=BB4_143 Depth=2
	s_delay_alu instid0(VALU_DEP_1)
	v_bfe_u32 v113, v115, 23, 1
; %bb.170:                              ;   in Loop: Header=BB4_143 Depth=2
	s_or_b32 exec_lo, exec_lo, s11
	v_lshrrev_b32_e32 v115, 20, v115
	s_delay_alu instid0(VALU_DEP_2) | instskip(SKIP_2) | instid1(VALU_DEP_2)
	v_cmp_gt_i32_e32 vcc_lo, 16, v113
	v_lshrrev_b32_e32 v114, 24, v114
	v_min_i32_e32 v116, 15, v113
	v_dual_cndmask_b32 v115, 7, v115 :: v_dual_and_b32 v114, 0x80, v114
	s_delay_alu instid0(VALU_DEP_1) | instskip(SKIP_1) | instid1(VALU_DEP_2)
	v_or_b32_e32 v113, v113, v115
	v_and_b32_e32 v117, 7, v115
	v_cmp_ne_u32_e32 vcc_lo, 0, v113
	v_lshlrev_b32_e32 v116, 3, v116
	s_delay_alu instid0(VALU_DEP_1) | instskip(NEXT) | instid1(VALU_DEP_1)
	v_or3_b32 v114, v116, v114, v117
	v_cndmask_b32_e32 v113, 0, v114, vcc_lo
.LBB4_171:                              ;   in Loop: Header=BB4_143 Depth=2
	s_or_b32 exec_lo, exec_lo, s27
.LBB4_172:                              ;   in Loop: Header=BB4_143 Depth=2
	s_delay_alu instid0(SALU_CYCLE_1)
	s_or_b32 exec_lo, exec_lo, s26
	s_waitcnt vmcnt(3)
	v_lshrrev_b16 v115, 8, v22
	s_waitcnt vmcnt(1)
	v_lshrrev_b16 v114, 8, v18
	s_and_b32 vcc_lo, exec_lo, s25
	s_cbranch_vccz .LBB4_182
; %bb.173:                              ;   in Loop: Header=BB4_143 Depth=2
	s_mov_b32 s11, 0
	s_mov_b32 s27, exec_lo
                                        ; implicit-def: $sgpr26
	v_cmpx_lt_i16_e32 0x7f, v115
	s_xor_b32 s27, exec_lo, s27
	s_cbranch_execnz .LBB4_1085
; %bb.174:                              ;   in Loop: Header=BB4_143 Depth=2
	s_or_saveexec_b32 s27, s27
	v_mov_b32_e32 v116, s26
	s_xor_b32 exec_lo, exec_lo, s27
	s_cbranch_execnz .LBB4_1088
.LBB4_175:                              ;   in Loop: Header=BB4_143 Depth=2
	s_or_b32 exec_lo, exec_lo, s27
	s_and_saveexec_b32 s26, s11
	s_cbranch_execz .LBB4_177
.LBB4_176:                              ;   in Loop: Header=BB4_143 Depth=2
	v_and_b32_e32 v116, 0xffff, v115
	s_delay_alu instid0(VALU_DEP_1) | instskip(NEXT) | instid1(VALU_DEP_1)
	v_and_b32_e32 v117, 7, v116
	v_clz_i32_u32_e32 v118, v117
	s_delay_alu instid0(VALU_DEP_1) | instskip(NEXT) | instid1(VALU_DEP_1)
	v_min_u32_e32 v118, 32, v118
	v_subrev_nc_u32_e32 v119, 28, v118
	v_sub_nc_u32_e32 v118, 29, v118
	s_delay_alu instid0(VALU_DEP_2) | instskip(SKIP_1) | instid1(VALU_DEP_2)
	v_lshlrev_b32_e32 v119, v119, v116
	v_bfe_u32 v116, v116, 3, 4
	v_and_b32_e32 v119, 7, v119
	s_delay_alu instid0(VALU_DEP_2) | instskip(SKIP_1) | instid1(VALU_DEP_3)
	v_cmp_eq_u32_e32 vcc_lo, 0, v116
	v_cndmask_b32_e32 v116, v116, v118, vcc_lo
	v_dual_cndmask_b32 v117, v117, v119 :: v_dual_lshlrev_b32 v128, 16, v22
	s_delay_alu instid0(VALU_DEP_2) | instskip(NEXT) | instid1(VALU_DEP_2)
	v_lshl_add_u32 v116, v116, 23, 0x3b800000
	v_and_b32_e32 v118, 0x80000000, v128
	s_delay_alu instid0(VALU_DEP_3) | instskip(NEXT) | instid1(VALU_DEP_1)
	v_lshlrev_b32_e32 v117, 20, v117
	v_or3_b32 v116, v118, v116, v117
.LBB4_177:                              ;   in Loop: Header=BB4_143 Depth=2
	s_or_b32 exec_lo, exec_lo, s26
	s_mov_b32 s11, 0
	s_mov_b32 s27, exec_lo
                                        ; implicit-def: $sgpr26
	v_cmpx_lt_i16_e32 0x7f, v114
	s_xor_b32 s27, exec_lo, s27
	s_cbranch_execnz .LBB4_1089
; %bb.178:                              ;   in Loop: Header=BB4_143 Depth=2
	s_or_saveexec_b32 s27, s27
	v_mov_b32_e32 v117, s26
	s_xor_b32 exec_lo, exec_lo, s27
	s_cbranch_execnz .LBB4_1092
.LBB4_179:                              ;   in Loop: Header=BB4_143 Depth=2
	s_or_b32 exec_lo, exec_lo, s27
	s_and_saveexec_b32 s26, s11
	s_cbranch_execz .LBB4_181
.LBB4_180:                              ;   in Loop: Header=BB4_143 Depth=2
	v_and_b32_e32 v117, 0xffff, v114
	v_lshlrev_b32_e32 v129, 16, v18
	s_delay_alu instid0(VALU_DEP_2) | instskip(NEXT) | instid1(VALU_DEP_1)
	v_and_b32_e32 v118, 7, v117
	v_clz_i32_u32_e32 v119, v118
	s_delay_alu instid0(VALU_DEP_1) | instskip(NEXT) | instid1(VALU_DEP_1)
	v_min_u32_e32 v119, 32, v119
	v_subrev_nc_u32_e32 v128, 28, v119
	v_sub_nc_u32_e32 v119, 29, v119
	s_delay_alu instid0(VALU_DEP_2) | instskip(SKIP_1) | instid1(VALU_DEP_2)
	v_lshlrev_b32_e32 v128, v128, v117
	v_bfe_u32 v117, v117, 3, 4
	v_and_b32_e32 v128, 7, v128
	s_delay_alu instid0(VALU_DEP_2) | instskip(NEXT) | instid1(VALU_DEP_2)
	v_cmp_eq_u32_e32 vcc_lo, 0, v117
	v_dual_cndmask_b32 v117, v117, v119 :: v_dual_cndmask_b32 v118, v118, v128
	v_and_b32_e32 v119, 0x80000000, v129
	s_delay_alu instid0(VALU_DEP_2) | instskip(NEXT) | instid1(VALU_DEP_3)
	v_lshl_add_u32 v117, v117, 23, 0x3b800000
	v_lshlrev_b32_e32 v118, 20, v118
	s_delay_alu instid0(VALU_DEP_1)
	v_or3_b32 v117, v119, v117, v118
.LBB4_181:                              ;   in Loop: Header=BB4_143 Depth=2
	s_or_b32 exec_lo, exec_lo, s26
	s_delay_alu instid0(VALU_DEP_1) | instskip(SKIP_1) | instid1(VALU_DEP_1)
	v_dual_max_f32 v117, v117, v117 :: v_dual_max_f32 v116, v116, v116
	s_mov_b32 s11, 0
	v_max_f32_e32 v116, v116, v117
	s_branch .LBB4_183
.LBB4_182:                              ;   in Loop: Header=BB4_143 Depth=2
	s_mov_b32 s11, -1
                                        ; implicit-def: $vgpr116
.LBB4_183:                              ;   in Loop: Header=BB4_143 Depth=2
	s_delay_alu instid0(SALU_CYCLE_1)
	s_and_b32 vcc_lo, exec_lo, s11
	s_cbranch_vccz .LBB4_193
; %bb.184:                              ;   in Loop: Header=BB4_143 Depth=2
	s_mov_b32 s11, 0
	s_mov_b32 s27, exec_lo
                                        ; implicit-def: $sgpr26
	v_cmpx_lt_i16_e32 0x7f, v115
	s_xor_b32 s27, exec_lo, s27
	s_cbranch_execnz .LBB4_1093
; %bb.185:                              ;   in Loop: Header=BB4_143 Depth=2
	s_or_saveexec_b32 s27, s27
	v_mov_b32_e32 v116, s26
	s_xor_b32 exec_lo, exec_lo, s27
	s_cbranch_execnz .LBB4_1096
.LBB4_186:                              ;   in Loop: Header=BB4_143 Depth=2
	s_or_b32 exec_lo, exec_lo, s27
	s_and_saveexec_b32 s26, s11
	s_cbranch_execz .LBB4_188
.LBB4_187:                              ;   in Loop: Header=BB4_143 Depth=2
	v_and_b32_e32 v115, 0xffff, v115
	v_lshlrev_b32_e32 v119, 16, v22
	s_delay_alu instid0(VALU_DEP_2) | instskip(NEXT) | instid1(VALU_DEP_1)
	v_and_b32_e32 v116, 7, v115
	v_clz_i32_u32_e32 v117, v116
	s_delay_alu instid0(VALU_DEP_1) | instskip(NEXT) | instid1(VALU_DEP_1)
	v_min_u32_e32 v117, 32, v117
	v_subrev_nc_u32_e32 v118, 28, v117
	v_sub_nc_u32_e32 v117, 29, v117
	s_delay_alu instid0(VALU_DEP_2) | instskip(SKIP_1) | instid1(VALU_DEP_2)
	v_lshlrev_b32_e32 v118, v118, v115
	v_bfe_u32 v115, v115, 3, 4
	v_and_b32_e32 v118, 7, v118
	s_delay_alu instid0(VALU_DEP_2) | instskip(NEXT) | instid1(VALU_DEP_2)
	v_cmp_eq_u32_e32 vcc_lo, 0, v115
	v_dual_cndmask_b32 v115, v115, v117 :: v_dual_cndmask_b32 v116, v116, v118
	v_and_b32_e32 v117, 0x80000000, v119
	s_delay_alu instid0(VALU_DEP_2) | instskip(NEXT) | instid1(VALU_DEP_3)
	v_lshl_add_u32 v115, v115, 23, 0x3b800000
	v_lshlrev_b32_e32 v116, 20, v116
	s_delay_alu instid0(VALU_DEP_1)
	v_or3_b32 v116, v117, v115, v116
.LBB4_188:                              ;   in Loop: Header=BB4_143 Depth=2
	s_or_b32 exec_lo, exec_lo, s26
	s_mov_b32 s11, 0
	s_mov_b32 s27, exec_lo
                                        ; implicit-def: $sgpr26
	v_cmpx_lt_i16_e32 0x7f, v114
	s_xor_b32 s27, exec_lo, s27
	s_cbranch_execnz .LBB4_1097
; %bb.189:                              ;   in Loop: Header=BB4_143 Depth=2
	s_or_saveexec_b32 s27, s27
	v_mov_b32_e32 v115, s26
	s_xor_b32 exec_lo, exec_lo, s27
	s_cbranch_execnz .LBB4_1100
.LBB4_190:                              ;   in Loop: Header=BB4_143 Depth=2
	s_or_b32 exec_lo, exec_lo, s27
	s_and_saveexec_b32 s26, s11
	s_cbranch_execz .LBB4_192
.LBB4_191:                              ;   in Loop: Header=BB4_143 Depth=2
	v_and_b32_e32 v114, 0xffff, v114
	v_lshlrev_b32_e32 v119, 16, v18
	s_delay_alu instid0(VALU_DEP_2) | instskip(NEXT) | instid1(VALU_DEP_1)
	v_and_b32_e32 v115, 7, v114
	v_clz_i32_u32_e32 v117, v115
	s_delay_alu instid0(VALU_DEP_1) | instskip(NEXT) | instid1(VALU_DEP_1)
	v_min_u32_e32 v117, 32, v117
	v_subrev_nc_u32_e32 v118, 28, v117
	v_sub_nc_u32_e32 v117, 29, v117
	s_delay_alu instid0(VALU_DEP_2) | instskip(SKIP_1) | instid1(VALU_DEP_2)
	v_lshlrev_b32_e32 v118, v118, v114
	v_bfe_u32 v114, v114, 3, 4
	v_and_b32_e32 v118, 7, v118
	s_delay_alu instid0(VALU_DEP_2) | instskip(NEXT) | instid1(VALU_DEP_2)
	v_cmp_eq_u32_e32 vcc_lo, 0, v114
	v_dual_cndmask_b32 v114, v114, v117 :: v_dual_cndmask_b32 v115, v115, v118
	v_and_b32_e32 v117, 0x80000000, v119
	s_delay_alu instid0(VALU_DEP_2) | instskip(NEXT) | instid1(VALU_DEP_3)
	v_lshl_add_u32 v114, v114, 23, 0x3b800000
	v_lshlrev_b32_e32 v115, 20, v115
	s_delay_alu instid0(VALU_DEP_1)
	v_or3_b32 v115, v117, v114, v115
.LBB4_192:                              ;   in Loop: Header=BB4_143 Depth=2
	s_or_b32 exec_lo, exec_lo, s26
	s_delay_alu instid0(VALU_DEP_1) | instskip(NEXT) | instid1(VALU_DEP_1)
	v_dual_max_f32 v114, v115, v115 :: v_dual_max_f32 v115, v116, v116
	v_min_f32_e32 v116, v115, v114
.LBB4_193:                              ;   in Loop: Header=BB4_143 Depth=2
	s_delay_alu instid0(VALU_DEP_1) | instskip(NEXT) | instid1(VALU_DEP_1)
	v_and_b32_e32 v114, 0x7f800000, v116
	v_cmp_ne_u32_e32 vcc_lo, 0x7f800000, v114
	v_mov_b32_e32 v114, 0x80
	s_and_saveexec_b32 s26, vcc_lo
	s_cbranch_execz .LBB4_201
; %bb.194:                              ;   in Loop: Header=BB4_143 Depth=2
	v_mov_b32_e32 v114, 0
	s_mov_b32 s27, exec_lo
	v_cmpx_ne_u32_e32 0, v116
	s_cbranch_execz .LBB4_200
; %bb.195:                              ;   in Loop: Header=BB4_143 Depth=2
	v_bfe_u32 v114, v116, 23, 8
	v_and_b32_e32 v115, 0x7fffff, v116
	s_delay_alu instid0(VALU_DEP_2) | instskip(SKIP_1) | instid1(VALU_DEP_3)
	v_sub_nc_u32_e32 v117, 0x78, v114
	v_cmp_gt_u32_e32 vcc_lo, 0x79, v114
	v_or_b32_e32 v118, 0x800000, v115
	s_delay_alu instid0(VALU_DEP_3) | instskip(SKIP_2) | instid1(VALU_DEP_3)
	v_cndmask_b32_e32 v117, 0, v117, vcc_lo
	v_cmp_eq_u32_e32 vcc_lo, 0, v114
	v_add_nc_u32_e32 v114, 0xffffff89, v114
	v_cndmask_b32_e64 v117, v117, 0x77, vcc_lo
	v_cndmask_b32_e32 v115, v118, v115, vcc_lo
	s_delay_alu instid0(VALU_DEP_3) | instskip(NEXT) | instid1(VALU_DEP_3)
	v_cndmask_b32_e64 v114, v114, 0xffffff8a, vcc_lo
	v_lshl_add_u32 v118, 0x100000, v117, -1
	s_delay_alu instid0(VALU_DEP_3) | instskip(SKIP_1) | instid1(VALU_DEP_4)
	v_lshrrev_b32_e32 v119, v117, v115
	v_lshlrev_b32_e64 v129, v117, 0x80000
	v_add_nc_u32_e32 v117, v117, v114
	s_delay_alu instid0(VALU_DEP_4) | instskip(NEXT) | instid1(VALU_DEP_4)
	v_and_b32_e32 v115, v118, v115
	v_bfe_u32 v128, v119, 20, 1
	s_delay_alu instid0(VALU_DEP_2) | instskip(NEXT) | instid1(VALU_DEP_2)
	v_cmp_eq_u32_e64 s11, v115, v129
	v_add_nc_u32_e32 v118, -1, v128
	s_delay_alu instid0(VALU_DEP_1) | instskip(SKIP_2) | instid1(VALU_DEP_2)
	v_cndmask_b32_e64 v115, 0, v118, s11
	v_lshrrev_b32_e32 v118, 23, v119
	s_mov_b32 s11, exec_lo
	v_add_nc_u32_e32 v115, v115, v119
	s_delay_alu instid0(VALU_DEP_2) | instskip(NEXT) | instid1(VALU_DEP_2)
	v_xor_b32_e32 v118, 1, v118
	v_and_b32_e32 v114, 0xfffff, v115
	s_delay_alu instid0(VALU_DEP_1) | instskip(NEXT) | instid1(VALU_DEP_3)
	v_add_nc_u32_e32 v115, v114, v119
                                        ; implicit-def: $vgpr114
	v_cmpx_ne_u32_e64 v117, v118
	s_xor_b32 s11, exec_lo, s11
; %bb.196:                              ;   in Loop: Header=BB4_143 Depth=2
	s_delay_alu instid0(VALU_DEP_2) | instskip(SKIP_2) | instid1(VALU_DEP_2)
	v_cmp_lt_u32_e32 vcc_lo, 0xffffff, v115
	v_sub_nc_u32_e32 v114, v117, v118
	v_cndmask_b32_e64 v117, 0, 1, vcc_lo
	v_add_co_ci_u32_e32 v114, vcc_lo, 0, v114, vcc_lo
	s_delay_alu instid0(VALU_DEP_2)
	v_lshrrev_b32_e32 v115, v117, v115
; %bb.197:                              ;   in Loop: Header=BB4_143 Depth=2
	s_and_not1_saveexec_b32 s11, s11
; %bb.198:                              ;   in Loop: Header=BB4_143 Depth=2
	s_delay_alu instid0(VALU_DEP_1)
	v_bfe_u32 v114, v115, 23, 1
; %bb.199:                              ;   in Loop: Header=BB4_143 Depth=2
	s_or_b32 exec_lo, exec_lo, s11
	v_lshrrev_b32_e32 v115, 20, v115
	s_delay_alu instid0(VALU_DEP_2) | instskip(SKIP_2) | instid1(VALU_DEP_2)
	v_cmp_gt_i32_e32 vcc_lo, 16, v114
	v_lshrrev_b32_e32 v116, 24, v116
	v_min_i32_e32 v117, 15, v114
	v_dual_cndmask_b32 v115, 7, v115 :: v_dual_and_b32 v116, 0x80, v116
	s_delay_alu instid0(VALU_DEP_1) | instskip(SKIP_1) | instid1(VALU_DEP_2)
	v_or_b32_e32 v114, v114, v115
	v_and_b32_e32 v118, 7, v115
	v_cmp_ne_u32_e32 vcc_lo, 0, v114
	v_lshlrev_b32_e32 v117, 3, v117
	s_delay_alu instid0(VALU_DEP_1) | instskip(NEXT) | instid1(VALU_DEP_1)
	v_or3_b32 v115, v117, v116, v118
	v_cndmask_b32_e32 v114, 0, v115, vcc_lo
.LBB4_200:                              ;   in Loop: Header=BB4_143 Depth=2
	s_or_b32 exec_lo, exec_lo, s27
.LBB4_201:                              ;   in Loop: Header=BB4_143 Depth=2
	s_delay_alu instid0(SALU_CYCLE_1)
	s_or_b32 exec_lo, exec_lo, s26
	v_lshrrev_b32_e32 v116, 16, v22
	v_lshrrev_b32_e32 v115, 16, v18
	s_and_b32 vcc_lo, exec_lo, s25
	s_cbranch_vccz .LBB4_211
; %bb.202:                              ;   in Loop: Header=BB4_143 Depth=2
	s_delay_alu instid0(VALU_DEP_2) | instskip(SKIP_2) | instid1(VALU_DEP_1)
	v_and_b32_e32 v118, 0xff, v116
	s_mov_b32 s11, 0
	s_mov_b32 s27, exec_lo
                                        ; implicit-def: $sgpr26
	v_cmpx_lt_i16_e32 0x7f, v118
	s_xor_b32 s27, exec_lo, s27
	s_cbranch_execnz .LBB4_1101
; %bb.203:                              ;   in Loop: Header=BB4_143 Depth=2
	s_or_saveexec_b32 s27, s27
	v_mov_b32_e32 v117, s26
	s_xor_b32 exec_lo, exec_lo, s27
	s_cbranch_execnz .LBB4_1104
.LBB4_204:                              ;   in Loop: Header=BB4_143 Depth=2
	s_or_b32 exec_lo, exec_lo, s27
	s_and_saveexec_b32 s26, s11
	s_cbranch_execz .LBB4_206
.LBB4_205:                              ;   in Loop: Header=BB4_143 Depth=2
	v_bfe_u32 v117, v22, 16, 3
	v_bfe_u32 v128, v22, 19, 4
	v_lshlrev_b32_e32 v129, 24, v116
	s_delay_alu instid0(VALU_DEP_3) | instskip(NEXT) | instid1(VALU_DEP_3)
	v_clz_i32_u32_e32 v118, v117
	v_cmp_eq_u32_e32 vcc_lo, 0, v128
	s_delay_alu instid0(VALU_DEP_2) | instskip(NEXT) | instid1(VALU_DEP_1)
	v_min_u32_e32 v118, 32, v118
	v_subrev_nc_u32_e32 v119, 28, v118
	v_sub_nc_u32_e32 v118, 29, v118
	s_delay_alu instid0(VALU_DEP_1) | instskip(NEXT) | instid1(VALU_DEP_1)
	v_dual_cndmask_b32 v118, v128, v118 :: v_dual_lshlrev_b32 v119, v119, v116
	v_and_b32_e32 v119, 7, v119
	s_delay_alu instid0(VALU_DEP_2) | instskip(NEXT) | instid1(VALU_DEP_2)
	v_lshl_add_u32 v118, v118, 23, 0x3b800000
	v_cndmask_b32_e32 v117, v117, v119, vcc_lo
	v_and_b32_e32 v119, 0x80000000, v129
	s_delay_alu instid0(VALU_DEP_2) | instskip(NEXT) | instid1(VALU_DEP_1)
	v_lshlrev_b32_e32 v117, 20, v117
	v_or3_b32 v117, v119, v118, v117
.LBB4_206:                              ;   in Loop: Header=BB4_143 Depth=2
	s_or_b32 exec_lo, exec_lo, s26
	v_and_b32_e32 v119, 0xff, v115
	s_mov_b32 s11, 0
	s_mov_b32 s27, exec_lo
                                        ; implicit-def: $sgpr26
	s_delay_alu instid0(VALU_DEP_1)
	v_cmpx_lt_i16_e32 0x7f, v119
	s_xor_b32 s27, exec_lo, s27
	s_cbranch_execnz .LBB4_1105
; %bb.207:                              ;   in Loop: Header=BB4_143 Depth=2
	s_or_saveexec_b32 s27, s27
	v_mov_b32_e32 v118, s26
	s_xor_b32 exec_lo, exec_lo, s27
	s_cbranch_execnz .LBB4_1108
.LBB4_208:                              ;   in Loop: Header=BB4_143 Depth=2
	s_or_b32 exec_lo, exec_lo, s27
	s_and_saveexec_b32 s26, s11
	s_cbranch_execz .LBB4_210
.LBB4_209:                              ;   in Loop: Header=BB4_143 Depth=2
	v_bfe_u32 v118, v18, 16, 3
	v_bfe_u32 v129, v18, 19, 4
	v_lshlrev_b32_e32 v130, 24, v115
	s_delay_alu instid0(VALU_DEP_3) | instskip(NEXT) | instid1(VALU_DEP_3)
	v_clz_i32_u32_e32 v119, v118
	v_cmp_eq_u32_e32 vcc_lo, 0, v129
	s_delay_alu instid0(VALU_DEP_2) | instskip(NEXT) | instid1(VALU_DEP_1)
	v_min_u32_e32 v119, 32, v119
	v_subrev_nc_u32_e32 v128, 28, v119
	v_sub_nc_u32_e32 v119, 29, v119
	s_delay_alu instid0(VALU_DEP_2) | instskip(NEXT) | instid1(VALU_DEP_1)
	v_lshlrev_b32_e32 v128, v128, v115
	v_dual_cndmask_b32 v119, v129, v119 :: v_dual_and_b32 v128, 7, v128
	s_delay_alu instid0(VALU_DEP_1) | instskip(NEXT) | instid1(VALU_DEP_2)
	v_lshl_add_u32 v119, v119, 23, 0x3b800000
	v_cndmask_b32_e32 v118, v118, v128, vcc_lo
	v_and_b32_e32 v128, 0x80000000, v130
	s_delay_alu instid0(VALU_DEP_2) | instskip(NEXT) | instid1(VALU_DEP_1)
	v_lshlrev_b32_e32 v118, 20, v118
	v_or3_b32 v118, v128, v119, v118
.LBB4_210:                              ;   in Loop: Header=BB4_143 Depth=2
	s_or_b32 exec_lo, exec_lo, s26
	s_delay_alu instid0(VALU_DEP_1) | instskip(SKIP_1) | instid1(VALU_DEP_1)
	v_dual_max_f32 v118, v118, v118 :: v_dual_max_f32 v117, v117, v117
	s_mov_b32 s11, 0
	v_max_f32_e32 v117, v117, v118
	s_branch .LBB4_212
.LBB4_211:                              ;   in Loop: Header=BB4_143 Depth=2
	s_mov_b32 s11, -1
                                        ; implicit-def: $vgpr117
.LBB4_212:                              ;   in Loop: Header=BB4_143 Depth=2
	s_delay_alu instid0(SALU_CYCLE_1)
	s_and_b32 vcc_lo, exec_lo, s11
	s_cbranch_vccz .LBB4_222
; %bb.213:                              ;   in Loop: Header=BB4_143 Depth=2
	v_and_b32_e32 v118, 0xff, v116
	s_mov_b32 s11, 0
	s_mov_b32 s27, exec_lo
                                        ; implicit-def: $sgpr26
	s_delay_alu instid0(VALU_DEP_1)
	v_cmpx_lt_i16_e32 0x7f, v118
	s_xor_b32 s27, exec_lo, s27
	s_cbranch_execnz .LBB4_1109
; %bb.214:                              ;   in Loop: Header=BB4_143 Depth=2
	s_or_saveexec_b32 s27, s27
	v_mov_b32_e32 v117, s26
	s_xor_b32 exec_lo, exec_lo, s27
	s_cbranch_execnz .LBB4_1112
.LBB4_215:                              ;   in Loop: Header=BB4_143 Depth=2
	s_or_b32 exec_lo, exec_lo, s27
	s_and_saveexec_b32 s26, s11
	s_cbranch_execz .LBB4_217
.LBB4_216:                              ;   in Loop: Header=BB4_143 Depth=2
	v_bfe_u32 v117, v22, 16, 3
	v_bfe_u32 v128, v22, 19, 4
	s_delay_alu instid0(VALU_DEP_2) | instskip(NEXT) | instid1(VALU_DEP_2)
	v_clz_i32_u32_e32 v118, v117
	v_cmp_eq_u32_e32 vcc_lo, 0, v128
	s_delay_alu instid0(VALU_DEP_2) | instskip(NEXT) | instid1(VALU_DEP_1)
	v_min_u32_e32 v118, 32, v118
	v_subrev_nc_u32_e32 v119, 28, v118
	v_sub_nc_u32_e32 v118, 29, v118
	s_delay_alu instid0(VALU_DEP_1) | instskip(NEXT) | instid1(VALU_DEP_1)
	v_dual_cndmask_b32 v118, v128, v118 :: v_dual_lshlrev_b32 v119, v119, v116
	v_and_b32_e32 v119, 7, v119
	v_lshlrev_b32_e32 v116, 24, v116
	s_delay_alu instid0(VALU_DEP_3) | instskip(NEXT) | instid1(VALU_DEP_2)
	v_lshl_add_u32 v118, v118, 23, 0x3b800000
	v_dual_cndmask_b32 v117, v117, v119 :: v_dual_and_b32 v116, 0x80000000, v116
	s_delay_alu instid0(VALU_DEP_1) | instskip(NEXT) | instid1(VALU_DEP_1)
	v_lshlrev_b32_e32 v117, 20, v117
	v_or3_b32 v117, v116, v118, v117
.LBB4_217:                              ;   in Loop: Header=BB4_143 Depth=2
	s_or_b32 exec_lo, exec_lo, s26
	v_and_b32_e32 v118, 0xff, v115
	s_mov_b32 s11, 0
	s_mov_b32 s27, exec_lo
                                        ; implicit-def: $sgpr26
	s_delay_alu instid0(VALU_DEP_1)
	v_cmpx_lt_i16_e32 0x7f, v118
	s_xor_b32 s27, exec_lo, s27
	s_cbranch_execnz .LBB4_1113
; %bb.218:                              ;   in Loop: Header=BB4_143 Depth=2
	s_or_saveexec_b32 s27, s27
	v_mov_b32_e32 v116, s26
	s_xor_b32 exec_lo, exec_lo, s27
	s_cbranch_execnz .LBB4_1116
.LBB4_219:                              ;   in Loop: Header=BB4_143 Depth=2
	s_or_b32 exec_lo, exec_lo, s27
	s_and_saveexec_b32 s26, s11
	s_cbranch_execz .LBB4_221
.LBB4_220:                              ;   in Loop: Header=BB4_143 Depth=2
	v_bfe_u32 v116, v18, 16, 3
	v_bfe_u32 v128, v18, 19, 4
	s_delay_alu instid0(VALU_DEP_2) | instskip(NEXT) | instid1(VALU_DEP_2)
	v_clz_i32_u32_e32 v118, v116
	v_cmp_eq_u32_e32 vcc_lo, 0, v128
	s_delay_alu instid0(VALU_DEP_2) | instskip(NEXT) | instid1(VALU_DEP_1)
	v_min_u32_e32 v118, 32, v118
	v_subrev_nc_u32_e32 v119, 28, v118
	v_sub_nc_u32_e32 v118, 29, v118
	s_delay_alu instid0(VALU_DEP_1) | instskip(SKIP_1) | instid1(VALU_DEP_2)
	v_dual_cndmask_b32 v118, v128, v118 :: v_dual_lshlrev_b32 v119, v119, v115
	v_lshlrev_b32_e32 v115, 24, v115
	v_and_b32_e32 v119, 7, v119
	s_delay_alu instid0(VALU_DEP_3) | instskip(NEXT) | instid1(VALU_DEP_3)
	v_lshl_add_u32 v118, v118, 23, 0x3b800000
	v_and_b32_e32 v115, 0x80000000, v115
	s_delay_alu instid0(VALU_DEP_3) | instskip(NEXT) | instid1(VALU_DEP_1)
	v_cndmask_b32_e32 v116, v116, v119, vcc_lo
	v_lshlrev_b32_e32 v116, 20, v116
	s_delay_alu instid0(VALU_DEP_1)
	v_or3_b32 v116, v115, v118, v116
.LBB4_221:                              ;   in Loop: Header=BB4_143 Depth=2
	s_or_b32 exec_lo, exec_lo, s26
	s_delay_alu instid0(VALU_DEP_1) | instskip(NEXT) | instid1(VALU_DEP_1)
	v_dual_max_f32 v115, v116, v116 :: v_dual_max_f32 v116, v117, v117
	v_min_f32_e32 v117, v116, v115
.LBB4_222:                              ;   in Loop: Header=BB4_143 Depth=2
	s_delay_alu instid0(VALU_DEP_1) | instskip(NEXT) | instid1(VALU_DEP_1)
	v_and_b32_e32 v115, 0x7f800000, v117
	v_cmp_ne_u32_e32 vcc_lo, 0x7f800000, v115
	v_mov_b32_e32 v115, 0x80
	s_and_saveexec_b32 s26, vcc_lo
	s_cbranch_execz .LBB4_230
; %bb.223:                              ;   in Loop: Header=BB4_143 Depth=2
	v_mov_b32_e32 v115, 0
	s_mov_b32 s27, exec_lo
	v_cmpx_ne_u32_e32 0, v117
	s_cbranch_execz .LBB4_229
; %bb.224:                              ;   in Loop: Header=BB4_143 Depth=2
	v_bfe_u32 v115, v117, 23, 8
	v_and_b32_e32 v116, 0x7fffff, v117
	s_delay_alu instid0(VALU_DEP_2) | instskip(SKIP_1) | instid1(VALU_DEP_3)
	v_sub_nc_u32_e32 v118, 0x78, v115
	v_cmp_gt_u32_e32 vcc_lo, 0x79, v115
	v_or_b32_e32 v119, 0x800000, v116
	s_delay_alu instid0(VALU_DEP_3) | instskip(SKIP_2) | instid1(VALU_DEP_3)
	v_cndmask_b32_e32 v118, 0, v118, vcc_lo
	v_cmp_eq_u32_e32 vcc_lo, 0, v115
	v_add_nc_u32_e32 v115, 0xffffff89, v115
	v_cndmask_b32_e64 v118, v118, 0x77, vcc_lo
	v_cndmask_b32_e32 v116, v119, v116, vcc_lo
	s_delay_alu instid0(VALU_DEP_3) | instskip(NEXT) | instid1(VALU_DEP_3)
	v_cndmask_b32_e64 v115, v115, 0xffffff8a, vcc_lo
	v_lshl_add_u32 v119, 0x100000, v118, -1
	s_delay_alu instid0(VALU_DEP_3) | instskip(SKIP_1) | instid1(VALU_DEP_4)
	v_lshrrev_b32_e32 v128, v118, v116
	v_lshlrev_b32_e64 v130, v118, 0x80000
	v_add_nc_u32_e32 v118, v118, v115
	s_delay_alu instid0(VALU_DEP_4) | instskip(NEXT) | instid1(VALU_DEP_4)
	v_and_b32_e32 v116, v119, v116
	v_bfe_u32 v129, v128, 20, 1
	s_delay_alu instid0(VALU_DEP_2) | instskip(NEXT) | instid1(VALU_DEP_2)
	v_cmp_eq_u32_e64 s11, v116, v130
	v_add_nc_u32_e32 v119, -1, v129
	s_delay_alu instid0(VALU_DEP_1) | instskip(SKIP_2) | instid1(VALU_DEP_2)
	v_cndmask_b32_e64 v116, 0, v119, s11
	v_lshrrev_b32_e32 v119, 23, v128
	s_mov_b32 s11, exec_lo
	v_add_nc_u32_e32 v116, v116, v128
	s_delay_alu instid0(VALU_DEP_2) | instskip(NEXT) | instid1(VALU_DEP_2)
	v_xor_b32_e32 v119, 1, v119
	v_and_b32_e32 v115, 0xfffff, v116
	s_delay_alu instid0(VALU_DEP_1) | instskip(NEXT) | instid1(VALU_DEP_3)
	v_add_nc_u32_e32 v116, v115, v128
                                        ; implicit-def: $vgpr115
	v_cmpx_ne_u32_e64 v118, v119
	s_xor_b32 s11, exec_lo, s11
; %bb.225:                              ;   in Loop: Header=BB4_143 Depth=2
	s_delay_alu instid0(VALU_DEP_2) | instskip(SKIP_2) | instid1(VALU_DEP_2)
	v_cmp_lt_u32_e32 vcc_lo, 0xffffff, v116
	v_sub_nc_u32_e32 v115, v118, v119
	v_cndmask_b32_e64 v118, 0, 1, vcc_lo
	v_add_co_ci_u32_e32 v115, vcc_lo, 0, v115, vcc_lo
	s_delay_alu instid0(VALU_DEP_2)
	v_lshrrev_b32_e32 v116, v118, v116
; %bb.226:                              ;   in Loop: Header=BB4_143 Depth=2
	s_and_not1_saveexec_b32 s11, s11
; %bb.227:                              ;   in Loop: Header=BB4_143 Depth=2
	s_delay_alu instid0(VALU_DEP_1)
	v_bfe_u32 v115, v116, 23, 1
; %bb.228:                              ;   in Loop: Header=BB4_143 Depth=2
	s_or_b32 exec_lo, exec_lo, s11
	v_lshrrev_b32_e32 v116, 20, v116
	s_delay_alu instid0(VALU_DEP_2) | instskip(SKIP_2) | instid1(VALU_DEP_2)
	v_cmp_gt_i32_e32 vcc_lo, 16, v115
	v_lshrrev_b32_e32 v117, 24, v117
	v_min_i32_e32 v118, 15, v115
	v_dual_cndmask_b32 v116, 7, v116 :: v_dual_and_b32 v117, 0x80, v117
	s_delay_alu instid0(VALU_DEP_1) | instskip(SKIP_1) | instid1(VALU_DEP_2)
	v_or_b32_e32 v115, v115, v116
	v_and_b32_e32 v119, 7, v116
	v_cmp_ne_u32_e32 vcc_lo, 0, v115
	v_lshlrev_b32_e32 v118, 3, v118
	s_delay_alu instid0(VALU_DEP_1) | instskip(NEXT) | instid1(VALU_DEP_1)
	v_or3_b32 v116, v118, v117, v119
	v_cndmask_b32_e32 v115, 0, v116, vcc_lo
.LBB4_229:                              ;   in Loop: Header=BB4_143 Depth=2
	s_or_b32 exec_lo, exec_lo, s27
.LBB4_230:                              ;   in Loop: Header=BB4_143 Depth=2
	s_delay_alu instid0(SALU_CYCLE_1)
	s_or_b32 exec_lo, exec_lo, s26
	v_lshrrev_b32_e32 v117, 24, v22
	v_lshrrev_b32_e32 v116, 24, v18
	s_and_b32 vcc_lo, exec_lo, s25
	s_cbranch_vccz .LBB4_240
; %bb.231:                              ;   in Loop: Header=BB4_143 Depth=2
	s_mov_b32 s11, 0
	s_mov_b32 s27, exec_lo
                                        ; implicit-def: $sgpr26
	v_cmpx_lt_i16_e32 0x7f, v117
	s_xor_b32 s27, exec_lo, s27
	s_cbranch_execnz .LBB4_1117
; %bb.232:                              ;   in Loop: Header=BB4_143 Depth=2
	s_or_saveexec_b32 s27, s27
	v_mov_b32_e32 v118, s26
	s_xor_b32 exec_lo, exec_lo, s27
	s_cbranch_execnz .LBB4_1120
.LBB4_233:                              ;   in Loop: Header=BB4_143 Depth=2
	s_or_b32 exec_lo, exec_lo, s27
	s_and_saveexec_b32 s26, s11
	s_cbranch_execz .LBB4_235
.LBB4_234:                              ;   in Loop: Header=BB4_143 Depth=2
	v_bfe_u32 v118, v22, 24, 3
	v_bfe_u32 v129, v22, 27, 4
	s_delay_alu instid0(VALU_DEP_2) | instskip(NEXT) | instid1(VALU_DEP_2)
	v_clz_i32_u32_e32 v119, v118
	v_cmp_eq_u32_e32 vcc_lo, 0, v129
	s_delay_alu instid0(VALU_DEP_2) | instskip(NEXT) | instid1(VALU_DEP_1)
	v_min_u32_e32 v119, 32, v119
	v_subrev_nc_u32_e32 v128, 28, v119
	v_sub_nc_u32_e32 v119, 29, v119
	s_delay_alu instid0(VALU_DEP_1) | instskip(NEXT) | instid1(VALU_DEP_1)
	v_dual_cndmask_b32 v119, v129, v119 :: v_dual_lshlrev_b32 v128, v128, v117
	v_and_b32_e32 v128, 7, v128
	s_delay_alu instid0(VALU_DEP_2) | instskip(NEXT) | instid1(VALU_DEP_2)
	v_lshl_add_u32 v119, v119, 23, 0x3b800000
	v_cndmask_b32_e32 v118, v118, v128, vcc_lo
	v_and_b32_e32 v128, 0x80000000, v22
	s_delay_alu instid0(VALU_DEP_2) | instskip(NEXT) | instid1(VALU_DEP_1)
	v_lshlrev_b32_e32 v118, 20, v118
	v_or3_b32 v118, v128, v119, v118
.LBB4_235:                              ;   in Loop: Header=BB4_143 Depth=2
	s_or_b32 exec_lo, exec_lo, s26
	s_mov_b32 s11, 0
	s_mov_b32 s27, exec_lo
                                        ; implicit-def: $sgpr26
	v_cmpx_lt_i16_e32 0x7f, v116
	s_xor_b32 s27, exec_lo, s27
	s_cbranch_execnz .LBB4_1121
; %bb.236:                              ;   in Loop: Header=BB4_143 Depth=2
	s_or_saveexec_b32 s27, s27
	v_mov_b32_e32 v119, s26
	s_xor_b32 exec_lo, exec_lo, s27
	s_cbranch_execnz .LBB4_1124
.LBB4_237:                              ;   in Loop: Header=BB4_143 Depth=2
	s_or_b32 exec_lo, exec_lo, s27
	s_and_saveexec_b32 s26, s11
	s_cbranch_execz .LBB4_239
.LBB4_238:                              ;   in Loop: Header=BB4_143 Depth=2
	v_bfe_u32 v119, v18, 24, 3
	v_bfe_u32 v130, v18, 27, 4
	s_delay_alu instid0(VALU_DEP_2) | instskip(NEXT) | instid1(VALU_DEP_2)
	v_clz_i32_u32_e32 v128, v119
	v_cmp_eq_u32_e32 vcc_lo, 0, v130
	s_delay_alu instid0(VALU_DEP_2) | instskip(NEXT) | instid1(VALU_DEP_1)
	v_min_u32_e32 v128, 32, v128
	v_subrev_nc_u32_e32 v129, 28, v128
	v_sub_nc_u32_e32 v128, 29, v128
	s_delay_alu instid0(VALU_DEP_2) | instskip(NEXT) | instid1(VALU_DEP_1)
	v_lshlrev_b32_e32 v129, v129, v116
	v_dual_cndmask_b32 v128, v130, v128 :: v_dual_and_b32 v129, 7, v129
	s_delay_alu instid0(VALU_DEP_1) | instskip(NEXT) | instid1(VALU_DEP_2)
	v_lshl_add_u32 v128, v128, 23, 0x3b800000
	v_cndmask_b32_e32 v119, v119, v129, vcc_lo
	v_and_b32_e32 v129, 0x80000000, v18
	s_delay_alu instid0(VALU_DEP_2) | instskip(NEXT) | instid1(VALU_DEP_1)
	v_lshlrev_b32_e32 v119, 20, v119
	v_or3_b32 v119, v129, v128, v119
.LBB4_239:                              ;   in Loop: Header=BB4_143 Depth=2
	s_or_b32 exec_lo, exec_lo, s26
	s_delay_alu instid0(VALU_DEP_1) | instskip(SKIP_1) | instid1(VALU_DEP_1)
	v_dual_max_f32 v119, v119, v119 :: v_dual_max_f32 v118, v118, v118
	s_mov_b32 s11, 0
	v_max_f32_e32 v118, v118, v119
	s_branch .LBB4_241
.LBB4_240:                              ;   in Loop: Header=BB4_143 Depth=2
	s_mov_b32 s11, -1
                                        ; implicit-def: $vgpr118
.LBB4_241:                              ;   in Loop: Header=BB4_143 Depth=2
	s_delay_alu instid0(SALU_CYCLE_1)
	s_and_b32 vcc_lo, exec_lo, s11
	s_cbranch_vccz .LBB4_251
; %bb.242:                              ;   in Loop: Header=BB4_143 Depth=2
	s_mov_b32 s11, 0
	s_mov_b32 s27, exec_lo
                                        ; implicit-def: $sgpr26
	v_cmpx_lt_i16_e32 0x7f, v117
	s_xor_b32 s27, exec_lo, s27
	s_cbranch_execnz .LBB4_1125
; %bb.243:                              ;   in Loop: Header=BB4_143 Depth=2
	s_or_saveexec_b32 s27, s27
	v_mov_b32_e32 v118, s26
	s_xor_b32 exec_lo, exec_lo, s27
	s_cbranch_execnz .LBB4_1128
.LBB4_244:                              ;   in Loop: Header=BB4_143 Depth=2
	s_or_b32 exec_lo, exec_lo, s27
	s_and_saveexec_b32 s26, s11
	s_cbranch_execz .LBB4_246
.LBB4_245:                              ;   in Loop: Header=BB4_143 Depth=2
	v_bfe_u32 v118, v22, 24, 3
	s_delay_alu instid0(VALU_DEP_1) | instskip(NEXT) | instid1(VALU_DEP_1)
	v_clz_i32_u32_e32 v119, v118
	v_min_u32_e32 v119, 32, v119
	s_delay_alu instid0(VALU_DEP_1) | instskip(SKIP_1) | instid1(VALU_DEP_2)
	v_subrev_nc_u32_e32 v128, 28, v119
	v_sub_nc_u32_e32 v119, 29, v119
	v_lshlrev_b32_e32 v117, v128, v117
	v_bfe_u32 v128, v22, 27, 4
	v_and_b32_e32 v22, 0x80000000, v22
	s_delay_alu instid0(VALU_DEP_3) | instskip(NEXT) | instid1(VALU_DEP_3)
	v_and_b32_e32 v117, 7, v117
	v_cmp_eq_u32_e32 vcc_lo, 0, v128
	v_cndmask_b32_e32 v119, v128, v119, vcc_lo
	s_delay_alu instid0(VALU_DEP_3) | instskip(NEXT) | instid1(VALU_DEP_2)
	v_cndmask_b32_e32 v117, v118, v117, vcc_lo
	v_lshl_add_u32 v118, v119, 23, 0x3b800000
	s_delay_alu instid0(VALU_DEP_2) | instskip(NEXT) | instid1(VALU_DEP_1)
	v_lshlrev_b32_e32 v117, 20, v117
	v_or3_b32 v118, v22, v118, v117
.LBB4_246:                              ;   in Loop: Header=BB4_143 Depth=2
	s_or_b32 exec_lo, exec_lo, s26
	s_mov_b32 s11, 0
	s_mov_b32 s27, exec_lo
                                        ; implicit-def: $sgpr26
	v_cmpx_lt_i16_e32 0x7f, v116
	s_xor_b32 s27, exec_lo, s27
	s_cbranch_execnz .LBB4_1129
; %bb.247:                              ;   in Loop: Header=BB4_143 Depth=2
	s_or_saveexec_b32 s27, s27
	v_mov_b32_e32 v22, s26
	s_xor_b32 exec_lo, exec_lo, s27
	s_cbranch_execnz .LBB4_1132
.LBB4_248:                              ;   in Loop: Header=BB4_143 Depth=2
	s_or_b32 exec_lo, exec_lo, s27
	s_and_saveexec_b32 s26, s11
	s_cbranch_execz .LBB4_250
.LBB4_249:                              ;   in Loop: Header=BB4_143 Depth=2
	v_bfe_u32 v22, v18, 24, 3
	s_delay_alu instid0(VALU_DEP_1) | instskip(NEXT) | instid1(VALU_DEP_1)
	v_clz_i32_u32_e32 v117, v22
	v_min_u32_e32 v117, 32, v117
	s_delay_alu instid0(VALU_DEP_1) | instskip(SKIP_1) | instid1(VALU_DEP_2)
	v_subrev_nc_u32_e32 v119, 28, v117
	v_sub_nc_u32_e32 v117, 29, v117
	v_lshlrev_b32_e32 v116, v119, v116
	v_bfe_u32 v119, v18, 27, 4
	v_and_b32_e32 v18, 0x80000000, v18
	s_delay_alu instid0(VALU_DEP_2) | instskip(NEXT) | instid1(VALU_DEP_4)
	v_cmp_eq_u32_e32 vcc_lo, 0, v119
	v_dual_cndmask_b32 v117, v119, v117 :: v_dual_and_b32 v116, 7, v116
	s_delay_alu instid0(VALU_DEP_1) | instskip(NEXT) | instid1(VALU_DEP_2)
	v_cndmask_b32_e32 v22, v22, v116, vcc_lo
	v_lshl_add_u32 v116, v117, 23, 0x3b800000
	s_delay_alu instid0(VALU_DEP_2) | instskip(NEXT) | instid1(VALU_DEP_1)
	v_lshlrev_b32_e32 v22, 20, v22
	v_or3_b32 v22, v18, v116, v22
.LBB4_250:                              ;   in Loop: Header=BB4_143 Depth=2
	s_or_b32 exec_lo, exec_lo, s26
	s_delay_alu instid0(VALU_DEP_1) | instskip(SKIP_1) | instid1(VALU_DEP_1)
	v_max_f32_e32 v18, v22, v22
	v_max_f32_e32 v22, v118, v118
	v_min_f32_e32 v118, v22, v18
.LBB4_251:                              ;   in Loop: Header=BB4_143 Depth=2
	s_delay_alu instid0(VALU_DEP_1) | instskip(NEXT) | instid1(VALU_DEP_1)
	v_and_b32_e32 v18, 0x7f800000, v118
	v_cmp_ne_u32_e32 vcc_lo, 0x7f800000, v18
	v_mov_b32_e32 v18, 0x80
	s_and_saveexec_b32 s26, vcc_lo
	s_cbranch_execz .LBB4_259
; %bb.252:                              ;   in Loop: Header=BB4_143 Depth=2
	v_mov_b32_e32 v18, 0
	s_mov_b32 s27, exec_lo
	v_cmpx_ne_u32_e32 0, v118
	s_cbranch_execz .LBB4_258
; %bb.253:                              ;   in Loop: Header=BB4_143 Depth=2
	v_bfe_u32 v18, v118, 23, 8
	v_and_b32_e32 v22, 0x7fffff, v118
	s_delay_alu instid0(VALU_DEP_2) | instskip(SKIP_1) | instid1(VALU_DEP_3)
	v_sub_nc_u32_e32 v116, 0x78, v18
	v_cmp_gt_u32_e32 vcc_lo, 0x79, v18
	v_or_b32_e32 v117, 0x800000, v22
	s_delay_alu instid0(VALU_DEP_3) | instskip(SKIP_2) | instid1(VALU_DEP_3)
	v_cndmask_b32_e32 v116, 0, v116, vcc_lo
	v_cmp_eq_u32_e32 vcc_lo, 0, v18
	v_add_nc_u32_e32 v18, 0xffffff89, v18
	v_cndmask_b32_e64 v116, v116, 0x77, vcc_lo
	v_cndmask_b32_e32 v22, v117, v22, vcc_lo
	s_delay_alu instid0(VALU_DEP_3) | instskip(NEXT) | instid1(VALU_DEP_3)
	v_cndmask_b32_e64 v18, v18, 0xffffff8a, vcc_lo
	v_lshl_add_u32 v117, 0x100000, v116, -1
	s_delay_alu instid0(VALU_DEP_3) | instskip(SKIP_1) | instid1(VALU_DEP_4)
	v_lshrrev_b32_e32 v119, v116, v22
	v_lshlrev_b32_e64 v129, v116, 0x80000
	v_add_nc_u32_e32 v116, v116, v18
	s_delay_alu instid0(VALU_DEP_4) | instskip(NEXT) | instid1(VALU_DEP_4)
	v_and_b32_e32 v22, v117, v22
	v_bfe_u32 v128, v119, 20, 1
	s_delay_alu instid0(VALU_DEP_2) | instskip(NEXT) | instid1(VALU_DEP_2)
	v_cmp_eq_u32_e64 s11, v22, v129
	v_add_nc_u32_e32 v117, -1, v128
	s_delay_alu instid0(VALU_DEP_1) | instskip(SKIP_2) | instid1(VALU_DEP_2)
	v_cndmask_b32_e64 v22, 0, v117, s11
	v_lshrrev_b32_e32 v117, 23, v119
	s_mov_b32 s11, exec_lo
	v_add_nc_u32_e32 v22, v22, v119
	s_delay_alu instid0(VALU_DEP_2) | instskip(NEXT) | instid1(VALU_DEP_2)
	v_xor_b32_e32 v117, 1, v117
	v_and_b32_e32 v18, 0xfffff, v22
	s_delay_alu instid0(VALU_DEP_1) | instskip(NEXT) | instid1(VALU_DEP_3)
	v_add_nc_u32_e32 v22, v18, v119
                                        ; implicit-def: $vgpr18
	v_cmpx_ne_u32_e64 v116, v117
	s_xor_b32 s11, exec_lo, s11
; %bb.254:                              ;   in Loop: Header=BB4_143 Depth=2
	s_delay_alu instid0(VALU_DEP_2) | instskip(SKIP_2) | instid1(VALU_DEP_2)
	v_cmp_lt_u32_e32 vcc_lo, 0xffffff, v22
	v_sub_nc_u32_e32 v18, v116, v117
	v_cndmask_b32_e64 v116, 0, 1, vcc_lo
	v_add_co_ci_u32_e32 v18, vcc_lo, 0, v18, vcc_lo
	s_delay_alu instid0(VALU_DEP_2)
	v_lshrrev_b32_e32 v22, v116, v22
; %bb.255:                              ;   in Loop: Header=BB4_143 Depth=2
	s_and_not1_saveexec_b32 s11, s11
; %bb.256:                              ;   in Loop: Header=BB4_143 Depth=2
	s_delay_alu instid0(VALU_DEP_1)
	v_bfe_u32 v18, v22, 23, 1
; %bb.257:                              ;   in Loop: Header=BB4_143 Depth=2
	s_or_b32 exec_lo, exec_lo, s11
	v_lshrrev_b32_e32 v22, 20, v22
	s_delay_alu instid0(VALU_DEP_2) | instskip(SKIP_2) | instid1(VALU_DEP_4)
	v_cmp_gt_i32_e32 vcc_lo, 16, v18
	v_lshrrev_b32_e32 v116, 24, v118
	v_min_i32_e32 v117, 15, v18
	v_cndmask_b32_e32 v22, 7, v22, vcc_lo
	s_delay_alu instid0(VALU_DEP_3) | instskip(NEXT) | instid1(VALU_DEP_3)
	v_and_b32_e32 v116, 0x80, v116
	v_lshlrev_b32_e32 v117, 3, v117
	s_delay_alu instid0(VALU_DEP_3) | instskip(SKIP_1) | instid1(VALU_DEP_2)
	v_and_b32_e32 v118, 7, v22
	v_or_b32_e32 v18, v18, v22
	v_or3_b32 v22, v117, v116, v118
	s_delay_alu instid0(VALU_DEP_2) | instskip(NEXT) | instid1(VALU_DEP_2)
	v_cmp_ne_u32_e32 vcc_lo, 0, v18
	v_cndmask_b32_e32 v18, 0, v22, vcc_lo
.LBB4_258:                              ;   in Loop: Header=BB4_143 Depth=2
	s_or_b32 exec_lo, exec_lo, s27
.LBB4_259:                              ;   in Loop: Header=BB4_143 Depth=2
	s_delay_alu instid0(SALU_CYCLE_1) | instskip(NEXT) | instid1(SALU_CYCLE_1)
	s_or_b32 exec_lo, exec_lo, s26
	s_and_b32 vcc_lo, exec_lo, s25
	s_cbranch_vccz .LBB4_269
; %bb.260:                              ;   in Loop: Header=BB4_143 Depth=2
	v_and_b32_e32 v116, 0xff, v23
	s_mov_b32 s11, 0
	s_mov_b32 s27, exec_lo
                                        ; implicit-def: $sgpr26
	s_delay_alu instid0(VALU_DEP_1)
	v_cmpx_lt_i16_e32 0x7f, v116
	s_xor_b32 s27, exec_lo, s27
	s_cbranch_execnz .LBB4_1133
; %bb.261:                              ;   in Loop: Header=BB4_143 Depth=2
	s_or_saveexec_b32 s27, s27
	v_mov_b32_e32 v22, s26
	s_xor_b32 exec_lo, exec_lo, s27
	s_cbranch_execnz .LBB4_1136
.LBB4_262:                              ;   in Loop: Header=BB4_143 Depth=2
	s_or_b32 exec_lo, exec_lo, s27
	s_and_saveexec_b32 s26, s11
	s_cbranch_execz .LBB4_264
.LBB4_263:                              ;   in Loop: Header=BB4_143 Depth=2
	v_and_b32_e32 v22, 7, v23
	v_bfe_u32 v118, v23, 3, 4
	s_delay_alu instid0(VALU_DEP_2) | instskip(NEXT) | instid1(VALU_DEP_2)
	v_clz_i32_u32_e32 v116, v22
	v_cmp_eq_u32_e32 vcc_lo, 0, v118
	s_delay_alu instid0(VALU_DEP_2) | instskip(NEXT) | instid1(VALU_DEP_1)
	v_min_u32_e32 v116, 32, v116
	v_subrev_nc_u32_e32 v117, 28, v116
	v_sub_nc_u32_e32 v116, 29, v116
	s_delay_alu instid0(VALU_DEP_1) | instskip(NEXT) | instid1(VALU_DEP_1)
	v_dual_cndmask_b32 v116, v118, v116 :: v_dual_lshlrev_b32 v117, v117, v23
	v_and_b32_e32 v117, 7, v117
	v_lshlrev_b32_e32 v119, 24, v23
	s_delay_alu instid0(VALU_DEP_3) | instskip(NEXT) | instid1(VALU_DEP_2)
	v_lshl_add_u32 v116, v116, 23, 0x3b800000
	v_dual_cndmask_b32 v22, v22, v117 :: v_dual_and_b32 v117, 0x80000000, v119
	s_delay_alu instid0(VALU_DEP_1) | instskip(NEXT) | instid1(VALU_DEP_1)
	v_lshlrev_b32_e32 v22, 20, v22
	v_or3_b32 v22, v117, v116, v22
.LBB4_264:                              ;   in Loop: Header=BB4_143 Depth=2
	s_or_b32 exec_lo, exec_lo, s26
	v_and_b32_e32 v117, 0xff, v19
	s_mov_b32 s11, 0
	s_mov_b32 s27, exec_lo
                                        ; implicit-def: $sgpr26
	s_delay_alu instid0(VALU_DEP_1)
	v_cmpx_lt_i16_e32 0x7f, v117
	s_xor_b32 s27, exec_lo, s27
	s_cbranch_execnz .LBB4_1137
; %bb.265:                              ;   in Loop: Header=BB4_143 Depth=2
	s_or_saveexec_b32 s27, s27
	v_mov_b32_e32 v116, s26
	s_xor_b32 exec_lo, exec_lo, s27
	s_cbranch_execnz .LBB4_1140
.LBB4_266:                              ;   in Loop: Header=BB4_143 Depth=2
	s_or_b32 exec_lo, exec_lo, s27
	s_and_saveexec_b32 s26, s11
	s_cbranch_execz .LBB4_268
.LBB4_267:                              ;   in Loop: Header=BB4_143 Depth=2
	v_bfe_u32 v119, v19, 3, 4
	v_lshlrev_b32_e32 v128, 24, v19
	s_delay_alu instid0(VALU_DEP_2) | instskip(SKIP_1) | instid1(VALU_DEP_1)
	v_cmp_eq_u32_e32 vcc_lo, 0, v119
	v_and_b32_e32 v116, 7, v19
	v_clz_i32_u32_e32 v117, v116
	s_delay_alu instid0(VALU_DEP_1) | instskip(NEXT) | instid1(VALU_DEP_1)
	v_min_u32_e32 v117, 32, v117
	v_subrev_nc_u32_e32 v118, 28, v117
	v_sub_nc_u32_e32 v117, 29, v117
	s_delay_alu instid0(VALU_DEP_1) | instskip(NEXT) | instid1(VALU_DEP_1)
	v_dual_cndmask_b32 v117, v119, v117 :: v_dual_lshlrev_b32 v118, v118, v19
	v_and_b32_e32 v118, 7, v118
	s_delay_alu instid0(VALU_DEP_2) | instskip(NEXT) | instid1(VALU_DEP_2)
	v_lshl_add_u32 v117, v117, 23, 0x3b800000
	v_cndmask_b32_e32 v116, v116, v118, vcc_lo
	v_and_b32_e32 v118, 0x80000000, v128
	s_delay_alu instid0(VALU_DEP_2) | instskip(NEXT) | instid1(VALU_DEP_1)
	v_lshlrev_b32_e32 v116, 20, v116
	v_or3_b32 v116, v118, v117, v116
.LBB4_268:                              ;   in Loop: Header=BB4_143 Depth=2
	s_or_b32 exec_lo, exec_lo, s26
	s_delay_alu instid0(VALU_DEP_1) | instskip(SKIP_2) | instid1(VALU_DEP_1)
	v_max_f32_e32 v116, v116, v116
	v_max_f32_e32 v22, v22, v22
	s_mov_b32 s11, 0
	v_max_f32_e32 v116, v22, v116
	s_branch .LBB4_270
.LBB4_269:                              ;   in Loop: Header=BB4_143 Depth=2
	s_mov_b32 s11, -1
                                        ; implicit-def: $vgpr116
.LBB4_270:                              ;   in Loop: Header=BB4_143 Depth=2
	s_delay_alu instid0(SALU_CYCLE_1)
	s_and_b32 vcc_lo, exec_lo, s11
	s_cbranch_vccz .LBB4_280
; %bb.271:                              ;   in Loop: Header=BB4_143 Depth=2
	v_and_b32_e32 v116, 0xff, v23
	s_mov_b32 s11, 0
	s_mov_b32 s27, exec_lo
                                        ; implicit-def: $sgpr26
	s_delay_alu instid0(VALU_DEP_1)
	v_cmpx_lt_i16_e32 0x7f, v116
	s_xor_b32 s27, exec_lo, s27
	s_cbranch_execnz .LBB4_1141
; %bb.272:                              ;   in Loop: Header=BB4_143 Depth=2
	s_or_saveexec_b32 s27, s27
	v_mov_b32_e32 v22, s26
	s_xor_b32 exec_lo, exec_lo, s27
	s_cbranch_execnz .LBB4_1144
.LBB4_273:                              ;   in Loop: Header=BB4_143 Depth=2
	s_or_b32 exec_lo, exec_lo, s27
	s_and_saveexec_b32 s26, s11
	s_cbranch_execz .LBB4_275
.LBB4_274:                              ;   in Loop: Header=BB4_143 Depth=2
	v_and_b32_e32 v22, 7, v23
	v_bfe_u32 v118, v23, 3, 4
	s_delay_alu instid0(VALU_DEP_2) | instskip(NEXT) | instid1(VALU_DEP_2)
	v_clz_i32_u32_e32 v116, v22
	v_cmp_eq_u32_e32 vcc_lo, 0, v118
	s_delay_alu instid0(VALU_DEP_2) | instskip(NEXT) | instid1(VALU_DEP_1)
	v_min_u32_e32 v116, 32, v116
	v_subrev_nc_u32_e32 v117, 28, v116
	v_sub_nc_u32_e32 v116, 29, v116
	s_delay_alu instid0(VALU_DEP_1) | instskip(NEXT) | instid1(VALU_DEP_1)
	v_dual_cndmask_b32 v116, v118, v116 :: v_dual_lshlrev_b32 v117, v117, v23
	v_and_b32_e32 v117, 7, v117
	v_lshlrev_b32_e32 v119, 24, v23
	s_delay_alu instid0(VALU_DEP_3) | instskip(NEXT) | instid1(VALU_DEP_2)
	v_lshl_add_u32 v116, v116, 23, 0x3b800000
	v_dual_cndmask_b32 v22, v22, v117 :: v_dual_and_b32 v117, 0x80000000, v119
	s_delay_alu instid0(VALU_DEP_1) | instskip(NEXT) | instid1(VALU_DEP_1)
	v_lshlrev_b32_e32 v22, 20, v22
	v_or3_b32 v22, v117, v116, v22
.LBB4_275:                              ;   in Loop: Header=BB4_143 Depth=2
	s_or_b32 exec_lo, exec_lo, s26
	v_and_b32_e32 v117, 0xff, v19
	s_mov_b32 s11, 0
	s_mov_b32 s27, exec_lo
                                        ; implicit-def: $sgpr26
	s_delay_alu instid0(VALU_DEP_1)
	v_cmpx_lt_i16_e32 0x7f, v117
	s_xor_b32 s27, exec_lo, s27
	s_cbranch_execnz .LBB4_1145
; %bb.276:                              ;   in Loop: Header=BB4_143 Depth=2
	s_or_saveexec_b32 s27, s27
	v_mov_b32_e32 v116, s26
	s_xor_b32 exec_lo, exec_lo, s27
	s_cbranch_execnz .LBB4_1148
.LBB4_277:                              ;   in Loop: Header=BB4_143 Depth=2
	s_or_b32 exec_lo, exec_lo, s27
	s_and_saveexec_b32 s26, s11
	s_cbranch_execz .LBB4_279
.LBB4_278:                              ;   in Loop: Header=BB4_143 Depth=2
	v_bfe_u32 v119, v19, 3, 4
	v_lshlrev_b32_e32 v128, 24, v19
	s_delay_alu instid0(VALU_DEP_2) | instskip(SKIP_1) | instid1(VALU_DEP_1)
	v_cmp_eq_u32_e32 vcc_lo, 0, v119
	v_and_b32_e32 v116, 7, v19
	v_clz_i32_u32_e32 v117, v116
	s_delay_alu instid0(VALU_DEP_1) | instskip(NEXT) | instid1(VALU_DEP_1)
	v_min_u32_e32 v117, 32, v117
	v_subrev_nc_u32_e32 v118, 28, v117
	v_sub_nc_u32_e32 v117, 29, v117
	s_delay_alu instid0(VALU_DEP_1) | instskip(NEXT) | instid1(VALU_DEP_1)
	v_dual_cndmask_b32 v117, v119, v117 :: v_dual_lshlrev_b32 v118, v118, v19
	v_and_b32_e32 v118, 7, v118
	s_delay_alu instid0(VALU_DEP_2) | instskip(NEXT) | instid1(VALU_DEP_2)
	v_lshl_add_u32 v117, v117, 23, 0x3b800000
	v_cndmask_b32_e32 v116, v116, v118, vcc_lo
	v_and_b32_e32 v118, 0x80000000, v128
	s_delay_alu instid0(VALU_DEP_2) | instskip(NEXT) | instid1(VALU_DEP_1)
	v_lshlrev_b32_e32 v116, 20, v116
	v_or3_b32 v116, v118, v117, v116
.LBB4_279:                              ;   in Loop: Header=BB4_143 Depth=2
	s_or_b32 exec_lo, exec_lo, s26
	s_delay_alu instid0(VALU_DEP_1) | instskip(SKIP_1) | instid1(VALU_DEP_1)
	v_max_f32_e32 v116, v116, v116
	v_max_f32_e32 v22, v22, v22
	v_min_f32_e32 v116, v22, v116
.LBB4_280:                              ;   in Loop: Header=BB4_143 Depth=2
	s_delay_alu instid0(VALU_DEP_1) | instskip(NEXT) | instid1(VALU_DEP_1)
	v_and_b32_e32 v22, 0x7f800000, v116
	v_cmp_ne_u32_e32 vcc_lo, 0x7f800000, v22
	v_mov_b32_e32 v22, 0x80
	s_and_saveexec_b32 s26, vcc_lo
	s_cbranch_execz .LBB4_288
; %bb.281:                              ;   in Loop: Header=BB4_143 Depth=2
	v_mov_b32_e32 v22, 0
	s_mov_b32 s27, exec_lo
	v_cmpx_ne_u32_e32 0, v116
	s_cbranch_execz .LBB4_287
; %bb.282:                              ;   in Loop: Header=BB4_143 Depth=2
	v_bfe_u32 v22, v116, 23, 8
	s_delay_alu instid0(VALU_DEP_1) | instskip(SKIP_1) | instid1(VALU_DEP_2)
	v_sub_nc_u32_e32 v118, 0x78, v22
	v_cmp_gt_u32_e32 vcc_lo, 0x79, v22
	v_dual_cndmask_b32 v118, 0, v118 :: v_dual_and_b32 v117, 0x7fffff, v116
	s_delay_alu instid0(VALU_DEP_1) | instskip(SKIP_2) | instid1(VALU_DEP_4)
	v_or_b32_e32 v119, 0x800000, v117
	v_cmp_eq_u32_e32 vcc_lo, 0, v22
	v_add_nc_u32_e32 v22, 0xffffff89, v22
	v_cndmask_b32_e64 v118, v118, 0x77, vcc_lo
	s_delay_alu instid0(VALU_DEP_4) | instskip(NEXT) | instid1(VALU_DEP_3)
	v_cndmask_b32_e32 v117, v119, v117, vcc_lo
	v_cndmask_b32_e64 v22, v22, 0xffffff8a, vcc_lo
	s_delay_alu instid0(VALU_DEP_3) | instskip(NEXT) | instid1(VALU_DEP_3)
	v_lshl_add_u32 v119, 0x100000, v118, -1
	v_lshrrev_b32_e32 v128, v118, v117
	v_lshlrev_b32_e64 v130, v118, 0x80000
	s_delay_alu instid0(VALU_DEP_4) | instskip(NEXT) | instid1(VALU_DEP_4)
	v_add_nc_u32_e32 v118, v118, v22
	v_and_b32_e32 v117, v119, v117
	s_delay_alu instid0(VALU_DEP_4) | instskip(NEXT) | instid1(VALU_DEP_2)
	v_bfe_u32 v129, v128, 20, 1
	v_cmp_eq_u32_e64 s11, v117, v130
	s_delay_alu instid0(VALU_DEP_2) | instskip(NEXT) | instid1(VALU_DEP_1)
	v_add_nc_u32_e32 v119, -1, v129
	v_cndmask_b32_e64 v117, 0, v119, s11
	v_lshrrev_b32_e32 v119, 23, v128
	s_mov_b32 s11, exec_lo
	s_delay_alu instid0(VALU_DEP_2) | instskip(NEXT) | instid1(VALU_DEP_2)
	v_add_nc_u32_e32 v117, v117, v128
	v_xor_b32_e32 v119, 1, v119
	s_delay_alu instid0(VALU_DEP_2) | instskip(NEXT) | instid1(VALU_DEP_1)
	v_and_b32_e32 v22, 0xfffff, v117
	v_add_nc_u32_e32 v117, v22, v128
                                        ; implicit-def: $vgpr22
	s_delay_alu instid0(VALU_DEP_3)
	v_cmpx_ne_u32_e64 v118, v119
	s_xor_b32 s11, exec_lo, s11
; %bb.283:                              ;   in Loop: Header=BB4_143 Depth=2
	s_delay_alu instid0(VALU_DEP_2) | instskip(SKIP_2) | instid1(VALU_DEP_2)
	v_cmp_lt_u32_e32 vcc_lo, 0xffffff, v117
	v_sub_nc_u32_e32 v22, v118, v119
	v_cndmask_b32_e64 v118, 0, 1, vcc_lo
	v_add_co_ci_u32_e32 v22, vcc_lo, 0, v22, vcc_lo
	s_delay_alu instid0(VALU_DEP_2)
	v_lshrrev_b32_e32 v117, v118, v117
; %bb.284:                              ;   in Loop: Header=BB4_143 Depth=2
	s_and_not1_saveexec_b32 s11, s11
; %bb.285:                              ;   in Loop: Header=BB4_143 Depth=2
	s_delay_alu instid0(VALU_DEP_1)
	v_bfe_u32 v22, v117, 23, 1
; %bb.286:                              ;   in Loop: Header=BB4_143 Depth=2
	s_or_b32 exec_lo, exec_lo, s11
	v_lshrrev_b32_e32 v117, 20, v117
	s_delay_alu instid0(VALU_DEP_2) | instskip(SKIP_2) | instid1(VALU_DEP_2)
	v_cmp_gt_i32_e32 vcc_lo, 16, v22
	v_lshrrev_b32_e32 v116, 24, v116
	v_min_i32_e32 v118, 15, v22
	v_dual_cndmask_b32 v117, 7, v117 :: v_dual_and_b32 v116, 0x80, v116
	s_delay_alu instid0(VALU_DEP_2) | instskip(NEXT) | instid1(VALU_DEP_2)
	v_lshlrev_b32_e32 v118, 3, v118
	v_or_b32_e32 v22, v22, v117
	s_delay_alu instid0(VALU_DEP_1) | instskip(SKIP_1) | instid1(VALU_DEP_1)
	v_cmp_ne_u32_e32 vcc_lo, 0, v22
	v_and_b32_e32 v119, 7, v117
	v_or3_b32 v116, v118, v116, v119
	s_delay_alu instid0(VALU_DEP_1)
	v_cndmask_b32_e32 v22, 0, v116, vcc_lo
.LBB4_287:                              ;   in Loop: Header=BB4_143 Depth=2
	s_or_b32 exec_lo, exec_lo, s27
.LBB4_288:                              ;   in Loop: Header=BB4_143 Depth=2
	s_delay_alu instid0(SALU_CYCLE_1)
	s_or_b32 exec_lo, exec_lo, s26
	v_lshrrev_b16 v117, 8, v23
	v_lshrrev_b16 v116, 8, v19
	s_and_b32 vcc_lo, exec_lo, s25
	s_cbranch_vccz .LBB4_298
; %bb.289:                              ;   in Loop: Header=BB4_143 Depth=2
	s_mov_b32 s11, 0
	s_mov_b32 s27, exec_lo
                                        ; implicit-def: $sgpr26
	v_cmpx_lt_i16_e32 0x7f, v117
	s_xor_b32 s27, exec_lo, s27
	s_cbranch_execnz .LBB4_1149
; %bb.290:                              ;   in Loop: Header=BB4_143 Depth=2
	s_or_saveexec_b32 s27, s27
	v_mov_b32_e32 v118, s26
	s_xor_b32 exec_lo, exec_lo, s27
	s_cbranch_execnz .LBB4_1152
.LBB4_291:                              ;   in Loop: Header=BB4_143 Depth=2
	s_or_b32 exec_lo, exec_lo, s27
	s_and_saveexec_b32 s26, s11
	s_cbranch_execz .LBB4_293
.LBB4_292:                              ;   in Loop: Header=BB4_143 Depth=2
	v_and_b32_e32 v118, 0xffff, v117
	s_delay_alu instid0(VALU_DEP_1) | instskip(NEXT) | instid1(VALU_DEP_1)
	v_and_b32_e32 v119, 7, v118
	v_clz_i32_u32_e32 v128, v119
	s_delay_alu instid0(VALU_DEP_1) | instskip(NEXT) | instid1(VALU_DEP_1)
	v_min_u32_e32 v128, 32, v128
	v_subrev_nc_u32_e32 v129, 28, v128
	v_sub_nc_u32_e32 v128, 29, v128
	s_delay_alu instid0(VALU_DEP_2) | instskip(SKIP_1) | instid1(VALU_DEP_2)
	v_lshlrev_b32_e32 v129, v129, v118
	v_bfe_u32 v118, v118, 3, 4
	v_and_b32_e32 v129, 7, v129
	s_delay_alu instid0(VALU_DEP_2) | instskip(SKIP_1) | instid1(VALU_DEP_3)
	v_cmp_eq_u32_e32 vcc_lo, 0, v118
	v_cndmask_b32_e32 v118, v118, v128, vcc_lo
	v_dual_cndmask_b32 v119, v119, v129 :: v_dual_lshlrev_b32 v130, 16, v23
	s_delay_alu instid0(VALU_DEP_2) | instskip(NEXT) | instid1(VALU_DEP_2)
	v_lshl_add_u32 v118, v118, 23, 0x3b800000
	v_and_b32_e32 v128, 0x80000000, v130
	s_delay_alu instid0(VALU_DEP_3) | instskip(NEXT) | instid1(VALU_DEP_1)
	v_lshlrev_b32_e32 v119, 20, v119
	v_or3_b32 v118, v128, v118, v119
.LBB4_293:                              ;   in Loop: Header=BB4_143 Depth=2
	s_or_b32 exec_lo, exec_lo, s26
	s_mov_b32 s11, 0
	s_mov_b32 s27, exec_lo
                                        ; implicit-def: $sgpr26
	v_cmpx_lt_i16_e32 0x7f, v116
	s_xor_b32 s27, exec_lo, s27
	s_cbranch_execnz .LBB4_1153
; %bb.294:                              ;   in Loop: Header=BB4_143 Depth=2
	s_or_saveexec_b32 s27, s27
	v_mov_b32_e32 v119, s26
	s_xor_b32 exec_lo, exec_lo, s27
	s_cbranch_execnz .LBB4_1156
.LBB4_295:                              ;   in Loop: Header=BB4_143 Depth=2
	s_or_b32 exec_lo, exec_lo, s27
	s_and_saveexec_b32 s26, s11
	s_cbranch_execz .LBB4_297
.LBB4_296:                              ;   in Loop: Header=BB4_143 Depth=2
	v_and_b32_e32 v119, 0xffff, v116
	v_lshlrev_b32_e32 v131, 16, v19
	s_delay_alu instid0(VALU_DEP_2) | instskip(NEXT) | instid1(VALU_DEP_1)
	v_and_b32_e32 v128, 7, v119
	v_clz_i32_u32_e32 v129, v128
	s_delay_alu instid0(VALU_DEP_1) | instskip(NEXT) | instid1(VALU_DEP_1)
	v_min_u32_e32 v129, 32, v129
	v_subrev_nc_u32_e32 v130, 28, v129
	v_sub_nc_u32_e32 v129, 29, v129
	s_delay_alu instid0(VALU_DEP_2) | instskip(SKIP_1) | instid1(VALU_DEP_2)
	v_lshlrev_b32_e32 v130, v130, v119
	v_bfe_u32 v119, v119, 3, 4
	v_and_b32_e32 v130, 7, v130
	s_delay_alu instid0(VALU_DEP_2) | instskip(NEXT) | instid1(VALU_DEP_2)
	v_cmp_eq_u32_e32 vcc_lo, 0, v119
	v_dual_cndmask_b32 v119, v119, v129 :: v_dual_cndmask_b32 v128, v128, v130
	v_and_b32_e32 v129, 0x80000000, v131
	s_delay_alu instid0(VALU_DEP_2) | instskip(NEXT) | instid1(VALU_DEP_3)
	v_lshl_add_u32 v119, v119, 23, 0x3b800000
	v_lshlrev_b32_e32 v128, 20, v128
	s_delay_alu instid0(VALU_DEP_1)
	v_or3_b32 v119, v129, v119, v128
.LBB4_297:                              ;   in Loop: Header=BB4_143 Depth=2
	s_or_b32 exec_lo, exec_lo, s26
	s_delay_alu instid0(VALU_DEP_1) | instskip(SKIP_1) | instid1(VALU_DEP_1)
	v_dual_max_f32 v119, v119, v119 :: v_dual_max_f32 v118, v118, v118
	s_mov_b32 s11, 0
	v_max_f32_e32 v118, v118, v119
	s_branch .LBB4_299
.LBB4_298:                              ;   in Loop: Header=BB4_143 Depth=2
	s_mov_b32 s11, -1
                                        ; implicit-def: $vgpr118
.LBB4_299:                              ;   in Loop: Header=BB4_143 Depth=2
	s_delay_alu instid0(SALU_CYCLE_1)
	s_and_b32 vcc_lo, exec_lo, s11
	s_cbranch_vccz .LBB4_309
; %bb.300:                              ;   in Loop: Header=BB4_143 Depth=2
	s_mov_b32 s11, 0
	s_mov_b32 s27, exec_lo
                                        ; implicit-def: $sgpr26
	v_cmpx_lt_i16_e32 0x7f, v117
	s_xor_b32 s27, exec_lo, s27
	s_cbranch_execnz .LBB4_1157
; %bb.301:                              ;   in Loop: Header=BB4_143 Depth=2
	s_or_saveexec_b32 s27, s27
	v_mov_b32_e32 v118, s26
	s_xor_b32 exec_lo, exec_lo, s27
	s_cbranch_execnz .LBB4_1160
.LBB4_302:                              ;   in Loop: Header=BB4_143 Depth=2
	s_or_b32 exec_lo, exec_lo, s27
	s_and_saveexec_b32 s26, s11
	s_cbranch_execz .LBB4_304
.LBB4_303:                              ;   in Loop: Header=BB4_143 Depth=2
	v_and_b32_e32 v117, 0xffff, v117
	v_lshlrev_b32_e32 v129, 16, v23
	s_delay_alu instid0(VALU_DEP_2) | instskip(NEXT) | instid1(VALU_DEP_1)
	v_and_b32_e32 v118, 7, v117
	v_clz_i32_u32_e32 v119, v118
	s_delay_alu instid0(VALU_DEP_1) | instskip(NEXT) | instid1(VALU_DEP_1)
	v_min_u32_e32 v119, 32, v119
	v_subrev_nc_u32_e32 v128, 28, v119
	v_sub_nc_u32_e32 v119, 29, v119
	s_delay_alu instid0(VALU_DEP_2) | instskip(SKIP_1) | instid1(VALU_DEP_2)
	v_lshlrev_b32_e32 v128, v128, v117
	v_bfe_u32 v117, v117, 3, 4
	v_and_b32_e32 v128, 7, v128
	s_delay_alu instid0(VALU_DEP_2) | instskip(NEXT) | instid1(VALU_DEP_2)
	v_cmp_eq_u32_e32 vcc_lo, 0, v117
	v_dual_cndmask_b32 v117, v117, v119 :: v_dual_cndmask_b32 v118, v118, v128
	v_and_b32_e32 v119, 0x80000000, v129
	s_delay_alu instid0(VALU_DEP_2) | instskip(NEXT) | instid1(VALU_DEP_3)
	v_lshl_add_u32 v117, v117, 23, 0x3b800000
	v_lshlrev_b32_e32 v118, 20, v118
	s_delay_alu instid0(VALU_DEP_1)
	v_or3_b32 v118, v119, v117, v118
.LBB4_304:                              ;   in Loop: Header=BB4_143 Depth=2
	s_or_b32 exec_lo, exec_lo, s26
	s_mov_b32 s11, 0
	s_mov_b32 s27, exec_lo
                                        ; implicit-def: $sgpr26
	v_cmpx_lt_i16_e32 0x7f, v116
	s_xor_b32 s27, exec_lo, s27
	s_cbranch_execnz .LBB4_1161
; %bb.305:                              ;   in Loop: Header=BB4_143 Depth=2
	s_or_saveexec_b32 s27, s27
	v_mov_b32_e32 v117, s26
	s_xor_b32 exec_lo, exec_lo, s27
	s_cbranch_execnz .LBB4_1164
.LBB4_306:                              ;   in Loop: Header=BB4_143 Depth=2
	s_or_b32 exec_lo, exec_lo, s27
	s_and_saveexec_b32 s26, s11
	s_cbranch_execz .LBB4_308
.LBB4_307:                              ;   in Loop: Header=BB4_143 Depth=2
	v_and_b32_e32 v116, 0xffff, v116
	v_lshlrev_b32_e32 v129, 16, v19
	s_delay_alu instid0(VALU_DEP_2) | instskip(NEXT) | instid1(VALU_DEP_1)
	v_and_b32_e32 v117, 7, v116
	v_clz_i32_u32_e32 v119, v117
	s_delay_alu instid0(VALU_DEP_1) | instskip(NEXT) | instid1(VALU_DEP_1)
	v_min_u32_e32 v119, 32, v119
	v_subrev_nc_u32_e32 v128, 28, v119
	v_sub_nc_u32_e32 v119, 29, v119
	s_delay_alu instid0(VALU_DEP_2) | instskip(SKIP_1) | instid1(VALU_DEP_2)
	v_lshlrev_b32_e32 v128, v128, v116
	v_bfe_u32 v116, v116, 3, 4
	v_and_b32_e32 v128, 7, v128
	s_delay_alu instid0(VALU_DEP_2) | instskip(NEXT) | instid1(VALU_DEP_2)
	v_cmp_eq_u32_e32 vcc_lo, 0, v116
	v_dual_cndmask_b32 v116, v116, v119 :: v_dual_cndmask_b32 v117, v117, v128
	v_and_b32_e32 v119, 0x80000000, v129
	s_delay_alu instid0(VALU_DEP_2) | instskip(NEXT) | instid1(VALU_DEP_3)
	v_lshl_add_u32 v116, v116, 23, 0x3b800000
	v_lshlrev_b32_e32 v117, 20, v117
	s_delay_alu instid0(VALU_DEP_1)
	v_or3_b32 v117, v119, v116, v117
.LBB4_308:                              ;   in Loop: Header=BB4_143 Depth=2
	s_or_b32 exec_lo, exec_lo, s26
	s_delay_alu instid0(VALU_DEP_1) | instskip(NEXT) | instid1(VALU_DEP_1)
	v_dual_max_f32 v116, v117, v117 :: v_dual_max_f32 v117, v118, v118
	v_min_f32_e32 v118, v117, v116
.LBB4_309:                              ;   in Loop: Header=BB4_143 Depth=2
	s_delay_alu instid0(VALU_DEP_1) | instskip(NEXT) | instid1(VALU_DEP_1)
	v_and_b32_e32 v116, 0x7f800000, v118
	v_cmp_ne_u32_e32 vcc_lo, 0x7f800000, v116
	v_mov_b32_e32 v116, 0x80
	s_and_saveexec_b32 s26, vcc_lo
	s_cbranch_execz .LBB4_317
; %bb.310:                              ;   in Loop: Header=BB4_143 Depth=2
	v_mov_b32_e32 v116, 0
	s_mov_b32 s27, exec_lo
	v_cmpx_ne_u32_e32 0, v118
	s_cbranch_execz .LBB4_316
; %bb.311:                              ;   in Loop: Header=BB4_143 Depth=2
	v_bfe_u32 v116, v118, 23, 8
	v_and_b32_e32 v117, 0x7fffff, v118
	s_delay_alu instid0(VALU_DEP_2) | instskip(SKIP_1) | instid1(VALU_DEP_3)
	v_sub_nc_u32_e32 v119, 0x78, v116
	v_cmp_gt_u32_e32 vcc_lo, 0x79, v116
	v_or_b32_e32 v128, 0x800000, v117
	s_delay_alu instid0(VALU_DEP_3) | instskip(SKIP_2) | instid1(VALU_DEP_3)
	v_cndmask_b32_e32 v119, 0, v119, vcc_lo
	v_cmp_eq_u32_e32 vcc_lo, 0, v116
	v_add_nc_u32_e32 v116, 0xffffff89, v116
	v_cndmask_b32_e64 v119, v119, 0x77, vcc_lo
	v_cndmask_b32_e32 v117, v128, v117, vcc_lo
	s_delay_alu instid0(VALU_DEP_3) | instskip(NEXT) | instid1(VALU_DEP_3)
	v_cndmask_b32_e64 v116, v116, 0xffffff8a, vcc_lo
	v_lshl_add_u32 v128, 0x100000, v119, -1
	s_delay_alu instid0(VALU_DEP_3) | instskip(SKIP_1) | instid1(VALU_DEP_4)
	v_lshrrev_b32_e32 v129, v119, v117
	v_lshlrev_b32_e64 v131, v119, 0x80000
	v_add_nc_u32_e32 v119, v119, v116
	s_delay_alu instid0(VALU_DEP_4) | instskip(NEXT) | instid1(VALU_DEP_4)
	v_and_b32_e32 v117, v128, v117
	v_bfe_u32 v130, v129, 20, 1
	s_delay_alu instid0(VALU_DEP_2) | instskip(NEXT) | instid1(VALU_DEP_2)
	v_cmp_eq_u32_e64 s11, v117, v131
	v_add_nc_u32_e32 v128, -1, v130
	s_delay_alu instid0(VALU_DEP_1) | instskip(SKIP_2) | instid1(VALU_DEP_2)
	v_cndmask_b32_e64 v117, 0, v128, s11
	v_lshrrev_b32_e32 v128, 23, v129
	s_mov_b32 s11, exec_lo
	v_add_nc_u32_e32 v117, v117, v129
	s_delay_alu instid0(VALU_DEP_2) | instskip(NEXT) | instid1(VALU_DEP_2)
	v_xor_b32_e32 v128, 1, v128
	v_and_b32_e32 v116, 0xfffff, v117
	s_delay_alu instid0(VALU_DEP_1) | instskip(NEXT) | instid1(VALU_DEP_3)
	v_add_nc_u32_e32 v117, v116, v129
                                        ; implicit-def: $vgpr116
	v_cmpx_ne_u32_e64 v119, v128
	s_xor_b32 s11, exec_lo, s11
; %bb.312:                              ;   in Loop: Header=BB4_143 Depth=2
	s_delay_alu instid0(VALU_DEP_2) | instskip(SKIP_2) | instid1(VALU_DEP_2)
	v_cmp_lt_u32_e32 vcc_lo, 0xffffff, v117
	v_sub_nc_u32_e32 v116, v119, v128
	v_cndmask_b32_e64 v119, 0, 1, vcc_lo
	v_add_co_ci_u32_e32 v116, vcc_lo, 0, v116, vcc_lo
	s_delay_alu instid0(VALU_DEP_2)
	v_lshrrev_b32_e32 v117, v119, v117
; %bb.313:                              ;   in Loop: Header=BB4_143 Depth=2
	s_and_not1_saveexec_b32 s11, s11
; %bb.314:                              ;   in Loop: Header=BB4_143 Depth=2
	s_delay_alu instid0(VALU_DEP_1)
	v_bfe_u32 v116, v117, 23, 1
; %bb.315:                              ;   in Loop: Header=BB4_143 Depth=2
	s_or_b32 exec_lo, exec_lo, s11
	v_lshrrev_b32_e32 v117, 20, v117
	s_delay_alu instid0(VALU_DEP_2) | instskip(SKIP_2) | instid1(VALU_DEP_2)
	v_cmp_gt_i32_e32 vcc_lo, 16, v116
	v_lshrrev_b32_e32 v118, 24, v118
	v_min_i32_e32 v119, 15, v116
	v_dual_cndmask_b32 v117, 7, v117 :: v_dual_and_b32 v118, 0x80, v118
	s_delay_alu instid0(VALU_DEP_1) | instskip(SKIP_1) | instid1(VALU_DEP_2)
	v_or_b32_e32 v116, v116, v117
	v_and_b32_e32 v128, 7, v117
	v_cmp_ne_u32_e32 vcc_lo, 0, v116
	v_lshlrev_b32_e32 v119, 3, v119
	s_delay_alu instid0(VALU_DEP_1) | instskip(NEXT) | instid1(VALU_DEP_1)
	v_or3_b32 v117, v119, v118, v128
	v_cndmask_b32_e32 v116, 0, v117, vcc_lo
.LBB4_316:                              ;   in Loop: Header=BB4_143 Depth=2
	s_or_b32 exec_lo, exec_lo, s27
.LBB4_317:                              ;   in Loop: Header=BB4_143 Depth=2
	s_delay_alu instid0(SALU_CYCLE_1)
	s_or_b32 exec_lo, exec_lo, s26
	v_lshrrev_b32_e32 v118, 16, v23
	v_lshrrev_b32_e32 v117, 16, v19
	s_and_b32 vcc_lo, exec_lo, s25
	s_cbranch_vccz .LBB4_327
; %bb.318:                              ;   in Loop: Header=BB4_143 Depth=2
	s_delay_alu instid0(VALU_DEP_2) | instskip(SKIP_2) | instid1(VALU_DEP_1)
	v_and_b32_e32 v128, 0xff, v118
	s_mov_b32 s11, 0
	s_mov_b32 s27, exec_lo
                                        ; implicit-def: $sgpr26
	v_cmpx_lt_i16_e64 0x7f, v128
	s_xor_b32 s27, exec_lo, s27
	s_cbranch_execnz .LBB4_1165
; %bb.319:                              ;   in Loop: Header=BB4_143 Depth=2
	s_or_saveexec_b32 s27, s27
	v_mov_b32_e32 v119, s26
	s_xor_b32 exec_lo, exec_lo, s27
	s_cbranch_execnz .LBB4_1168
.LBB4_320:                              ;   in Loop: Header=BB4_143 Depth=2
	s_or_b32 exec_lo, exec_lo, s27
	s_and_saveexec_b32 s26, s11
	s_cbranch_execz .LBB4_322
.LBB4_321:                              ;   in Loop: Header=BB4_143 Depth=2
	v_bfe_u32 v119, v23, 16, 3
	v_bfe_u32 v130, v23, 19, 4
	v_lshlrev_b32_e32 v131, 24, v118
	s_delay_alu instid0(VALU_DEP_3) | instskip(NEXT) | instid1(VALU_DEP_3)
	v_clz_i32_u32_e32 v128, v119
	v_cmp_eq_u32_e32 vcc_lo, 0, v130
	s_delay_alu instid0(VALU_DEP_2) | instskip(NEXT) | instid1(VALU_DEP_1)
	v_min_u32_e32 v128, 32, v128
	v_subrev_nc_u32_e32 v129, 28, v128
	v_sub_nc_u32_e32 v128, 29, v128
	s_delay_alu instid0(VALU_DEP_1) | instskip(NEXT) | instid1(VALU_DEP_1)
	v_dual_cndmask_b32 v128, v130, v128 :: v_dual_lshlrev_b32 v129, v129, v118
	v_and_b32_e32 v129, 7, v129
	s_delay_alu instid0(VALU_DEP_2) | instskip(NEXT) | instid1(VALU_DEP_2)
	v_lshl_add_u32 v128, v128, 23, 0x3b800000
	v_cndmask_b32_e32 v119, v119, v129, vcc_lo
	v_and_b32_e32 v129, 0x80000000, v131
	s_delay_alu instid0(VALU_DEP_2) | instskip(NEXT) | instid1(VALU_DEP_1)
	v_lshlrev_b32_e32 v119, 20, v119
	v_or3_b32 v119, v129, v128, v119
.LBB4_322:                              ;   in Loop: Header=BB4_143 Depth=2
	s_or_b32 exec_lo, exec_lo, s26
	v_and_b32_e32 v129, 0xff, v117
	s_mov_b32 s11, 0
	s_mov_b32 s27, exec_lo
                                        ; implicit-def: $sgpr26
	s_delay_alu instid0(VALU_DEP_1)
	v_cmpx_lt_i16_e64 0x7f, v129
	s_xor_b32 s27, exec_lo, s27
	s_cbranch_execnz .LBB4_1169
; %bb.323:                              ;   in Loop: Header=BB4_143 Depth=2
	s_or_saveexec_b32 s27, s27
	v_mov_b32_e32 v128, s26
	s_xor_b32 exec_lo, exec_lo, s27
	s_cbranch_execnz .LBB4_1172
.LBB4_324:                              ;   in Loop: Header=BB4_143 Depth=2
	s_or_b32 exec_lo, exec_lo, s27
	s_and_saveexec_b32 s26, s11
	s_cbranch_execz .LBB4_326
.LBB4_325:                              ;   in Loop: Header=BB4_143 Depth=2
	v_bfe_u32 v128, v19, 16, 3
	v_bfe_u32 v131, v19, 19, 4
	v_lshlrev_b32_e32 v132, 24, v117
	s_delay_alu instid0(VALU_DEP_3) | instskip(NEXT) | instid1(VALU_DEP_3)
	v_clz_i32_u32_e32 v129, v128
	v_cmp_eq_u32_e32 vcc_lo, 0, v131
	s_delay_alu instid0(VALU_DEP_2) | instskip(NEXT) | instid1(VALU_DEP_1)
	v_min_u32_e32 v129, 32, v129
	v_subrev_nc_u32_e32 v130, 28, v129
	v_sub_nc_u32_e32 v129, 29, v129
	s_delay_alu instid0(VALU_DEP_2) | instskip(NEXT) | instid1(VALU_DEP_1)
	v_lshlrev_b32_e32 v130, v130, v117
	v_dual_cndmask_b32 v129, v131, v129 :: v_dual_and_b32 v130, 7, v130
	s_delay_alu instid0(VALU_DEP_1) | instskip(NEXT) | instid1(VALU_DEP_2)
	v_lshl_add_u32 v129, v129, 23, 0x3b800000
	v_cndmask_b32_e32 v128, v128, v130, vcc_lo
	v_and_b32_e32 v130, 0x80000000, v132
	s_delay_alu instid0(VALU_DEP_2) | instskip(NEXT) | instid1(VALU_DEP_1)
	v_lshlrev_b32_e32 v128, 20, v128
	v_or3_b32 v128, v130, v129, v128
.LBB4_326:                              ;   in Loop: Header=BB4_143 Depth=2
	s_or_b32 exec_lo, exec_lo, s26
	s_delay_alu instid0(VALU_DEP_1) | instskip(SKIP_1) | instid1(VALU_DEP_1)
	v_dual_max_f32 v128, v128, v128 :: v_dual_max_f32 v119, v119, v119
	s_mov_b32 s11, 0
	v_max_f32_e32 v119, v119, v128
	s_branch .LBB4_328
.LBB4_327:                              ;   in Loop: Header=BB4_143 Depth=2
	s_mov_b32 s11, -1
                                        ; implicit-def: $vgpr119
.LBB4_328:                              ;   in Loop: Header=BB4_143 Depth=2
	s_delay_alu instid0(SALU_CYCLE_1)
	s_and_b32 vcc_lo, exec_lo, s11
	s_cbranch_vccz .LBB4_338
; %bb.329:                              ;   in Loop: Header=BB4_143 Depth=2
	v_and_b32_e32 v128, 0xff, v118
	s_mov_b32 s11, 0
	s_mov_b32 s27, exec_lo
                                        ; implicit-def: $sgpr26
	s_delay_alu instid0(VALU_DEP_1)
	v_cmpx_lt_i16_e64 0x7f, v128
	s_xor_b32 s27, exec_lo, s27
	s_cbranch_execnz .LBB4_1173
; %bb.330:                              ;   in Loop: Header=BB4_143 Depth=2
	s_or_saveexec_b32 s27, s27
	v_mov_b32_e32 v119, s26
	s_xor_b32 exec_lo, exec_lo, s27
	s_cbranch_execnz .LBB4_1176
.LBB4_331:                              ;   in Loop: Header=BB4_143 Depth=2
	s_or_b32 exec_lo, exec_lo, s27
	s_and_saveexec_b32 s26, s11
	s_cbranch_execz .LBB4_333
.LBB4_332:                              ;   in Loop: Header=BB4_143 Depth=2
	v_bfe_u32 v119, v23, 16, 3
	v_bfe_u32 v130, v23, 19, 4
	s_delay_alu instid0(VALU_DEP_2) | instskip(NEXT) | instid1(VALU_DEP_2)
	v_clz_i32_u32_e32 v128, v119
	v_cmp_eq_u32_e32 vcc_lo, 0, v130
	s_delay_alu instid0(VALU_DEP_2) | instskip(NEXT) | instid1(VALU_DEP_1)
	v_min_u32_e32 v128, 32, v128
	v_subrev_nc_u32_e32 v129, 28, v128
	v_sub_nc_u32_e32 v128, 29, v128
	s_delay_alu instid0(VALU_DEP_1) | instskip(NEXT) | instid1(VALU_DEP_1)
	v_dual_cndmask_b32 v128, v130, v128 :: v_dual_lshlrev_b32 v129, v129, v118
	v_and_b32_e32 v129, 7, v129
	v_lshlrev_b32_e32 v118, 24, v118
	s_delay_alu instid0(VALU_DEP_3) | instskip(NEXT) | instid1(VALU_DEP_2)
	v_lshl_add_u32 v128, v128, 23, 0x3b800000
	v_dual_cndmask_b32 v119, v119, v129 :: v_dual_and_b32 v118, 0x80000000, v118
	s_delay_alu instid0(VALU_DEP_1) | instskip(NEXT) | instid1(VALU_DEP_1)
	v_lshlrev_b32_e32 v119, 20, v119
	v_or3_b32 v119, v118, v128, v119
.LBB4_333:                              ;   in Loop: Header=BB4_143 Depth=2
	s_or_b32 exec_lo, exec_lo, s26
	v_and_b32_e32 v128, 0xff, v117
	s_mov_b32 s11, 0
	s_mov_b32 s27, exec_lo
                                        ; implicit-def: $sgpr26
	s_delay_alu instid0(VALU_DEP_1)
	v_cmpx_lt_i16_e64 0x7f, v128
	s_xor_b32 s27, exec_lo, s27
	s_cbranch_execnz .LBB4_1177
; %bb.334:                              ;   in Loop: Header=BB4_143 Depth=2
	s_or_saveexec_b32 s27, s27
	v_mov_b32_e32 v118, s26
	s_xor_b32 exec_lo, exec_lo, s27
	s_cbranch_execnz .LBB4_1180
.LBB4_335:                              ;   in Loop: Header=BB4_143 Depth=2
	s_or_b32 exec_lo, exec_lo, s27
	s_and_saveexec_b32 s26, s11
	s_cbranch_execz .LBB4_337
.LBB4_336:                              ;   in Loop: Header=BB4_143 Depth=2
	v_bfe_u32 v118, v19, 16, 3
	v_bfe_u32 v130, v19, 19, 4
	s_delay_alu instid0(VALU_DEP_2) | instskip(NEXT) | instid1(VALU_DEP_2)
	v_clz_i32_u32_e32 v128, v118
	v_cmp_eq_u32_e32 vcc_lo, 0, v130
	s_delay_alu instid0(VALU_DEP_2) | instskip(NEXT) | instid1(VALU_DEP_1)
	v_min_u32_e32 v128, 32, v128
	v_subrev_nc_u32_e32 v129, 28, v128
	v_sub_nc_u32_e32 v128, 29, v128
	s_delay_alu instid0(VALU_DEP_1) | instskip(SKIP_1) | instid1(VALU_DEP_2)
	v_dual_cndmask_b32 v128, v130, v128 :: v_dual_lshlrev_b32 v129, v129, v117
	v_lshlrev_b32_e32 v117, 24, v117
	v_and_b32_e32 v129, 7, v129
	s_delay_alu instid0(VALU_DEP_3) | instskip(NEXT) | instid1(VALU_DEP_3)
	v_lshl_add_u32 v128, v128, 23, 0x3b800000
	v_and_b32_e32 v117, 0x80000000, v117
	s_delay_alu instid0(VALU_DEP_3) | instskip(NEXT) | instid1(VALU_DEP_1)
	v_cndmask_b32_e32 v118, v118, v129, vcc_lo
	v_lshlrev_b32_e32 v118, 20, v118
	s_delay_alu instid0(VALU_DEP_1)
	v_or3_b32 v118, v117, v128, v118
.LBB4_337:                              ;   in Loop: Header=BB4_143 Depth=2
	s_or_b32 exec_lo, exec_lo, s26
	s_delay_alu instid0(VALU_DEP_1) | instskip(NEXT) | instid1(VALU_DEP_1)
	v_dual_max_f32 v117, v118, v118 :: v_dual_max_f32 v118, v119, v119
	v_min_f32_e32 v119, v118, v117
.LBB4_338:                              ;   in Loop: Header=BB4_143 Depth=2
	s_delay_alu instid0(VALU_DEP_1) | instskip(NEXT) | instid1(VALU_DEP_1)
	v_and_b32_e32 v117, 0x7f800000, v119
	v_cmp_ne_u32_e32 vcc_lo, 0x7f800000, v117
	v_mov_b32_e32 v117, 0x80
	s_and_saveexec_b32 s26, vcc_lo
	s_cbranch_execz .LBB4_346
; %bb.339:                              ;   in Loop: Header=BB4_143 Depth=2
	v_mov_b32_e32 v117, 0
	s_mov_b32 s27, exec_lo
	v_cmpx_ne_u32_e32 0, v119
	s_cbranch_execz .LBB4_345
; %bb.340:                              ;   in Loop: Header=BB4_143 Depth=2
	v_bfe_u32 v117, v119, 23, 8
	v_and_b32_e32 v118, 0x7fffff, v119
	s_delay_alu instid0(VALU_DEP_2) | instskip(SKIP_1) | instid1(VALU_DEP_3)
	v_sub_nc_u32_e32 v128, 0x78, v117
	v_cmp_gt_u32_e32 vcc_lo, 0x79, v117
	v_or_b32_e32 v129, 0x800000, v118
	s_delay_alu instid0(VALU_DEP_3) | instskip(SKIP_2) | instid1(VALU_DEP_3)
	v_cndmask_b32_e32 v128, 0, v128, vcc_lo
	v_cmp_eq_u32_e32 vcc_lo, 0, v117
	v_add_nc_u32_e32 v117, 0xffffff89, v117
	v_cndmask_b32_e64 v128, v128, 0x77, vcc_lo
	v_cndmask_b32_e32 v118, v129, v118, vcc_lo
	s_delay_alu instid0(VALU_DEP_3) | instskip(NEXT) | instid1(VALU_DEP_3)
	v_cndmask_b32_e64 v117, v117, 0xffffff8a, vcc_lo
	v_lshl_add_u32 v129, 0x100000, v128, -1
	s_delay_alu instid0(VALU_DEP_3) | instskip(SKIP_1) | instid1(VALU_DEP_4)
	v_lshrrev_b32_e32 v130, v128, v118
	v_lshlrev_b32_e64 v132, v128, 0x80000
	v_add_nc_u32_e32 v128, v128, v117
	s_delay_alu instid0(VALU_DEP_4) | instskip(NEXT) | instid1(VALU_DEP_4)
	v_and_b32_e32 v118, v129, v118
	v_bfe_u32 v131, v130, 20, 1
	s_delay_alu instid0(VALU_DEP_2) | instskip(NEXT) | instid1(VALU_DEP_2)
	v_cmp_eq_u32_e64 s11, v118, v132
	v_add_nc_u32_e32 v129, -1, v131
	s_delay_alu instid0(VALU_DEP_1) | instskip(SKIP_2) | instid1(VALU_DEP_2)
	v_cndmask_b32_e64 v118, 0, v129, s11
	v_lshrrev_b32_e32 v129, 23, v130
	s_mov_b32 s11, exec_lo
	v_add_nc_u32_e32 v118, v118, v130
	s_delay_alu instid0(VALU_DEP_2) | instskip(NEXT) | instid1(VALU_DEP_2)
	v_xor_b32_e32 v129, 1, v129
	v_and_b32_e32 v117, 0xfffff, v118
	s_delay_alu instid0(VALU_DEP_1) | instskip(NEXT) | instid1(VALU_DEP_3)
	v_add_nc_u32_e32 v118, v117, v130
                                        ; implicit-def: $vgpr117
	v_cmpx_ne_u32_e64 v128, v129
	s_xor_b32 s11, exec_lo, s11
; %bb.341:                              ;   in Loop: Header=BB4_143 Depth=2
	s_delay_alu instid0(VALU_DEP_2) | instskip(SKIP_2) | instid1(VALU_DEP_2)
	v_cmp_lt_u32_e32 vcc_lo, 0xffffff, v118
	v_sub_nc_u32_e32 v117, v128, v129
	v_cndmask_b32_e64 v128, 0, 1, vcc_lo
	v_add_co_ci_u32_e32 v117, vcc_lo, 0, v117, vcc_lo
	s_delay_alu instid0(VALU_DEP_2)
	v_lshrrev_b32_e32 v118, v128, v118
; %bb.342:                              ;   in Loop: Header=BB4_143 Depth=2
	s_and_not1_saveexec_b32 s11, s11
; %bb.343:                              ;   in Loop: Header=BB4_143 Depth=2
	s_delay_alu instid0(VALU_DEP_1)
	v_bfe_u32 v117, v118, 23, 1
; %bb.344:                              ;   in Loop: Header=BB4_143 Depth=2
	s_or_b32 exec_lo, exec_lo, s11
	v_lshrrev_b32_e32 v118, 20, v118
	s_delay_alu instid0(VALU_DEP_2) | instskip(SKIP_2) | instid1(VALU_DEP_2)
	v_cmp_gt_i32_e32 vcc_lo, 16, v117
	v_lshrrev_b32_e32 v119, 24, v119
	v_min_i32_e32 v128, 15, v117
	v_dual_cndmask_b32 v118, 7, v118 :: v_dual_and_b32 v119, 0x80, v119
	s_delay_alu instid0(VALU_DEP_1) | instskip(SKIP_1) | instid1(VALU_DEP_2)
	v_or_b32_e32 v117, v117, v118
	v_and_b32_e32 v129, 7, v118
	v_cmp_ne_u32_e32 vcc_lo, 0, v117
	v_lshlrev_b32_e32 v128, 3, v128
	s_delay_alu instid0(VALU_DEP_1) | instskip(NEXT) | instid1(VALU_DEP_1)
	v_and_b32_e32 v128, 0xf8, v128
	v_or3_b32 v118, v128, v119, v129
	s_delay_alu instid0(VALU_DEP_1)
	v_cndmask_b32_e32 v117, 0, v118, vcc_lo
.LBB4_345:                              ;   in Loop: Header=BB4_143 Depth=2
	s_or_b32 exec_lo, exec_lo, s27
.LBB4_346:                              ;   in Loop: Header=BB4_143 Depth=2
	s_delay_alu instid0(SALU_CYCLE_1)
	s_or_b32 exec_lo, exec_lo, s26
	v_lshrrev_b32_e32 v119, 24, v23
	v_lshrrev_b32_e32 v118, 24, v19
	s_and_b32 vcc_lo, exec_lo, s25
	s_cbranch_vccz .LBB4_356
; %bb.347:                              ;   in Loop: Header=BB4_143 Depth=2
	s_mov_b32 s11, 0
	s_mov_b32 s27, exec_lo
                                        ; implicit-def: $sgpr26
	v_cmpx_lt_i16_e32 0x7f, v119
	s_xor_b32 s27, exec_lo, s27
	s_cbranch_execnz .LBB4_1181
; %bb.348:                              ;   in Loop: Header=BB4_143 Depth=2
	s_or_saveexec_b32 s27, s27
	v_mov_b32_e32 v128, s26
	s_xor_b32 exec_lo, exec_lo, s27
	s_cbranch_execnz .LBB4_1184
.LBB4_349:                              ;   in Loop: Header=BB4_143 Depth=2
	s_or_b32 exec_lo, exec_lo, s27
	s_and_saveexec_b32 s26, s11
	s_cbranch_execz .LBB4_351
.LBB4_350:                              ;   in Loop: Header=BB4_143 Depth=2
	v_bfe_u32 v128, v23, 24, 3
	v_bfe_u32 v131, v23, 27, 4
	s_delay_alu instid0(VALU_DEP_2) | instskip(NEXT) | instid1(VALU_DEP_2)
	v_clz_i32_u32_e32 v129, v128
	v_cmp_eq_u32_e32 vcc_lo, 0, v131
	s_delay_alu instid0(VALU_DEP_2) | instskip(NEXT) | instid1(VALU_DEP_1)
	v_min_u32_e32 v129, 32, v129
	v_subrev_nc_u32_e32 v130, 28, v129
	v_sub_nc_u32_e32 v129, 29, v129
	s_delay_alu instid0(VALU_DEP_1) | instskip(NEXT) | instid1(VALU_DEP_1)
	v_dual_cndmask_b32 v129, v131, v129 :: v_dual_lshlrev_b32 v130, v130, v119
	v_and_b32_e32 v130, 7, v130
	s_delay_alu instid0(VALU_DEP_2) | instskip(NEXT) | instid1(VALU_DEP_2)
	v_lshl_add_u32 v129, v129, 23, 0x3b800000
	v_cndmask_b32_e32 v128, v128, v130, vcc_lo
	v_and_b32_e32 v130, 0x80000000, v23
	s_delay_alu instid0(VALU_DEP_2) | instskip(NEXT) | instid1(VALU_DEP_1)
	v_lshlrev_b32_e32 v128, 20, v128
	v_or3_b32 v128, v130, v129, v128
.LBB4_351:                              ;   in Loop: Header=BB4_143 Depth=2
	s_or_b32 exec_lo, exec_lo, s26
	s_mov_b32 s11, 0
	s_mov_b32 s27, exec_lo
                                        ; implicit-def: $sgpr26
	v_cmpx_lt_i16_e32 0x7f, v118
	s_xor_b32 s27, exec_lo, s27
	s_cbranch_execnz .LBB4_1185
; %bb.352:                              ;   in Loop: Header=BB4_143 Depth=2
	s_or_saveexec_b32 s27, s27
	v_mov_b32_e32 v129, s26
	s_xor_b32 exec_lo, exec_lo, s27
	s_cbranch_execnz .LBB4_1188
.LBB4_353:                              ;   in Loop: Header=BB4_143 Depth=2
	s_or_b32 exec_lo, exec_lo, s27
	s_and_saveexec_b32 s26, s11
	s_cbranch_execz .LBB4_355
.LBB4_354:                              ;   in Loop: Header=BB4_143 Depth=2
	v_bfe_u32 v129, v19, 24, 3
	v_bfe_u32 v132, v19, 27, 4
	s_delay_alu instid0(VALU_DEP_2) | instskip(NEXT) | instid1(VALU_DEP_2)
	v_clz_i32_u32_e32 v130, v129
	v_cmp_eq_u32_e32 vcc_lo, 0, v132
	s_delay_alu instid0(VALU_DEP_2) | instskip(NEXT) | instid1(VALU_DEP_1)
	v_min_u32_e32 v130, 32, v130
	v_subrev_nc_u32_e32 v131, 28, v130
	v_sub_nc_u32_e32 v130, 29, v130
	s_delay_alu instid0(VALU_DEP_2) | instskip(NEXT) | instid1(VALU_DEP_1)
	v_lshlrev_b32_e32 v131, v131, v118
	v_dual_cndmask_b32 v130, v132, v130 :: v_dual_and_b32 v131, 7, v131
	s_delay_alu instid0(VALU_DEP_1) | instskip(NEXT) | instid1(VALU_DEP_2)
	v_lshl_add_u32 v130, v130, 23, 0x3b800000
	v_cndmask_b32_e32 v129, v129, v131, vcc_lo
	v_and_b32_e32 v131, 0x80000000, v19
	s_delay_alu instid0(VALU_DEP_2) | instskip(NEXT) | instid1(VALU_DEP_1)
	v_lshlrev_b32_e32 v129, 20, v129
	v_or3_b32 v129, v131, v130, v129
.LBB4_355:                              ;   in Loop: Header=BB4_143 Depth=2
	s_or_b32 exec_lo, exec_lo, s26
	s_delay_alu instid0(VALU_DEP_1) | instskip(SKIP_1) | instid1(VALU_DEP_1)
	v_dual_max_f32 v129, v129, v129 :: v_dual_max_f32 v128, v128, v128
	s_mov_b32 s11, 0
	v_max_f32_e32 v128, v128, v129
	s_branch .LBB4_357
.LBB4_356:                              ;   in Loop: Header=BB4_143 Depth=2
	s_mov_b32 s11, -1
                                        ; implicit-def: $vgpr128
.LBB4_357:                              ;   in Loop: Header=BB4_143 Depth=2
	s_delay_alu instid0(SALU_CYCLE_1)
	s_and_b32 vcc_lo, exec_lo, s11
	s_cbranch_vccz .LBB4_367
; %bb.358:                              ;   in Loop: Header=BB4_143 Depth=2
	s_mov_b32 s11, 0
	s_mov_b32 s27, exec_lo
                                        ; implicit-def: $sgpr26
	v_cmpx_lt_i16_e32 0x7f, v119
	s_xor_b32 s27, exec_lo, s27
	s_cbranch_execnz .LBB4_1189
; %bb.359:                              ;   in Loop: Header=BB4_143 Depth=2
	s_or_saveexec_b32 s27, s27
	v_mov_b32_e32 v128, s26
	s_xor_b32 exec_lo, exec_lo, s27
	s_cbranch_execnz .LBB4_1192
.LBB4_360:                              ;   in Loop: Header=BB4_143 Depth=2
	s_or_b32 exec_lo, exec_lo, s27
	s_and_saveexec_b32 s26, s11
	s_cbranch_execz .LBB4_362
.LBB4_361:                              ;   in Loop: Header=BB4_143 Depth=2
	v_bfe_u32 v128, v23, 24, 3
	s_delay_alu instid0(VALU_DEP_1) | instskip(NEXT) | instid1(VALU_DEP_1)
	v_clz_i32_u32_e32 v129, v128
	v_min_u32_e32 v129, 32, v129
	s_delay_alu instid0(VALU_DEP_1) | instskip(SKIP_1) | instid1(VALU_DEP_2)
	v_subrev_nc_u32_e32 v130, 28, v129
	v_sub_nc_u32_e32 v129, 29, v129
	v_lshlrev_b32_e32 v119, v130, v119
	v_bfe_u32 v130, v23, 27, 4
	v_and_b32_e32 v23, 0x80000000, v23
	s_delay_alu instid0(VALU_DEP_3) | instskip(NEXT) | instid1(VALU_DEP_3)
	v_and_b32_e32 v119, 7, v119
	v_cmp_eq_u32_e32 vcc_lo, 0, v130
	v_cndmask_b32_e32 v129, v130, v129, vcc_lo
	s_delay_alu instid0(VALU_DEP_3) | instskip(NEXT) | instid1(VALU_DEP_2)
	v_cndmask_b32_e32 v119, v128, v119, vcc_lo
	v_lshl_add_u32 v128, v129, 23, 0x3b800000
	s_delay_alu instid0(VALU_DEP_2) | instskip(NEXT) | instid1(VALU_DEP_1)
	v_lshlrev_b32_e32 v119, 20, v119
	v_or3_b32 v128, v23, v128, v119
.LBB4_362:                              ;   in Loop: Header=BB4_143 Depth=2
	s_or_b32 exec_lo, exec_lo, s26
	s_mov_b32 s11, 0
	s_mov_b32 s27, exec_lo
                                        ; implicit-def: $sgpr26
	v_cmpx_lt_i16_e32 0x7f, v118
	s_xor_b32 s27, exec_lo, s27
	s_cbranch_execnz .LBB4_1193
; %bb.363:                              ;   in Loop: Header=BB4_143 Depth=2
	s_or_saveexec_b32 s27, s27
	v_mov_b32_e32 v23, s26
	s_xor_b32 exec_lo, exec_lo, s27
	s_cbranch_execnz .LBB4_1196
.LBB4_364:                              ;   in Loop: Header=BB4_143 Depth=2
	s_or_b32 exec_lo, exec_lo, s27
	s_and_saveexec_b32 s26, s11
	s_cbranch_execz .LBB4_366
.LBB4_365:                              ;   in Loop: Header=BB4_143 Depth=2
	v_bfe_u32 v23, v19, 24, 3
	s_delay_alu instid0(VALU_DEP_1) | instskip(NEXT) | instid1(VALU_DEP_1)
	v_clz_i32_u32_e32 v119, v23
	v_min_u32_e32 v119, 32, v119
	s_delay_alu instid0(VALU_DEP_1) | instskip(SKIP_1) | instid1(VALU_DEP_2)
	v_subrev_nc_u32_e32 v129, 28, v119
	v_sub_nc_u32_e32 v119, 29, v119
	v_lshlrev_b32_e32 v118, v129, v118
	v_bfe_u32 v129, v19, 27, 4
	v_and_b32_e32 v19, 0x80000000, v19
	s_delay_alu instid0(VALU_DEP_2) | instskip(NEXT) | instid1(VALU_DEP_4)
	v_cmp_eq_u32_e32 vcc_lo, 0, v129
	v_dual_cndmask_b32 v119, v129, v119 :: v_dual_and_b32 v118, 7, v118
	s_delay_alu instid0(VALU_DEP_1) | instskip(NEXT) | instid1(VALU_DEP_2)
	v_cndmask_b32_e32 v23, v23, v118, vcc_lo
	v_lshl_add_u32 v118, v119, 23, 0x3b800000
	s_delay_alu instid0(VALU_DEP_2) | instskip(NEXT) | instid1(VALU_DEP_1)
	v_lshlrev_b32_e32 v23, 20, v23
	v_or3_b32 v23, v19, v118, v23
.LBB4_366:                              ;   in Loop: Header=BB4_143 Depth=2
	s_or_b32 exec_lo, exec_lo, s26
	s_delay_alu instid0(VALU_DEP_1) | instskip(SKIP_1) | instid1(VALU_DEP_1)
	v_max_f32_e32 v19, v23, v23
	v_max_f32_e32 v23, v128, v128
	v_min_f32_e32 v128, v23, v19
.LBB4_367:                              ;   in Loop: Header=BB4_143 Depth=2
	s_delay_alu instid0(VALU_DEP_1) | instskip(NEXT) | instid1(VALU_DEP_1)
	v_and_b32_e32 v19, 0x7f800000, v128
	v_cmp_ne_u32_e32 vcc_lo, 0x7f800000, v19
	v_mov_b32_e32 v19, 0x8000
	s_and_saveexec_b32 s26, vcc_lo
	s_cbranch_execz .LBB4_375
; %bb.368:                              ;   in Loop: Header=BB4_143 Depth=2
	v_mov_b32_e32 v19, 0
	s_mov_b32 s27, exec_lo
	v_cmpx_ne_u32_e32 0, v128
	s_cbranch_execz .LBB4_374
; %bb.369:                              ;   in Loop: Header=BB4_143 Depth=2
	v_bfe_u32 v19, v128, 23, 8
	s_delay_alu instid0(VALU_DEP_1) | instskip(SKIP_1) | instid1(VALU_DEP_2)
	v_sub_nc_u32_e32 v118, 0x78, v19
	v_cmp_gt_u32_e32 vcc_lo, 0x79, v19
	v_dual_cndmask_b32 v118, 0, v118 :: v_dual_and_b32 v23, 0x7fffff, v128
	s_delay_alu instid0(VALU_DEP_1) | instskip(SKIP_2) | instid1(VALU_DEP_4)
	v_or_b32_e32 v119, 0x800000, v23
	v_cmp_eq_u32_e32 vcc_lo, 0, v19
	v_add_nc_u32_e32 v19, 0xffffff89, v19
	v_cndmask_b32_e64 v118, v118, 0x77, vcc_lo
	s_delay_alu instid0(VALU_DEP_4) | instskip(NEXT) | instid1(VALU_DEP_3)
	v_cndmask_b32_e32 v23, v119, v23, vcc_lo
	v_cndmask_b32_e64 v19, v19, 0xffffff8a, vcc_lo
	s_delay_alu instid0(VALU_DEP_3) | instskip(NEXT) | instid1(VALU_DEP_3)
	v_lshl_add_u32 v119, 0x100000, v118, -1
	v_lshrrev_b32_e32 v129, v118, v23
	v_lshlrev_b32_e64 v131, v118, 0x80000
	s_delay_alu instid0(VALU_DEP_4) | instskip(NEXT) | instid1(VALU_DEP_4)
	v_add_nc_u32_e32 v118, v118, v19
	v_and_b32_e32 v23, v119, v23
	s_delay_alu instid0(VALU_DEP_4) | instskip(NEXT) | instid1(VALU_DEP_2)
	v_bfe_u32 v130, v129, 20, 1
	v_cmp_eq_u32_e64 s11, v23, v131
	s_delay_alu instid0(VALU_DEP_2) | instskip(NEXT) | instid1(VALU_DEP_1)
	v_add_nc_u32_e32 v119, -1, v130
	v_cndmask_b32_e64 v23, 0, v119, s11
	v_lshrrev_b32_e32 v119, 23, v129
	s_mov_b32 s11, exec_lo
	s_delay_alu instid0(VALU_DEP_2) | instskip(NEXT) | instid1(VALU_DEP_2)
	v_add_nc_u32_e32 v23, v23, v129
	v_xor_b32_e32 v119, 1, v119
	s_delay_alu instid0(VALU_DEP_2) | instskip(NEXT) | instid1(VALU_DEP_1)
	v_and_b32_e32 v19, 0xfffff, v23
	v_add_nc_u32_e32 v23, v19, v129
                                        ; implicit-def: $vgpr19
	s_delay_alu instid0(VALU_DEP_3)
	v_cmpx_ne_u32_e64 v118, v119
	s_xor_b32 s11, exec_lo, s11
; %bb.370:                              ;   in Loop: Header=BB4_143 Depth=2
	s_delay_alu instid0(VALU_DEP_2) | instskip(SKIP_2) | instid1(VALU_DEP_2)
	v_cmp_lt_u32_e32 vcc_lo, 0xffffff, v23
	v_sub_nc_u32_e32 v19, v118, v119
	v_cndmask_b32_e64 v118, 0, 1, vcc_lo
	v_add_co_ci_u32_e32 v19, vcc_lo, 0, v19, vcc_lo
	s_delay_alu instid0(VALU_DEP_2)
	v_lshrrev_b32_e32 v23, v118, v23
; %bb.371:                              ;   in Loop: Header=BB4_143 Depth=2
	s_and_not1_saveexec_b32 s11, s11
; %bb.372:                              ;   in Loop: Header=BB4_143 Depth=2
	s_delay_alu instid0(VALU_DEP_1)
	v_bfe_u32 v19, v23, 23, 1
; %bb.373:                              ;   in Loop: Header=BB4_143 Depth=2
	s_or_b32 exec_lo, exec_lo, s11
	v_lshrrev_b32_e32 v23, 20, v23
	s_delay_alu instid0(VALU_DEP_2) | instskip(SKIP_2) | instid1(VALU_DEP_2)
	v_cmp_gt_i32_e32 vcc_lo, 16, v19
	v_min_i32_e32 v118, 15, v19
	v_lshrrev_b32_e32 v119, 24, v128
	v_dual_cndmask_b32 v23, 7, v23 :: v_dual_lshlrev_b32 v118, 3, v118
	s_delay_alu instid0(VALU_DEP_2) | instskip(NEXT) | instid1(VALU_DEP_2)
	v_and_b32_e32 v119, 0x80, v119
	v_or_b32_e32 v19, v19, v23
	v_and_b32_e32 v128, 7, v23
	s_delay_alu instid0(VALU_DEP_2) | instskip(SKIP_1) | instid1(VALU_DEP_1)
	v_cmp_ne_u32_e32 vcc_lo, 0, v19
	v_and_b32_e32 v118, 0xf8, v118
	v_or3_b32 v118, v119, v118, v128
	s_delay_alu instid0(VALU_DEP_1) | instskip(NEXT) | instid1(VALU_DEP_1)
	v_lshlrev_b32_e32 v23, 8, v118
	v_cndmask_b32_e32 v19, 0, v23, vcc_lo
.LBB4_374:                              ;   in Loop: Header=BB4_143 Depth=2
	s_or_b32 exec_lo, exec_lo, s27
.LBB4_375:                              ;   in Loop: Header=BB4_143 Depth=2
	s_delay_alu instid0(SALU_CYCLE_1) | instskip(NEXT) | instid1(SALU_CYCLE_1)
	s_or_b32 exec_lo, exec_lo, s26
	s_and_b32 vcc_lo, exec_lo, s25
	s_cbranch_vccz .LBB4_385
; %bb.376:                              ;   in Loop: Header=BB4_143 Depth=2
	v_and_b32_e32 v118, 0xff, v24
	s_mov_b32 s11, 0
	s_mov_b32 s27, exec_lo
                                        ; implicit-def: $sgpr26
	s_delay_alu instid0(VALU_DEP_1)
	v_cmpx_lt_i16_e32 0x7f, v118
	s_xor_b32 s27, exec_lo, s27
	s_cbranch_execnz .LBB4_1197
; %bb.377:                              ;   in Loop: Header=BB4_143 Depth=2
	s_or_saveexec_b32 s27, s27
	v_mov_b32_e32 v23, s26
	s_xor_b32 exec_lo, exec_lo, s27
	s_cbranch_execnz .LBB4_1200
.LBB4_378:                              ;   in Loop: Header=BB4_143 Depth=2
	s_or_b32 exec_lo, exec_lo, s27
	s_and_saveexec_b32 s26, s11
	s_cbranch_execz .LBB4_380
.LBB4_379:                              ;   in Loop: Header=BB4_143 Depth=2
	v_bfe_u32 v128, v24, 3, 4
	v_lshlrev_b32_e32 v129, 24, v24
	s_delay_alu instid0(VALU_DEP_2) | instskip(SKIP_1) | instid1(VALU_DEP_1)
	v_cmp_eq_u32_e32 vcc_lo, 0, v128
	v_and_b32_e32 v23, 7, v24
	v_clz_i32_u32_e32 v118, v23
	s_delay_alu instid0(VALU_DEP_1) | instskip(NEXT) | instid1(VALU_DEP_1)
	v_min_u32_e32 v118, 32, v118
	v_subrev_nc_u32_e32 v119, 28, v118
	v_sub_nc_u32_e32 v118, 29, v118
	s_delay_alu instid0(VALU_DEP_1) | instskip(NEXT) | instid1(VALU_DEP_1)
	v_dual_cndmask_b32 v118, v128, v118 :: v_dual_lshlrev_b32 v119, v119, v24
	v_and_b32_e32 v119, 7, v119
	s_delay_alu instid0(VALU_DEP_2) | instskip(NEXT) | instid1(VALU_DEP_2)
	v_lshl_add_u32 v118, v118, 23, 0x3b800000
	v_cndmask_b32_e32 v23, v23, v119, vcc_lo
	v_and_b32_e32 v119, 0x80000000, v129
	s_delay_alu instid0(VALU_DEP_2) | instskip(NEXT) | instid1(VALU_DEP_1)
	v_lshlrev_b32_e32 v23, 20, v23
	v_or3_b32 v23, v119, v118, v23
.LBB4_380:                              ;   in Loop: Header=BB4_143 Depth=2
	s_or_b32 exec_lo, exec_lo, s26
	v_and_b32_e32 v119, 0xff, v20
	s_mov_b32 s11, 0
	s_mov_b32 s27, exec_lo
                                        ; implicit-def: $sgpr26
	s_delay_alu instid0(VALU_DEP_1)
	v_cmpx_lt_i16_e32 0x7f, v119
	s_xor_b32 s27, exec_lo, s27
	s_cbranch_execnz .LBB4_1201
; %bb.381:                              ;   in Loop: Header=BB4_143 Depth=2
	s_or_saveexec_b32 s27, s27
	v_mov_b32_e32 v118, s26
	s_xor_b32 exec_lo, exec_lo, s27
	s_cbranch_execnz .LBB4_1204
.LBB4_382:                              ;   in Loop: Header=BB4_143 Depth=2
	s_or_b32 exec_lo, exec_lo, s27
	s_and_saveexec_b32 s26, s11
	s_cbranch_execz .LBB4_384
.LBB4_383:                              ;   in Loop: Header=BB4_143 Depth=2
	v_bfe_u32 v129, v20, 3, 4
	v_lshlrev_b32_e32 v130, 24, v20
	s_delay_alu instid0(VALU_DEP_2) | instskip(SKIP_1) | instid1(VALU_DEP_1)
	v_cmp_eq_u32_e32 vcc_lo, 0, v129
	v_and_b32_e32 v118, 7, v20
	v_clz_i32_u32_e32 v119, v118
	s_delay_alu instid0(VALU_DEP_1) | instskip(NEXT) | instid1(VALU_DEP_1)
	v_min_u32_e32 v119, 32, v119
	v_subrev_nc_u32_e32 v128, 28, v119
	v_sub_nc_u32_e32 v119, 29, v119
	s_delay_alu instid0(VALU_DEP_1) | instskip(NEXT) | instid1(VALU_DEP_1)
	v_dual_cndmask_b32 v119, v129, v119 :: v_dual_lshlrev_b32 v128, v128, v20
	v_and_b32_e32 v128, 7, v128
	s_delay_alu instid0(VALU_DEP_2) | instskip(NEXT) | instid1(VALU_DEP_2)
	v_lshl_add_u32 v119, v119, 23, 0x3b800000
	v_cndmask_b32_e32 v118, v118, v128, vcc_lo
	v_and_b32_e32 v128, 0x80000000, v130
	s_delay_alu instid0(VALU_DEP_2) | instskip(NEXT) | instid1(VALU_DEP_1)
	v_lshlrev_b32_e32 v118, 20, v118
	v_or3_b32 v118, v128, v119, v118
.LBB4_384:                              ;   in Loop: Header=BB4_143 Depth=2
	s_or_b32 exec_lo, exec_lo, s26
	s_delay_alu instid0(VALU_DEP_1) | instskip(SKIP_1) | instid1(VALU_DEP_1)
	v_dual_max_f32 v118, v118, v118 :: v_dual_max_f32 v23, v23, v23
	s_mov_b32 s11, 0
	v_max_f32_e32 v118, v23, v118
	s_branch .LBB4_386
.LBB4_385:                              ;   in Loop: Header=BB4_143 Depth=2
	s_mov_b32 s11, -1
                                        ; implicit-def: $vgpr118
.LBB4_386:                              ;   in Loop: Header=BB4_143 Depth=2
	s_delay_alu instid0(SALU_CYCLE_1)
	s_and_b32 vcc_lo, exec_lo, s11
	s_cbranch_vccz .LBB4_396
; %bb.387:                              ;   in Loop: Header=BB4_143 Depth=2
	v_and_b32_e32 v118, 0xff, v24
	s_mov_b32 s11, 0
	s_mov_b32 s27, exec_lo
                                        ; implicit-def: $sgpr26
	s_delay_alu instid0(VALU_DEP_1)
	v_cmpx_lt_i16_e32 0x7f, v118
	s_xor_b32 s27, exec_lo, s27
	s_cbranch_execnz .LBB4_1205
; %bb.388:                              ;   in Loop: Header=BB4_143 Depth=2
	s_or_saveexec_b32 s27, s27
	v_mov_b32_e32 v23, s26
	s_xor_b32 exec_lo, exec_lo, s27
	s_cbranch_execnz .LBB4_1208
.LBB4_389:                              ;   in Loop: Header=BB4_143 Depth=2
	s_or_b32 exec_lo, exec_lo, s27
	s_and_saveexec_b32 s26, s11
	s_cbranch_execz .LBB4_391
.LBB4_390:                              ;   in Loop: Header=BB4_143 Depth=2
	v_bfe_u32 v128, v24, 3, 4
	v_lshlrev_b32_e32 v129, 24, v24
	s_delay_alu instid0(VALU_DEP_2) | instskip(SKIP_1) | instid1(VALU_DEP_1)
	v_cmp_eq_u32_e32 vcc_lo, 0, v128
	v_and_b32_e32 v23, 7, v24
	v_clz_i32_u32_e32 v118, v23
	s_delay_alu instid0(VALU_DEP_1) | instskip(NEXT) | instid1(VALU_DEP_1)
	v_min_u32_e32 v118, 32, v118
	v_subrev_nc_u32_e32 v119, 28, v118
	v_sub_nc_u32_e32 v118, 29, v118
	s_delay_alu instid0(VALU_DEP_1) | instskip(NEXT) | instid1(VALU_DEP_1)
	v_dual_cndmask_b32 v118, v128, v118 :: v_dual_lshlrev_b32 v119, v119, v24
	v_and_b32_e32 v119, 7, v119
	s_delay_alu instid0(VALU_DEP_2) | instskip(NEXT) | instid1(VALU_DEP_2)
	v_lshl_add_u32 v118, v118, 23, 0x3b800000
	v_cndmask_b32_e32 v23, v23, v119, vcc_lo
	v_and_b32_e32 v119, 0x80000000, v129
	s_delay_alu instid0(VALU_DEP_2) | instskip(NEXT) | instid1(VALU_DEP_1)
	v_lshlrev_b32_e32 v23, 20, v23
	v_or3_b32 v23, v119, v118, v23
.LBB4_391:                              ;   in Loop: Header=BB4_143 Depth=2
	s_or_b32 exec_lo, exec_lo, s26
	v_and_b32_e32 v119, 0xff, v20
	s_mov_b32 s11, 0
	s_mov_b32 s27, exec_lo
                                        ; implicit-def: $sgpr26
	s_delay_alu instid0(VALU_DEP_1)
	v_cmpx_lt_i16_e32 0x7f, v119
	s_xor_b32 s27, exec_lo, s27
	s_cbranch_execnz .LBB4_1209
; %bb.392:                              ;   in Loop: Header=BB4_143 Depth=2
	s_or_saveexec_b32 s27, s27
	v_mov_b32_e32 v118, s26
	s_xor_b32 exec_lo, exec_lo, s27
	s_cbranch_execnz .LBB4_1212
.LBB4_393:                              ;   in Loop: Header=BB4_143 Depth=2
	s_or_b32 exec_lo, exec_lo, s27
	s_and_saveexec_b32 s26, s11
	s_cbranch_execz .LBB4_395
.LBB4_394:                              ;   in Loop: Header=BB4_143 Depth=2
	v_bfe_u32 v129, v20, 3, 4
	v_lshlrev_b32_e32 v130, 24, v20
	s_delay_alu instid0(VALU_DEP_2) | instskip(SKIP_1) | instid1(VALU_DEP_1)
	v_cmp_eq_u32_e32 vcc_lo, 0, v129
	v_and_b32_e32 v118, 7, v20
	v_clz_i32_u32_e32 v119, v118
	s_delay_alu instid0(VALU_DEP_1) | instskip(NEXT) | instid1(VALU_DEP_1)
	v_min_u32_e32 v119, 32, v119
	v_subrev_nc_u32_e32 v128, 28, v119
	v_sub_nc_u32_e32 v119, 29, v119
	s_delay_alu instid0(VALU_DEP_1) | instskip(NEXT) | instid1(VALU_DEP_1)
	v_dual_cndmask_b32 v119, v129, v119 :: v_dual_lshlrev_b32 v128, v128, v20
	v_and_b32_e32 v128, 7, v128
	s_delay_alu instid0(VALU_DEP_2) | instskip(NEXT) | instid1(VALU_DEP_2)
	v_lshl_add_u32 v119, v119, 23, 0x3b800000
	v_cndmask_b32_e32 v118, v118, v128, vcc_lo
	v_and_b32_e32 v128, 0x80000000, v130
	s_delay_alu instid0(VALU_DEP_2) | instskip(NEXT) | instid1(VALU_DEP_1)
	v_lshlrev_b32_e32 v118, 20, v118
	v_or3_b32 v118, v128, v119, v118
.LBB4_395:                              ;   in Loop: Header=BB4_143 Depth=2
	s_or_b32 exec_lo, exec_lo, s26
	s_delay_alu instid0(VALU_DEP_1) | instskip(NEXT) | instid1(VALU_DEP_1)
	v_dual_max_f32 v118, v118, v118 :: v_dual_max_f32 v23, v23, v23
	v_min_f32_e32 v118, v23, v118
.LBB4_396:                              ;   in Loop: Header=BB4_143 Depth=2
	s_delay_alu instid0(VALU_DEP_1) | instskip(NEXT) | instid1(VALU_DEP_1)
	v_and_b32_e32 v23, 0x7f800000, v118
	v_cmp_ne_u32_e32 vcc_lo, 0x7f800000, v23
	v_mov_b32_e32 v23, 0x80
	s_and_saveexec_b32 s26, vcc_lo
	s_cbranch_execz .LBB4_404
; %bb.397:                              ;   in Loop: Header=BB4_143 Depth=2
	v_mov_b32_e32 v23, 0
	s_mov_b32 s27, exec_lo
	v_cmpx_ne_u32_e32 0, v118
	s_cbranch_execz .LBB4_403
; %bb.398:                              ;   in Loop: Header=BB4_143 Depth=2
	v_bfe_u32 v23, v118, 23, 8
	s_delay_alu instid0(VALU_DEP_1) | instskip(SKIP_1) | instid1(VALU_DEP_2)
	v_sub_nc_u32_e32 v128, 0x78, v23
	v_cmp_gt_u32_e32 vcc_lo, 0x79, v23
	v_dual_cndmask_b32 v128, 0, v128 :: v_dual_and_b32 v119, 0x7fffff, v118
	s_delay_alu instid0(VALU_DEP_1) | instskip(SKIP_2) | instid1(VALU_DEP_4)
	v_or_b32_e32 v129, 0x800000, v119
	v_cmp_eq_u32_e32 vcc_lo, 0, v23
	v_add_nc_u32_e32 v23, 0xffffff89, v23
	v_cndmask_b32_e64 v128, v128, 0x77, vcc_lo
	s_delay_alu instid0(VALU_DEP_4) | instskip(NEXT) | instid1(VALU_DEP_3)
	v_cndmask_b32_e32 v119, v129, v119, vcc_lo
	v_cndmask_b32_e64 v23, v23, 0xffffff8a, vcc_lo
	s_delay_alu instid0(VALU_DEP_3) | instskip(NEXT) | instid1(VALU_DEP_3)
	v_lshl_add_u32 v129, 0x100000, v128, -1
	v_lshrrev_b32_e32 v130, v128, v119
	v_lshlrev_b32_e64 v132, v128, 0x80000
	s_delay_alu instid0(VALU_DEP_4) | instskip(NEXT) | instid1(VALU_DEP_4)
	v_add_nc_u32_e32 v128, v128, v23
	v_and_b32_e32 v119, v129, v119
	s_delay_alu instid0(VALU_DEP_4) | instskip(NEXT) | instid1(VALU_DEP_2)
	v_bfe_u32 v131, v130, 20, 1
	v_cmp_eq_u32_e64 s11, v119, v132
	s_delay_alu instid0(VALU_DEP_2) | instskip(NEXT) | instid1(VALU_DEP_1)
	v_add_nc_u32_e32 v129, -1, v131
	v_cndmask_b32_e64 v119, 0, v129, s11
	v_lshrrev_b32_e32 v129, 23, v130
	s_mov_b32 s11, exec_lo
	s_delay_alu instid0(VALU_DEP_2) | instskip(NEXT) | instid1(VALU_DEP_2)
	v_add_nc_u32_e32 v119, v119, v130
	v_xor_b32_e32 v129, 1, v129
	s_delay_alu instid0(VALU_DEP_2) | instskip(NEXT) | instid1(VALU_DEP_1)
	v_and_b32_e32 v23, 0xfffff, v119
	v_add_nc_u32_e32 v119, v23, v130
                                        ; implicit-def: $vgpr23
	s_delay_alu instid0(VALU_DEP_3)
	v_cmpx_ne_u32_e64 v128, v129
	s_xor_b32 s11, exec_lo, s11
; %bb.399:                              ;   in Loop: Header=BB4_143 Depth=2
	s_delay_alu instid0(VALU_DEP_2) | instskip(SKIP_2) | instid1(VALU_DEP_2)
	v_cmp_lt_u32_e32 vcc_lo, 0xffffff, v119
	v_sub_nc_u32_e32 v23, v128, v129
	v_cndmask_b32_e64 v128, 0, 1, vcc_lo
	v_add_co_ci_u32_e32 v23, vcc_lo, 0, v23, vcc_lo
	s_delay_alu instid0(VALU_DEP_2)
	v_lshrrev_b32_e32 v119, v128, v119
; %bb.400:                              ;   in Loop: Header=BB4_143 Depth=2
	s_and_not1_saveexec_b32 s11, s11
; %bb.401:                              ;   in Loop: Header=BB4_143 Depth=2
	s_delay_alu instid0(VALU_DEP_1)
	v_bfe_u32 v23, v119, 23, 1
; %bb.402:                              ;   in Loop: Header=BB4_143 Depth=2
	s_or_b32 exec_lo, exec_lo, s11
	v_lshrrev_b32_e32 v119, 20, v119
	s_delay_alu instid0(VALU_DEP_2) | instskip(SKIP_2) | instid1(VALU_DEP_2)
	v_cmp_gt_i32_e32 vcc_lo, 16, v23
	v_lshrrev_b32_e32 v118, 24, v118
	v_min_i32_e32 v128, 15, v23
	v_dual_cndmask_b32 v119, 7, v119 :: v_dual_and_b32 v118, 0x80, v118
	s_delay_alu instid0(VALU_DEP_1) | instskip(SKIP_1) | instid1(VALU_DEP_2)
	v_or_b32_e32 v23, v23, v119
	v_and_b32_e32 v129, 7, v119
	v_cmp_ne_u32_e32 vcc_lo, 0, v23
	v_lshlrev_b32_e32 v128, 3, v128
	s_delay_alu instid0(VALU_DEP_1) | instskip(NEXT) | instid1(VALU_DEP_1)
	v_or3_b32 v118, v128, v118, v129
	v_cndmask_b32_e32 v23, 0, v118, vcc_lo
.LBB4_403:                              ;   in Loop: Header=BB4_143 Depth=2
	s_or_b32 exec_lo, exec_lo, s27
.LBB4_404:                              ;   in Loop: Header=BB4_143 Depth=2
	s_delay_alu instid0(SALU_CYCLE_1)
	s_or_b32 exec_lo, exec_lo, s26
	v_lshrrev_b16 v119, 8, v24
	v_lshrrev_b16 v118, 8, v20
	s_and_b32 vcc_lo, exec_lo, s25
	s_cbranch_vccz .LBB4_414
; %bb.405:                              ;   in Loop: Header=BB4_143 Depth=2
	s_mov_b32 s11, 0
	s_mov_b32 s27, exec_lo
                                        ; implicit-def: $sgpr26
	v_cmpx_lt_i16_e32 0x7f, v119
	s_xor_b32 s27, exec_lo, s27
	s_cbranch_execnz .LBB4_1213
; %bb.406:                              ;   in Loop: Header=BB4_143 Depth=2
	s_or_saveexec_b32 s27, s27
	v_mov_b32_e32 v128, s26
	s_xor_b32 exec_lo, exec_lo, s27
	s_cbranch_execnz .LBB4_1216
.LBB4_407:                              ;   in Loop: Header=BB4_143 Depth=2
	s_or_b32 exec_lo, exec_lo, s27
	s_and_saveexec_b32 s26, s11
	s_cbranch_execz .LBB4_409
.LBB4_408:                              ;   in Loop: Header=BB4_143 Depth=2
	v_and_b32_e32 v128, 0xffff, v119
	s_delay_alu instid0(VALU_DEP_1) | instskip(NEXT) | instid1(VALU_DEP_1)
	v_and_b32_e32 v129, 7, v128
	v_clz_i32_u32_e32 v130, v129
	s_delay_alu instid0(VALU_DEP_1) | instskip(NEXT) | instid1(VALU_DEP_1)
	v_min_u32_e32 v130, 32, v130
	v_subrev_nc_u32_e32 v131, 28, v130
	v_sub_nc_u32_e32 v130, 29, v130
	s_delay_alu instid0(VALU_DEP_2) | instskip(SKIP_1) | instid1(VALU_DEP_2)
	v_lshlrev_b32_e32 v131, v131, v128
	v_bfe_u32 v128, v128, 3, 4
	v_and_b32_e32 v131, 7, v131
	s_delay_alu instid0(VALU_DEP_2) | instskip(SKIP_1) | instid1(VALU_DEP_3)
	v_cmp_eq_u32_e32 vcc_lo, 0, v128
	v_cndmask_b32_e32 v128, v128, v130, vcc_lo
	v_dual_cndmask_b32 v129, v129, v131 :: v_dual_lshlrev_b32 v132, 16, v24
	s_delay_alu instid0(VALU_DEP_2) | instskip(NEXT) | instid1(VALU_DEP_2)
	v_lshl_add_u32 v128, v128, 23, 0x3b800000
	v_and_b32_e32 v130, 0x80000000, v132
	s_delay_alu instid0(VALU_DEP_3) | instskip(NEXT) | instid1(VALU_DEP_1)
	v_lshlrev_b32_e32 v129, 20, v129
	v_or3_b32 v128, v130, v128, v129
.LBB4_409:                              ;   in Loop: Header=BB4_143 Depth=2
	s_or_b32 exec_lo, exec_lo, s26
	s_mov_b32 s11, 0
	s_mov_b32 s27, exec_lo
                                        ; implicit-def: $sgpr26
	v_cmpx_lt_i16_e32 0x7f, v118
	s_xor_b32 s27, exec_lo, s27
	s_cbranch_execnz .LBB4_1217
; %bb.410:                              ;   in Loop: Header=BB4_143 Depth=2
	s_or_saveexec_b32 s27, s27
	v_mov_b32_e32 v129, s26
	s_xor_b32 exec_lo, exec_lo, s27
	s_cbranch_execnz .LBB4_1220
.LBB4_411:                              ;   in Loop: Header=BB4_143 Depth=2
	s_or_b32 exec_lo, exec_lo, s27
	s_and_saveexec_b32 s26, s11
	s_cbranch_execz .LBB4_413
.LBB4_412:                              ;   in Loop: Header=BB4_143 Depth=2
	v_and_b32_e32 v129, 0xffff, v118
	v_lshlrev_b32_e32 v133, 16, v20
	s_delay_alu instid0(VALU_DEP_2) | instskip(NEXT) | instid1(VALU_DEP_1)
	v_and_b32_e32 v130, 7, v129
	v_clz_i32_u32_e32 v131, v130
	s_delay_alu instid0(VALU_DEP_1) | instskip(NEXT) | instid1(VALU_DEP_1)
	v_min_u32_e32 v131, 32, v131
	v_subrev_nc_u32_e32 v132, 28, v131
	v_sub_nc_u32_e32 v131, 29, v131
	s_delay_alu instid0(VALU_DEP_2) | instskip(SKIP_1) | instid1(VALU_DEP_2)
	v_lshlrev_b32_e32 v132, v132, v129
	v_bfe_u32 v129, v129, 3, 4
	v_and_b32_e32 v132, 7, v132
	s_delay_alu instid0(VALU_DEP_2) | instskip(NEXT) | instid1(VALU_DEP_2)
	v_cmp_eq_u32_e32 vcc_lo, 0, v129
	v_dual_cndmask_b32 v129, v129, v131 :: v_dual_cndmask_b32 v130, v130, v132
	v_and_b32_e32 v131, 0x80000000, v133
	s_delay_alu instid0(VALU_DEP_2) | instskip(NEXT) | instid1(VALU_DEP_3)
	v_lshl_add_u32 v129, v129, 23, 0x3b800000
	v_lshlrev_b32_e32 v130, 20, v130
	s_delay_alu instid0(VALU_DEP_1)
	v_or3_b32 v129, v131, v129, v130
.LBB4_413:                              ;   in Loop: Header=BB4_143 Depth=2
	s_or_b32 exec_lo, exec_lo, s26
	s_delay_alu instid0(VALU_DEP_1) | instskip(SKIP_1) | instid1(VALU_DEP_1)
	v_dual_max_f32 v129, v129, v129 :: v_dual_max_f32 v128, v128, v128
	s_mov_b32 s11, 0
	v_max_f32_e32 v128, v128, v129
	s_branch .LBB4_415
.LBB4_414:                              ;   in Loop: Header=BB4_143 Depth=2
	s_mov_b32 s11, -1
                                        ; implicit-def: $vgpr128
.LBB4_415:                              ;   in Loop: Header=BB4_143 Depth=2
	s_delay_alu instid0(SALU_CYCLE_1)
	s_and_b32 vcc_lo, exec_lo, s11
	s_cbranch_vccz .LBB4_425
; %bb.416:                              ;   in Loop: Header=BB4_143 Depth=2
	s_mov_b32 s11, 0
	s_mov_b32 s27, exec_lo
                                        ; implicit-def: $sgpr26
	v_cmpx_lt_i16_e32 0x7f, v119
	s_xor_b32 s27, exec_lo, s27
	s_cbranch_execnz .LBB4_1221
; %bb.417:                              ;   in Loop: Header=BB4_143 Depth=2
	s_or_saveexec_b32 s27, s27
	v_mov_b32_e32 v128, s26
	s_xor_b32 exec_lo, exec_lo, s27
	s_cbranch_execnz .LBB4_1224
.LBB4_418:                              ;   in Loop: Header=BB4_143 Depth=2
	s_or_b32 exec_lo, exec_lo, s27
	s_and_saveexec_b32 s26, s11
	s_cbranch_execz .LBB4_420
.LBB4_419:                              ;   in Loop: Header=BB4_143 Depth=2
	v_and_b32_e32 v119, 0xffff, v119
	v_lshlrev_b32_e32 v131, 16, v24
	s_delay_alu instid0(VALU_DEP_2) | instskip(NEXT) | instid1(VALU_DEP_1)
	v_and_b32_e32 v128, 7, v119
	v_clz_i32_u32_e32 v129, v128
	s_delay_alu instid0(VALU_DEP_1) | instskip(NEXT) | instid1(VALU_DEP_1)
	v_min_u32_e32 v129, 32, v129
	v_subrev_nc_u32_e32 v130, 28, v129
	v_sub_nc_u32_e32 v129, 29, v129
	s_delay_alu instid0(VALU_DEP_2) | instskip(SKIP_1) | instid1(VALU_DEP_2)
	v_lshlrev_b32_e32 v130, v130, v119
	v_bfe_u32 v119, v119, 3, 4
	v_and_b32_e32 v130, 7, v130
	s_delay_alu instid0(VALU_DEP_2) | instskip(NEXT) | instid1(VALU_DEP_2)
	v_cmp_eq_u32_e32 vcc_lo, 0, v119
	v_dual_cndmask_b32 v119, v119, v129 :: v_dual_cndmask_b32 v128, v128, v130
	v_and_b32_e32 v129, 0x80000000, v131
	s_delay_alu instid0(VALU_DEP_2) | instskip(NEXT) | instid1(VALU_DEP_3)
	v_lshl_add_u32 v119, v119, 23, 0x3b800000
	v_lshlrev_b32_e32 v128, 20, v128
	s_delay_alu instid0(VALU_DEP_1)
	v_or3_b32 v128, v129, v119, v128
.LBB4_420:                              ;   in Loop: Header=BB4_143 Depth=2
	s_or_b32 exec_lo, exec_lo, s26
	s_mov_b32 s11, 0
	s_mov_b32 s27, exec_lo
                                        ; implicit-def: $sgpr26
	v_cmpx_lt_i16_e32 0x7f, v118
	s_xor_b32 s27, exec_lo, s27
	s_cbranch_execnz .LBB4_1225
; %bb.421:                              ;   in Loop: Header=BB4_143 Depth=2
	s_or_saveexec_b32 s27, s27
	v_mov_b32_e32 v119, s26
	s_xor_b32 exec_lo, exec_lo, s27
	s_cbranch_execnz .LBB4_1228
.LBB4_422:                              ;   in Loop: Header=BB4_143 Depth=2
	s_or_b32 exec_lo, exec_lo, s27
	s_and_saveexec_b32 s26, s11
	s_cbranch_execz .LBB4_424
.LBB4_423:                              ;   in Loop: Header=BB4_143 Depth=2
	v_and_b32_e32 v118, 0xffff, v118
	v_lshlrev_b32_e32 v131, 16, v20
	s_delay_alu instid0(VALU_DEP_2) | instskip(NEXT) | instid1(VALU_DEP_1)
	v_and_b32_e32 v119, 7, v118
	v_clz_i32_u32_e32 v129, v119
	s_delay_alu instid0(VALU_DEP_1) | instskip(NEXT) | instid1(VALU_DEP_1)
	v_min_u32_e32 v129, 32, v129
	v_subrev_nc_u32_e32 v130, 28, v129
	v_sub_nc_u32_e32 v129, 29, v129
	s_delay_alu instid0(VALU_DEP_2) | instskip(SKIP_1) | instid1(VALU_DEP_2)
	v_lshlrev_b32_e32 v130, v130, v118
	v_bfe_u32 v118, v118, 3, 4
	v_and_b32_e32 v130, 7, v130
	s_delay_alu instid0(VALU_DEP_2) | instskip(NEXT) | instid1(VALU_DEP_2)
	v_cmp_eq_u32_e32 vcc_lo, 0, v118
	v_dual_cndmask_b32 v118, v118, v129 :: v_dual_cndmask_b32 v119, v119, v130
	v_and_b32_e32 v129, 0x80000000, v131
	s_delay_alu instid0(VALU_DEP_2) | instskip(NEXT) | instid1(VALU_DEP_3)
	v_lshl_add_u32 v118, v118, 23, 0x3b800000
	v_lshlrev_b32_e32 v119, 20, v119
	s_delay_alu instid0(VALU_DEP_1)
	v_or3_b32 v119, v129, v118, v119
.LBB4_424:                              ;   in Loop: Header=BB4_143 Depth=2
	s_or_b32 exec_lo, exec_lo, s26
	s_delay_alu instid0(VALU_DEP_1) | instskip(NEXT) | instid1(VALU_DEP_1)
	v_dual_max_f32 v118, v119, v119 :: v_dual_max_f32 v119, v128, v128
	v_min_f32_e32 v128, v119, v118
.LBB4_425:                              ;   in Loop: Header=BB4_143 Depth=2
	s_delay_alu instid0(VALU_DEP_1) | instskip(NEXT) | instid1(VALU_DEP_1)
	v_and_b32_e32 v118, 0x7f800000, v128
	v_cmp_ne_u32_e32 vcc_lo, 0x7f800000, v118
	v_mov_b32_e32 v118, 0x80
	s_and_saveexec_b32 s26, vcc_lo
	s_cbranch_execz .LBB4_433
; %bb.426:                              ;   in Loop: Header=BB4_143 Depth=2
	v_mov_b32_e32 v118, 0
	s_mov_b32 s27, exec_lo
	v_cmpx_ne_u32_e32 0, v128
	s_cbranch_execz .LBB4_432
; %bb.427:                              ;   in Loop: Header=BB4_143 Depth=2
	v_bfe_u32 v118, v128, 23, 8
	v_and_b32_e32 v119, 0x7fffff, v128
	s_delay_alu instid0(VALU_DEP_2) | instskip(SKIP_1) | instid1(VALU_DEP_3)
	v_sub_nc_u32_e32 v129, 0x78, v118
	v_cmp_gt_u32_e32 vcc_lo, 0x79, v118
	v_or_b32_e32 v130, 0x800000, v119
	s_delay_alu instid0(VALU_DEP_3) | instskip(SKIP_2) | instid1(VALU_DEP_3)
	v_cndmask_b32_e32 v129, 0, v129, vcc_lo
	v_cmp_eq_u32_e32 vcc_lo, 0, v118
	v_add_nc_u32_e32 v118, 0xffffff89, v118
	v_cndmask_b32_e64 v129, v129, 0x77, vcc_lo
	v_cndmask_b32_e32 v119, v130, v119, vcc_lo
	s_delay_alu instid0(VALU_DEP_3) | instskip(NEXT) | instid1(VALU_DEP_3)
	v_cndmask_b32_e64 v118, v118, 0xffffff8a, vcc_lo
	v_lshl_add_u32 v130, 0x100000, v129, -1
	s_delay_alu instid0(VALU_DEP_3) | instskip(SKIP_1) | instid1(VALU_DEP_4)
	v_lshrrev_b32_e32 v131, v129, v119
	v_lshlrev_b32_e64 v133, v129, 0x80000
	v_add_nc_u32_e32 v129, v129, v118
	s_delay_alu instid0(VALU_DEP_4) | instskip(NEXT) | instid1(VALU_DEP_4)
	v_and_b32_e32 v119, v130, v119
	v_bfe_u32 v132, v131, 20, 1
	s_delay_alu instid0(VALU_DEP_2) | instskip(NEXT) | instid1(VALU_DEP_2)
	v_cmp_eq_u32_e64 s11, v119, v133
	v_add_nc_u32_e32 v130, -1, v132
	s_delay_alu instid0(VALU_DEP_1) | instskip(SKIP_2) | instid1(VALU_DEP_2)
	v_cndmask_b32_e64 v119, 0, v130, s11
	v_lshrrev_b32_e32 v130, 23, v131
	s_mov_b32 s11, exec_lo
	v_add_nc_u32_e32 v119, v119, v131
	s_delay_alu instid0(VALU_DEP_2) | instskip(NEXT) | instid1(VALU_DEP_2)
	v_xor_b32_e32 v130, 1, v130
	v_and_b32_e32 v118, 0xfffff, v119
	s_delay_alu instid0(VALU_DEP_1) | instskip(NEXT) | instid1(VALU_DEP_3)
	v_add_nc_u32_e32 v119, v118, v131
                                        ; implicit-def: $vgpr118
	v_cmpx_ne_u32_e64 v129, v130
	s_xor_b32 s11, exec_lo, s11
; %bb.428:                              ;   in Loop: Header=BB4_143 Depth=2
	s_delay_alu instid0(VALU_DEP_2) | instskip(SKIP_2) | instid1(VALU_DEP_2)
	v_cmp_lt_u32_e32 vcc_lo, 0xffffff, v119
	v_sub_nc_u32_e32 v118, v129, v130
	v_cndmask_b32_e64 v129, 0, 1, vcc_lo
	v_add_co_ci_u32_e32 v118, vcc_lo, 0, v118, vcc_lo
	s_delay_alu instid0(VALU_DEP_2)
	v_lshrrev_b32_e32 v119, v129, v119
; %bb.429:                              ;   in Loop: Header=BB4_143 Depth=2
	s_and_not1_saveexec_b32 s11, s11
; %bb.430:                              ;   in Loop: Header=BB4_143 Depth=2
	s_delay_alu instid0(VALU_DEP_1)
	v_bfe_u32 v118, v119, 23, 1
; %bb.431:                              ;   in Loop: Header=BB4_143 Depth=2
	s_or_b32 exec_lo, exec_lo, s11
	v_lshrrev_b32_e32 v119, 20, v119
	s_delay_alu instid0(VALU_DEP_2) | instskip(SKIP_2) | instid1(VALU_DEP_2)
	v_cmp_gt_i32_e32 vcc_lo, 16, v118
	v_lshrrev_b32_e32 v128, 24, v128
	v_min_i32_e32 v129, 15, v118
	v_dual_cndmask_b32 v119, 7, v119 :: v_dual_and_b32 v128, 0x80, v128
	s_delay_alu instid0(VALU_DEP_1) | instskip(SKIP_1) | instid1(VALU_DEP_2)
	v_or_b32_e32 v118, v118, v119
	v_and_b32_e32 v130, 7, v119
	v_cmp_ne_u32_e32 vcc_lo, 0, v118
	v_lshlrev_b32_e32 v129, 3, v129
	s_delay_alu instid0(VALU_DEP_1) | instskip(NEXT) | instid1(VALU_DEP_1)
	v_or3_b32 v119, v129, v128, v130
	v_cndmask_b32_e32 v118, 0, v119, vcc_lo
.LBB4_432:                              ;   in Loop: Header=BB4_143 Depth=2
	s_or_b32 exec_lo, exec_lo, s27
.LBB4_433:                              ;   in Loop: Header=BB4_143 Depth=2
	s_delay_alu instid0(SALU_CYCLE_1)
	s_or_b32 exec_lo, exec_lo, s26
	v_lshrrev_b32_e32 v128, 16, v24
	v_lshrrev_b32_e32 v119, 16, v20
	s_and_b32 vcc_lo, exec_lo, s25
	s_cbranch_vccz .LBB4_443
; %bb.434:                              ;   in Loop: Header=BB4_143 Depth=2
	s_delay_alu instid0(VALU_DEP_2) | instskip(SKIP_2) | instid1(VALU_DEP_1)
	v_and_b32_e32 v130, 0xff, v128
	s_mov_b32 s11, 0
	s_mov_b32 s27, exec_lo
                                        ; implicit-def: $sgpr26
	v_cmpx_lt_i16_e64 0x7f, v130
	s_xor_b32 s27, exec_lo, s27
	s_cbranch_execnz .LBB4_1229
; %bb.435:                              ;   in Loop: Header=BB4_143 Depth=2
	s_or_saveexec_b32 s27, s27
	v_mov_b32_e32 v129, s26
	s_xor_b32 exec_lo, exec_lo, s27
	s_cbranch_execnz .LBB4_1232
.LBB4_436:                              ;   in Loop: Header=BB4_143 Depth=2
	s_or_b32 exec_lo, exec_lo, s27
	s_and_saveexec_b32 s26, s11
	s_cbranch_execz .LBB4_438
.LBB4_437:                              ;   in Loop: Header=BB4_143 Depth=2
	v_bfe_u32 v129, v24, 16, 3
	v_bfe_u32 v132, v24, 19, 4
	v_lshlrev_b32_e32 v133, 24, v128
	s_delay_alu instid0(VALU_DEP_3) | instskip(NEXT) | instid1(VALU_DEP_3)
	v_clz_i32_u32_e32 v130, v129
	v_cmp_eq_u32_e32 vcc_lo, 0, v132
	s_delay_alu instid0(VALU_DEP_2) | instskip(NEXT) | instid1(VALU_DEP_1)
	v_min_u32_e32 v130, 32, v130
	v_subrev_nc_u32_e32 v131, 28, v130
	v_sub_nc_u32_e32 v130, 29, v130
	s_delay_alu instid0(VALU_DEP_1) | instskip(NEXT) | instid1(VALU_DEP_1)
	v_dual_cndmask_b32 v130, v132, v130 :: v_dual_lshlrev_b32 v131, v131, v128
	v_and_b32_e32 v131, 7, v131
	s_delay_alu instid0(VALU_DEP_2) | instskip(NEXT) | instid1(VALU_DEP_2)
	v_lshl_add_u32 v130, v130, 23, 0x3b800000
	v_cndmask_b32_e32 v129, v129, v131, vcc_lo
	v_and_b32_e32 v131, 0x80000000, v133
	s_delay_alu instid0(VALU_DEP_2) | instskip(NEXT) | instid1(VALU_DEP_1)
	v_lshlrev_b32_e32 v129, 20, v129
	v_or3_b32 v129, v131, v130, v129
.LBB4_438:                              ;   in Loop: Header=BB4_143 Depth=2
	s_or_b32 exec_lo, exec_lo, s26
	v_and_b32_e32 v131, 0xff, v119
	s_mov_b32 s11, 0
	s_mov_b32 s27, exec_lo
                                        ; implicit-def: $sgpr26
	s_delay_alu instid0(VALU_DEP_1)
	v_cmpx_lt_i16_e64 0x7f, v131
	s_xor_b32 s27, exec_lo, s27
	s_cbranch_execnz .LBB4_1233
; %bb.439:                              ;   in Loop: Header=BB4_143 Depth=2
	s_or_saveexec_b32 s27, s27
	v_mov_b32_e32 v130, s26
	s_xor_b32 exec_lo, exec_lo, s27
	s_cbranch_execnz .LBB4_1236
.LBB4_440:                              ;   in Loop: Header=BB4_143 Depth=2
	s_or_b32 exec_lo, exec_lo, s27
	s_and_saveexec_b32 s26, s11
	s_cbranch_execz .LBB4_442
.LBB4_441:                              ;   in Loop: Header=BB4_143 Depth=2
	v_bfe_u32 v130, v20, 16, 3
	v_bfe_u32 v133, v20, 19, 4
	v_lshlrev_b32_e32 v134, 24, v119
	s_delay_alu instid0(VALU_DEP_3) | instskip(NEXT) | instid1(VALU_DEP_3)
	v_clz_i32_u32_e32 v131, v130
	v_cmp_eq_u32_e32 vcc_lo, 0, v133
	s_delay_alu instid0(VALU_DEP_2) | instskip(NEXT) | instid1(VALU_DEP_1)
	v_min_u32_e32 v131, 32, v131
	v_subrev_nc_u32_e32 v132, 28, v131
	v_sub_nc_u32_e32 v131, 29, v131
	s_delay_alu instid0(VALU_DEP_2) | instskip(NEXT) | instid1(VALU_DEP_1)
	v_lshlrev_b32_e32 v132, v132, v119
	v_dual_cndmask_b32 v131, v133, v131 :: v_dual_and_b32 v132, 7, v132
	s_delay_alu instid0(VALU_DEP_1) | instskip(NEXT) | instid1(VALU_DEP_2)
	v_lshl_add_u32 v131, v131, 23, 0x3b800000
	v_cndmask_b32_e32 v130, v130, v132, vcc_lo
	v_and_b32_e32 v132, 0x80000000, v134
	s_delay_alu instid0(VALU_DEP_2) | instskip(NEXT) | instid1(VALU_DEP_1)
	v_lshlrev_b32_e32 v130, 20, v130
	v_or3_b32 v130, v132, v131, v130
.LBB4_442:                              ;   in Loop: Header=BB4_143 Depth=2
	s_or_b32 exec_lo, exec_lo, s26
	s_delay_alu instid0(VALU_DEP_1) | instskip(SKIP_1) | instid1(VALU_DEP_1)
	v_dual_max_f32 v130, v130, v130 :: v_dual_max_f32 v129, v129, v129
	s_mov_b32 s11, 0
	v_max_f32_e32 v129, v129, v130
	s_branch .LBB4_444
.LBB4_443:                              ;   in Loop: Header=BB4_143 Depth=2
	s_mov_b32 s11, -1
                                        ; implicit-def: $vgpr129
.LBB4_444:                              ;   in Loop: Header=BB4_143 Depth=2
	s_delay_alu instid0(SALU_CYCLE_1)
	s_and_b32 vcc_lo, exec_lo, s11
	s_cbranch_vccz .LBB4_454
; %bb.445:                              ;   in Loop: Header=BB4_143 Depth=2
	v_and_b32_e32 v130, 0xff, v128
	s_mov_b32 s11, 0
	s_mov_b32 s27, exec_lo
                                        ; implicit-def: $sgpr26
	s_delay_alu instid0(VALU_DEP_1)
	v_cmpx_lt_i16_e64 0x7f, v130
	s_xor_b32 s27, exec_lo, s27
	s_cbranch_execnz .LBB4_1237
; %bb.446:                              ;   in Loop: Header=BB4_143 Depth=2
	s_or_saveexec_b32 s27, s27
	v_mov_b32_e32 v129, s26
	s_xor_b32 exec_lo, exec_lo, s27
	s_cbranch_execnz .LBB4_1240
.LBB4_447:                              ;   in Loop: Header=BB4_143 Depth=2
	s_or_b32 exec_lo, exec_lo, s27
	s_and_saveexec_b32 s26, s11
	s_cbranch_execz .LBB4_449
.LBB4_448:                              ;   in Loop: Header=BB4_143 Depth=2
	v_bfe_u32 v129, v24, 16, 3
	v_bfe_u32 v132, v24, 19, 4
	s_delay_alu instid0(VALU_DEP_2) | instskip(NEXT) | instid1(VALU_DEP_2)
	v_clz_i32_u32_e32 v130, v129
	v_cmp_eq_u32_e32 vcc_lo, 0, v132
	s_delay_alu instid0(VALU_DEP_2) | instskip(NEXT) | instid1(VALU_DEP_1)
	v_min_u32_e32 v130, 32, v130
	v_subrev_nc_u32_e32 v131, 28, v130
	v_sub_nc_u32_e32 v130, 29, v130
	s_delay_alu instid0(VALU_DEP_1) | instskip(NEXT) | instid1(VALU_DEP_1)
	v_dual_cndmask_b32 v130, v132, v130 :: v_dual_lshlrev_b32 v131, v131, v128
	v_and_b32_e32 v131, 7, v131
	v_lshlrev_b32_e32 v128, 24, v128
	s_delay_alu instid0(VALU_DEP_3) | instskip(NEXT) | instid1(VALU_DEP_2)
	v_lshl_add_u32 v130, v130, 23, 0x3b800000
	v_dual_cndmask_b32 v129, v129, v131 :: v_dual_and_b32 v128, 0x80000000, v128
	s_delay_alu instid0(VALU_DEP_1) | instskip(NEXT) | instid1(VALU_DEP_1)
	v_lshlrev_b32_e32 v129, 20, v129
	v_or3_b32 v129, v128, v130, v129
.LBB4_449:                              ;   in Loop: Header=BB4_143 Depth=2
	s_or_b32 exec_lo, exec_lo, s26
	v_and_b32_e32 v130, 0xff, v119
	s_mov_b32 s11, 0
	s_mov_b32 s27, exec_lo
                                        ; implicit-def: $sgpr26
	s_delay_alu instid0(VALU_DEP_1)
	v_cmpx_lt_i16_e64 0x7f, v130
	s_xor_b32 s27, exec_lo, s27
	s_cbranch_execnz .LBB4_1241
; %bb.450:                              ;   in Loop: Header=BB4_143 Depth=2
	s_or_saveexec_b32 s27, s27
	v_mov_b32_e32 v128, s26
	s_xor_b32 exec_lo, exec_lo, s27
	s_cbranch_execnz .LBB4_1244
.LBB4_451:                              ;   in Loop: Header=BB4_143 Depth=2
	s_or_b32 exec_lo, exec_lo, s27
	s_and_saveexec_b32 s26, s11
	s_cbranch_execz .LBB4_453
.LBB4_452:                              ;   in Loop: Header=BB4_143 Depth=2
	v_bfe_u32 v128, v20, 16, 3
	v_bfe_u32 v132, v20, 19, 4
	s_delay_alu instid0(VALU_DEP_2) | instskip(NEXT) | instid1(VALU_DEP_2)
	v_clz_i32_u32_e32 v130, v128
	v_cmp_eq_u32_e32 vcc_lo, 0, v132
	s_delay_alu instid0(VALU_DEP_2) | instskip(NEXT) | instid1(VALU_DEP_1)
	v_min_u32_e32 v130, 32, v130
	v_subrev_nc_u32_e32 v131, 28, v130
	v_sub_nc_u32_e32 v130, 29, v130
	s_delay_alu instid0(VALU_DEP_1) | instskip(SKIP_1) | instid1(VALU_DEP_2)
	v_dual_cndmask_b32 v130, v132, v130 :: v_dual_lshlrev_b32 v131, v131, v119
	v_lshlrev_b32_e32 v119, 24, v119
	v_and_b32_e32 v131, 7, v131
	s_delay_alu instid0(VALU_DEP_3) | instskip(NEXT) | instid1(VALU_DEP_3)
	v_lshl_add_u32 v130, v130, 23, 0x3b800000
	v_and_b32_e32 v119, 0x80000000, v119
	s_delay_alu instid0(VALU_DEP_3) | instskip(NEXT) | instid1(VALU_DEP_1)
	v_cndmask_b32_e32 v128, v128, v131, vcc_lo
	v_lshlrev_b32_e32 v128, 20, v128
	s_delay_alu instid0(VALU_DEP_1)
	v_or3_b32 v128, v119, v130, v128
.LBB4_453:                              ;   in Loop: Header=BB4_143 Depth=2
	s_or_b32 exec_lo, exec_lo, s26
	s_delay_alu instid0(VALU_DEP_1) | instskip(NEXT) | instid1(VALU_DEP_1)
	v_dual_max_f32 v119, v128, v128 :: v_dual_max_f32 v128, v129, v129
	v_min_f32_e32 v129, v128, v119
.LBB4_454:                              ;   in Loop: Header=BB4_143 Depth=2
	s_delay_alu instid0(VALU_DEP_1) | instskip(NEXT) | instid1(VALU_DEP_1)
	v_and_b32_e32 v119, 0x7f800000, v129
	v_cmp_ne_u32_e32 vcc_lo, 0x7f800000, v119
	v_mov_b32_e32 v119, 0x80
	s_and_saveexec_b32 s26, vcc_lo
	s_cbranch_execz .LBB4_462
; %bb.455:                              ;   in Loop: Header=BB4_143 Depth=2
	v_mov_b32_e32 v119, 0
	s_mov_b32 s27, exec_lo
	v_cmpx_ne_u32_e32 0, v129
	s_cbranch_execz .LBB4_461
; %bb.456:                              ;   in Loop: Header=BB4_143 Depth=2
	v_bfe_u32 v119, v129, 23, 8
	v_and_b32_e32 v128, 0x7fffff, v129
	s_delay_alu instid0(VALU_DEP_2) | instskip(SKIP_1) | instid1(VALU_DEP_3)
	v_sub_nc_u32_e32 v130, 0x78, v119
	v_cmp_gt_u32_e32 vcc_lo, 0x79, v119
	v_or_b32_e32 v131, 0x800000, v128
	s_delay_alu instid0(VALU_DEP_3) | instskip(SKIP_2) | instid1(VALU_DEP_3)
	v_cndmask_b32_e32 v130, 0, v130, vcc_lo
	v_cmp_eq_u32_e32 vcc_lo, 0, v119
	v_add_nc_u32_e32 v119, 0xffffff89, v119
	v_cndmask_b32_e64 v130, v130, 0x77, vcc_lo
	v_cndmask_b32_e32 v128, v131, v128, vcc_lo
	s_delay_alu instid0(VALU_DEP_3) | instskip(NEXT) | instid1(VALU_DEP_3)
	v_cndmask_b32_e64 v119, v119, 0xffffff8a, vcc_lo
	v_lshl_add_u32 v131, 0x100000, v130, -1
	s_delay_alu instid0(VALU_DEP_3) | instskip(SKIP_1) | instid1(VALU_DEP_4)
	v_lshrrev_b32_e32 v132, v130, v128
	v_lshlrev_b32_e64 v134, v130, 0x80000
	v_add_nc_u32_e32 v130, v130, v119
	s_delay_alu instid0(VALU_DEP_4) | instskip(NEXT) | instid1(VALU_DEP_4)
	v_and_b32_e32 v128, v131, v128
	v_bfe_u32 v133, v132, 20, 1
	s_delay_alu instid0(VALU_DEP_2) | instskip(NEXT) | instid1(VALU_DEP_2)
	v_cmp_eq_u32_e64 s11, v128, v134
	v_add_nc_u32_e32 v131, -1, v133
	s_delay_alu instid0(VALU_DEP_1) | instskip(SKIP_2) | instid1(VALU_DEP_2)
	v_cndmask_b32_e64 v128, 0, v131, s11
	v_lshrrev_b32_e32 v131, 23, v132
	s_mov_b32 s11, exec_lo
	v_add_nc_u32_e32 v128, v128, v132
	s_delay_alu instid0(VALU_DEP_2) | instskip(NEXT) | instid1(VALU_DEP_2)
	v_xor_b32_e32 v131, 1, v131
	v_and_b32_e32 v119, 0xfffff, v128
	s_delay_alu instid0(VALU_DEP_1) | instskip(NEXT) | instid1(VALU_DEP_3)
	v_add_nc_u32_e32 v128, v119, v132
                                        ; implicit-def: $vgpr119
	v_cmpx_ne_u32_e64 v130, v131
	s_xor_b32 s11, exec_lo, s11
; %bb.457:                              ;   in Loop: Header=BB4_143 Depth=2
	s_delay_alu instid0(VALU_DEP_2) | instskip(SKIP_2) | instid1(VALU_DEP_2)
	v_cmp_lt_u32_e32 vcc_lo, 0xffffff, v128
	v_sub_nc_u32_e32 v119, v130, v131
	v_cndmask_b32_e64 v130, 0, 1, vcc_lo
	v_add_co_ci_u32_e32 v119, vcc_lo, 0, v119, vcc_lo
	s_delay_alu instid0(VALU_DEP_2)
	v_lshrrev_b32_e32 v128, v130, v128
; %bb.458:                              ;   in Loop: Header=BB4_143 Depth=2
	s_and_not1_saveexec_b32 s11, s11
; %bb.459:                              ;   in Loop: Header=BB4_143 Depth=2
	s_delay_alu instid0(VALU_DEP_1)
	v_bfe_u32 v119, v128, 23, 1
; %bb.460:                              ;   in Loop: Header=BB4_143 Depth=2
	s_or_b32 exec_lo, exec_lo, s11
	v_lshrrev_b32_e32 v128, 20, v128
	s_delay_alu instid0(VALU_DEP_2) | instskip(SKIP_2) | instid1(VALU_DEP_2)
	v_cmp_gt_i32_e32 vcc_lo, 16, v119
	v_lshrrev_b32_e32 v129, 24, v129
	v_min_i32_e32 v130, 15, v119
	v_dual_cndmask_b32 v128, 7, v128 :: v_dual_and_b32 v129, 0x80, v129
	s_delay_alu instid0(VALU_DEP_1) | instskip(SKIP_1) | instid1(VALU_DEP_2)
	v_or_b32_e32 v119, v119, v128
	v_and_b32_e32 v131, 7, v128
	v_cmp_ne_u32_e32 vcc_lo, 0, v119
	v_lshlrev_b32_e32 v130, 3, v130
	s_delay_alu instid0(VALU_DEP_1) | instskip(NEXT) | instid1(VALU_DEP_1)
	v_or3_b32 v128, v130, v129, v131
	v_cndmask_b32_e32 v119, 0, v128, vcc_lo
.LBB4_461:                              ;   in Loop: Header=BB4_143 Depth=2
	s_or_b32 exec_lo, exec_lo, s27
.LBB4_462:                              ;   in Loop: Header=BB4_143 Depth=2
	s_delay_alu instid0(SALU_CYCLE_1)
	s_or_b32 exec_lo, exec_lo, s26
	v_lshrrev_b32_e32 v129, 24, v24
	v_lshrrev_b32_e32 v128, 24, v20
	s_and_b32 vcc_lo, exec_lo, s25
	s_cbranch_vccz .LBB4_472
; %bb.463:                              ;   in Loop: Header=BB4_143 Depth=2
	s_mov_b32 s11, 0
	s_mov_b32 s27, exec_lo
                                        ; implicit-def: $sgpr26
	v_cmpx_lt_i16_e64 0x7f, v129
	s_xor_b32 s27, exec_lo, s27
	s_cbranch_execnz .LBB4_1245
; %bb.464:                              ;   in Loop: Header=BB4_143 Depth=2
	s_or_saveexec_b32 s27, s27
	v_mov_b32_e32 v130, s26
	s_xor_b32 exec_lo, exec_lo, s27
	s_cbranch_execnz .LBB4_1248
.LBB4_465:                              ;   in Loop: Header=BB4_143 Depth=2
	s_or_b32 exec_lo, exec_lo, s27
	s_and_saveexec_b32 s26, s11
	s_cbranch_execz .LBB4_467
.LBB4_466:                              ;   in Loop: Header=BB4_143 Depth=2
	v_bfe_u32 v130, v24, 24, 3
	v_bfe_u32 v133, v24, 27, 4
	s_delay_alu instid0(VALU_DEP_2) | instskip(NEXT) | instid1(VALU_DEP_2)
	v_clz_i32_u32_e32 v131, v130
	v_cmp_eq_u32_e32 vcc_lo, 0, v133
	s_delay_alu instid0(VALU_DEP_2) | instskip(NEXT) | instid1(VALU_DEP_1)
	v_min_u32_e32 v131, 32, v131
	v_subrev_nc_u32_e32 v132, 28, v131
	v_sub_nc_u32_e32 v131, 29, v131
	s_delay_alu instid0(VALU_DEP_1) | instskip(NEXT) | instid1(VALU_DEP_1)
	v_dual_cndmask_b32 v131, v133, v131 :: v_dual_lshlrev_b32 v132, v132, v129
	v_and_b32_e32 v132, 7, v132
	s_delay_alu instid0(VALU_DEP_2) | instskip(NEXT) | instid1(VALU_DEP_2)
	v_lshl_add_u32 v131, v131, 23, 0x3b800000
	v_cndmask_b32_e32 v130, v130, v132, vcc_lo
	v_and_b32_e32 v132, 0x80000000, v24
	s_delay_alu instid0(VALU_DEP_2) | instskip(NEXT) | instid1(VALU_DEP_1)
	v_lshlrev_b32_e32 v130, 20, v130
	v_or3_b32 v130, v132, v131, v130
.LBB4_467:                              ;   in Loop: Header=BB4_143 Depth=2
	s_or_b32 exec_lo, exec_lo, s26
	s_mov_b32 s11, 0
	s_mov_b32 s27, exec_lo
                                        ; implicit-def: $sgpr26
	v_cmpx_lt_i16_e64 0x7f, v128
	s_xor_b32 s27, exec_lo, s27
	s_cbranch_execnz .LBB4_1249
; %bb.468:                              ;   in Loop: Header=BB4_143 Depth=2
	s_or_saveexec_b32 s27, s27
	v_mov_b32_e32 v131, s26
	s_xor_b32 exec_lo, exec_lo, s27
	s_cbranch_execnz .LBB4_1252
.LBB4_469:                              ;   in Loop: Header=BB4_143 Depth=2
	s_or_b32 exec_lo, exec_lo, s27
	s_and_saveexec_b32 s26, s11
	s_cbranch_execz .LBB4_471
.LBB4_470:                              ;   in Loop: Header=BB4_143 Depth=2
	v_bfe_u32 v131, v20, 24, 3
	v_bfe_u32 v134, v20, 27, 4
	s_delay_alu instid0(VALU_DEP_2) | instskip(NEXT) | instid1(VALU_DEP_2)
	v_clz_i32_u32_e32 v132, v131
	v_cmp_eq_u32_e32 vcc_lo, 0, v134
	s_delay_alu instid0(VALU_DEP_2) | instskip(NEXT) | instid1(VALU_DEP_1)
	v_min_u32_e32 v132, 32, v132
	v_subrev_nc_u32_e32 v133, 28, v132
	v_sub_nc_u32_e32 v132, 29, v132
	s_delay_alu instid0(VALU_DEP_2) | instskip(NEXT) | instid1(VALU_DEP_1)
	v_lshlrev_b32_e32 v133, v133, v128
	v_dual_cndmask_b32 v132, v134, v132 :: v_dual_and_b32 v133, 7, v133
	s_delay_alu instid0(VALU_DEP_1) | instskip(NEXT) | instid1(VALU_DEP_2)
	v_lshl_add_u32 v132, v132, 23, 0x3b800000
	v_cndmask_b32_e32 v131, v131, v133, vcc_lo
	v_and_b32_e32 v133, 0x80000000, v20
	s_delay_alu instid0(VALU_DEP_2) | instskip(NEXT) | instid1(VALU_DEP_1)
	v_lshlrev_b32_e32 v131, 20, v131
	v_or3_b32 v131, v133, v132, v131
.LBB4_471:                              ;   in Loop: Header=BB4_143 Depth=2
	s_or_b32 exec_lo, exec_lo, s26
	s_delay_alu instid0(VALU_DEP_1) | instskip(SKIP_1) | instid1(VALU_DEP_1)
	v_dual_max_f32 v131, v131, v131 :: v_dual_max_f32 v130, v130, v130
	s_mov_b32 s11, 0
	v_max_f32_e32 v130, v130, v131
	s_branch .LBB4_473
.LBB4_472:                              ;   in Loop: Header=BB4_143 Depth=2
	s_mov_b32 s11, -1
                                        ; implicit-def: $vgpr130
.LBB4_473:                              ;   in Loop: Header=BB4_143 Depth=2
	s_delay_alu instid0(SALU_CYCLE_1)
	s_and_b32 vcc_lo, exec_lo, s11
	s_cbranch_vccz .LBB4_483
; %bb.474:                              ;   in Loop: Header=BB4_143 Depth=2
	s_mov_b32 s11, 0
	s_mov_b32 s27, exec_lo
                                        ; implicit-def: $sgpr26
	v_cmpx_lt_i16_e64 0x7f, v129
	s_xor_b32 s27, exec_lo, s27
	s_cbranch_execnz .LBB4_1253
; %bb.475:                              ;   in Loop: Header=BB4_143 Depth=2
	s_or_saveexec_b32 s27, s27
	v_mov_b32_e32 v130, s26
	s_xor_b32 exec_lo, exec_lo, s27
	s_cbranch_execnz .LBB4_1256
.LBB4_476:                              ;   in Loop: Header=BB4_143 Depth=2
	s_or_b32 exec_lo, exec_lo, s27
	s_and_saveexec_b32 s26, s11
	s_cbranch_execz .LBB4_478
.LBB4_477:                              ;   in Loop: Header=BB4_143 Depth=2
	v_bfe_u32 v130, v24, 24, 3
	s_delay_alu instid0(VALU_DEP_1) | instskip(NEXT) | instid1(VALU_DEP_1)
	v_clz_i32_u32_e32 v131, v130
	v_min_u32_e32 v131, 32, v131
	s_delay_alu instid0(VALU_DEP_1) | instskip(SKIP_1) | instid1(VALU_DEP_2)
	v_subrev_nc_u32_e32 v132, 28, v131
	v_sub_nc_u32_e32 v131, 29, v131
	v_lshlrev_b32_e32 v129, v132, v129
	v_bfe_u32 v132, v24, 27, 4
	v_and_b32_e32 v24, 0x80000000, v24
	s_delay_alu instid0(VALU_DEP_3) | instskip(NEXT) | instid1(VALU_DEP_3)
	v_and_b32_e32 v129, 7, v129
	v_cmp_eq_u32_e32 vcc_lo, 0, v132
	v_cndmask_b32_e32 v131, v132, v131, vcc_lo
	s_delay_alu instid0(VALU_DEP_3) | instskip(NEXT) | instid1(VALU_DEP_2)
	v_cndmask_b32_e32 v129, v130, v129, vcc_lo
	v_lshl_add_u32 v130, v131, 23, 0x3b800000
	s_delay_alu instid0(VALU_DEP_2) | instskip(NEXT) | instid1(VALU_DEP_1)
	v_lshlrev_b32_e32 v129, 20, v129
	v_or3_b32 v130, v24, v130, v129
.LBB4_478:                              ;   in Loop: Header=BB4_143 Depth=2
	s_or_b32 exec_lo, exec_lo, s26
	s_mov_b32 s11, 0
	s_mov_b32 s27, exec_lo
                                        ; implicit-def: $sgpr26
	v_cmpx_lt_i16_e64 0x7f, v128
	s_xor_b32 s27, exec_lo, s27
	s_cbranch_execnz .LBB4_1257
; %bb.479:                              ;   in Loop: Header=BB4_143 Depth=2
	s_or_saveexec_b32 s27, s27
	v_mov_b32_e32 v24, s26
	s_xor_b32 exec_lo, exec_lo, s27
	s_cbranch_execnz .LBB4_1260
.LBB4_480:                              ;   in Loop: Header=BB4_143 Depth=2
	s_or_b32 exec_lo, exec_lo, s27
	s_and_saveexec_b32 s26, s11
	s_cbranch_execz .LBB4_482
.LBB4_481:                              ;   in Loop: Header=BB4_143 Depth=2
	v_bfe_u32 v24, v20, 24, 3
	s_delay_alu instid0(VALU_DEP_1) | instskip(NEXT) | instid1(VALU_DEP_1)
	v_clz_i32_u32_e32 v129, v24
	v_min_u32_e32 v129, 32, v129
	s_delay_alu instid0(VALU_DEP_1) | instskip(SKIP_1) | instid1(VALU_DEP_2)
	v_subrev_nc_u32_e32 v131, 28, v129
	v_sub_nc_u32_e32 v129, 29, v129
	v_lshlrev_b32_e32 v128, v131, v128
	v_bfe_u32 v131, v20, 27, 4
	v_and_b32_e32 v20, 0x80000000, v20
	s_delay_alu instid0(VALU_DEP_2) | instskip(NEXT) | instid1(VALU_DEP_4)
	v_cmp_eq_u32_e32 vcc_lo, 0, v131
	v_dual_cndmask_b32 v129, v131, v129 :: v_dual_and_b32 v128, 7, v128
	s_delay_alu instid0(VALU_DEP_1) | instskip(NEXT) | instid1(VALU_DEP_2)
	v_cndmask_b32_e32 v24, v24, v128, vcc_lo
	v_lshl_add_u32 v128, v129, 23, 0x3b800000
	s_delay_alu instid0(VALU_DEP_2) | instskip(NEXT) | instid1(VALU_DEP_1)
	v_lshlrev_b32_e32 v24, 20, v24
	v_or3_b32 v24, v20, v128, v24
.LBB4_482:                              ;   in Loop: Header=BB4_143 Depth=2
	s_or_b32 exec_lo, exec_lo, s26
	s_delay_alu instid0(VALU_DEP_1) | instskip(SKIP_1) | instid1(VALU_DEP_1)
	v_max_f32_e32 v20, v24, v24
	v_max_f32_e32 v24, v130, v130
	v_min_f32_e32 v130, v24, v20
.LBB4_483:                              ;   in Loop: Header=BB4_143 Depth=2
	s_delay_alu instid0(VALU_DEP_1) | instskip(NEXT) | instid1(VALU_DEP_1)
	v_and_b32_e32 v20, 0x7f800000, v130
	v_cmp_ne_u32_e32 vcc_lo, 0x7f800000, v20
	v_mov_b32_e32 v20, 0x80
	s_and_saveexec_b32 s26, vcc_lo
	s_cbranch_execz .LBB4_491
; %bb.484:                              ;   in Loop: Header=BB4_143 Depth=2
	v_mov_b32_e32 v20, 0
	s_mov_b32 s27, exec_lo
	v_cmpx_ne_u32_e32 0, v130
	s_cbranch_execz .LBB4_490
; %bb.485:                              ;   in Loop: Header=BB4_143 Depth=2
	v_bfe_u32 v20, v130, 23, 8
	v_and_b32_e32 v24, 0x7fffff, v130
	s_delay_alu instid0(VALU_DEP_2) | instskip(SKIP_1) | instid1(VALU_DEP_3)
	v_sub_nc_u32_e32 v128, 0x78, v20
	v_cmp_gt_u32_e32 vcc_lo, 0x79, v20
	v_or_b32_e32 v129, 0x800000, v24
	s_delay_alu instid0(VALU_DEP_3) | instskip(SKIP_2) | instid1(VALU_DEP_3)
	v_cndmask_b32_e32 v128, 0, v128, vcc_lo
	v_cmp_eq_u32_e32 vcc_lo, 0, v20
	v_add_nc_u32_e32 v20, 0xffffff89, v20
	v_cndmask_b32_e64 v128, v128, 0x77, vcc_lo
	v_cndmask_b32_e32 v24, v129, v24, vcc_lo
	s_delay_alu instid0(VALU_DEP_3) | instskip(NEXT) | instid1(VALU_DEP_3)
	v_cndmask_b32_e64 v20, v20, 0xffffff8a, vcc_lo
	v_lshl_add_u32 v129, 0x100000, v128, -1
	s_delay_alu instid0(VALU_DEP_3) | instskip(SKIP_1) | instid1(VALU_DEP_4)
	v_lshrrev_b32_e32 v131, v128, v24
	v_lshlrev_b32_e64 v133, v128, 0x80000
	v_add_nc_u32_e32 v128, v128, v20
	s_delay_alu instid0(VALU_DEP_4) | instskip(NEXT) | instid1(VALU_DEP_4)
	v_and_b32_e32 v24, v129, v24
	v_bfe_u32 v132, v131, 20, 1
	s_delay_alu instid0(VALU_DEP_2) | instskip(NEXT) | instid1(VALU_DEP_2)
	v_cmp_eq_u32_e64 s11, v24, v133
	v_add_nc_u32_e32 v129, -1, v132
	s_delay_alu instid0(VALU_DEP_1) | instskip(SKIP_2) | instid1(VALU_DEP_2)
	v_cndmask_b32_e64 v24, 0, v129, s11
	v_lshrrev_b32_e32 v129, 23, v131
	s_mov_b32 s11, exec_lo
	v_add_nc_u32_e32 v24, v24, v131
	s_delay_alu instid0(VALU_DEP_2) | instskip(NEXT) | instid1(VALU_DEP_2)
	v_xor_b32_e32 v129, 1, v129
	v_and_b32_e32 v20, 0xfffff, v24
	s_delay_alu instid0(VALU_DEP_1) | instskip(NEXT) | instid1(VALU_DEP_3)
	v_add_nc_u32_e32 v24, v20, v131
                                        ; implicit-def: $vgpr20
	v_cmpx_ne_u32_e64 v128, v129
	s_xor_b32 s11, exec_lo, s11
; %bb.486:                              ;   in Loop: Header=BB4_143 Depth=2
	s_delay_alu instid0(VALU_DEP_2) | instskip(SKIP_2) | instid1(VALU_DEP_2)
	v_cmp_lt_u32_e32 vcc_lo, 0xffffff, v24
	v_sub_nc_u32_e32 v20, v128, v129
	v_cndmask_b32_e64 v128, 0, 1, vcc_lo
	v_add_co_ci_u32_e32 v20, vcc_lo, 0, v20, vcc_lo
	s_delay_alu instid0(VALU_DEP_2)
	v_lshrrev_b32_e32 v24, v128, v24
; %bb.487:                              ;   in Loop: Header=BB4_143 Depth=2
	s_and_not1_saveexec_b32 s11, s11
; %bb.488:                              ;   in Loop: Header=BB4_143 Depth=2
	s_delay_alu instid0(VALU_DEP_1)
	v_bfe_u32 v20, v24, 23, 1
; %bb.489:                              ;   in Loop: Header=BB4_143 Depth=2
	s_or_b32 exec_lo, exec_lo, s11
	v_lshrrev_b32_e32 v24, 20, v24
	s_delay_alu instid0(VALU_DEP_2) | instskip(SKIP_2) | instid1(VALU_DEP_4)
	v_cmp_gt_i32_e32 vcc_lo, 16, v20
	v_lshrrev_b32_e32 v128, 24, v130
	v_min_i32_e32 v129, 15, v20
	v_cndmask_b32_e32 v24, 7, v24, vcc_lo
	s_delay_alu instid0(VALU_DEP_3) | instskip(NEXT) | instid1(VALU_DEP_3)
	v_and_b32_e32 v128, 0x80, v128
	v_lshlrev_b32_e32 v129, 3, v129
	s_delay_alu instid0(VALU_DEP_3) | instskip(SKIP_1) | instid1(VALU_DEP_2)
	v_and_b32_e32 v130, 7, v24
	v_or_b32_e32 v20, v20, v24
	v_or3_b32 v24, v129, v128, v130
	s_delay_alu instid0(VALU_DEP_2) | instskip(NEXT) | instid1(VALU_DEP_2)
	v_cmp_ne_u32_e32 vcc_lo, 0, v20
	v_cndmask_b32_e32 v20, 0, v24, vcc_lo
.LBB4_490:                              ;   in Loop: Header=BB4_143 Depth=2
	s_or_b32 exec_lo, exec_lo, s27
.LBB4_491:                              ;   in Loop: Header=BB4_143 Depth=2
	s_delay_alu instid0(SALU_CYCLE_1) | instskip(NEXT) | instid1(SALU_CYCLE_1)
	s_or_b32 exec_lo, exec_lo, s26
	s_and_b32 vcc_lo, exec_lo, s25
	s_cbranch_vccz .LBB4_501
; %bb.492:                              ;   in Loop: Header=BB4_143 Depth=2
	v_and_b32_e32 v128, 0xff, v25
	s_mov_b32 s11, 0
	s_mov_b32 s27, exec_lo
                                        ; implicit-def: $sgpr26
	s_delay_alu instid0(VALU_DEP_1)
	v_cmpx_lt_i16_e64 0x7f, v128
	s_xor_b32 s27, exec_lo, s27
	s_cbranch_execnz .LBB4_1261
; %bb.493:                              ;   in Loop: Header=BB4_143 Depth=2
	s_or_saveexec_b32 s27, s27
	v_mov_b32_e32 v24, s26
	s_xor_b32 exec_lo, exec_lo, s27
	s_cbranch_execnz .LBB4_1264
.LBB4_494:                              ;   in Loop: Header=BB4_143 Depth=2
	s_or_b32 exec_lo, exec_lo, s27
	s_and_saveexec_b32 s26, s11
	s_cbranch_execz .LBB4_496
.LBB4_495:                              ;   in Loop: Header=BB4_143 Depth=2
	v_and_b32_e32 v24, 7, v25
	v_bfe_u32 v130, v25, 3, 4
	v_lshlrev_b32_e32 v131, 24, v25
	s_delay_alu instid0(VALU_DEP_3) | instskip(NEXT) | instid1(VALU_DEP_3)
	v_clz_i32_u32_e32 v128, v24
	v_cmp_eq_u32_e32 vcc_lo, 0, v130
	s_delay_alu instid0(VALU_DEP_2) | instskip(NEXT) | instid1(VALU_DEP_1)
	v_min_u32_e32 v128, 32, v128
	v_subrev_nc_u32_e32 v129, 28, v128
	v_sub_nc_u32_e32 v128, 29, v128
	s_delay_alu instid0(VALU_DEP_1) | instskip(NEXT) | instid1(VALU_DEP_1)
	v_dual_cndmask_b32 v128, v130, v128 :: v_dual_lshlrev_b32 v129, v129, v25
	v_and_b32_e32 v129, 7, v129
	s_delay_alu instid0(VALU_DEP_2) | instskip(NEXT) | instid1(VALU_DEP_2)
	v_lshl_add_u32 v128, v128, 23, 0x3b800000
	v_dual_cndmask_b32 v24, v24, v129 :: v_dual_and_b32 v129, 0x80000000, v131
	s_delay_alu instid0(VALU_DEP_1) | instskip(NEXT) | instid1(VALU_DEP_1)
	v_lshlrev_b32_e32 v24, 20, v24
	v_or3_b32 v24, v129, v128, v24
.LBB4_496:                              ;   in Loop: Header=BB4_143 Depth=2
	s_or_b32 exec_lo, exec_lo, s26
	v_and_b32_e32 v129, 0xff, v21
	s_mov_b32 s11, 0
	s_mov_b32 s27, exec_lo
                                        ; implicit-def: $sgpr26
	s_delay_alu instid0(VALU_DEP_1)
	v_cmpx_lt_i16_e64 0x7f, v129
	s_xor_b32 s27, exec_lo, s27
	s_cbranch_execnz .LBB4_1265
; %bb.497:                              ;   in Loop: Header=BB4_143 Depth=2
	s_or_saveexec_b32 s27, s27
	v_mov_b32_e32 v128, s26
	s_xor_b32 exec_lo, exec_lo, s27
	s_cbranch_execnz .LBB4_1268
.LBB4_498:                              ;   in Loop: Header=BB4_143 Depth=2
	s_or_b32 exec_lo, exec_lo, s27
	s_and_saveexec_b32 s26, s11
	s_cbranch_execz .LBB4_500
.LBB4_499:                              ;   in Loop: Header=BB4_143 Depth=2
	v_and_b32_e32 v128, 7, v21
	v_bfe_u32 v131, v21, 3, 4
	v_lshlrev_b32_e32 v132, 24, v21
	s_delay_alu instid0(VALU_DEP_3) | instskip(NEXT) | instid1(VALU_DEP_3)
	v_clz_i32_u32_e32 v129, v128
	v_cmp_eq_u32_e32 vcc_lo, 0, v131
	s_delay_alu instid0(VALU_DEP_2) | instskip(NEXT) | instid1(VALU_DEP_1)
	v_min_u32_e32 v129, 32, v129
	v_subrev_nc_u32_e32 v130, 28, v129
	v_sub_nc_u32_e32 v129, 29, v129
	s_delay_alu instid0(VALU_DEP_2) | instskip(NEXT) | instid1(VALU_DEP_1)
	v_lshlrev_b32_e32 v130, v130, v21
	v_dual_cndmask_b32 v129, v131, v129 :: v_dual_and_b32 v130, 7, v130
	s_delay_alu instid0(VALU_DEP_1) | instskip(NEXT) | instid1(VALU_DEP_2)
	v_lshl_add_u32 v129, v129, 23, 0x3b800000
	v_cndmask_b32_e32 v128, v128, v130, vcc_lo
	v_and_b32_e32 v130, 0x80000000, v132
	s_delay_alu instid0(VALU_DEP_2) | instskip(NEXT) | instid1(VALU_DEP_1)
	v_lshlrev_b32_e32 v128, 20, v128
	v_or3_b32 v128, v130, v129, v128
.LBB4_500:                              ;   in Loop: Header=BB4_143 Depth=2
	s_or_b32 exec_lo, exec_lo, s26
	s_delay_alu instid0(VALU_DEP_1) | instskip(SKIP_2) | instid1(VALU_DEP_1)
	v_max_f32_e32 v128, v128, v128
	v_max_f32_e32 v24, v24, v24
	s_mov_b32 s11, 0
	v_max_f32_e32 v128, v24, v128
	s_branch .LBB4_502
.LBB4_501:                              ;   in Loop: Header=BB4_143 Depth=2
	s_mov_b32 s11, -1
                                        ; implicit-def: $vgpr128
.LBB4_502:                              ;   in Loop: Header=BB4_143 Depth=2
	s_delay_alu instid0(SALU_CYCLE_1)
	s_and_b32 vcc_lo, exec_lo, s11
	s_cbranch_vccz .LBB4_512
; %bb.503:                              ;   in Loop: Header=BB4_143 Depth=2
	v_and_b32_e32 v128, 0xff, v25
	s_mov_b32 s11, 0
	s_mov_b32 s27, exec_lo
                                        ; implicit-def: $sgpr26
	s_delay_alu instid0(VALU_DEP_1)
	v_cmpx_lt_i16_e64 0x7f, v128
	s_xor_b32 s27, exec_lo, s27
	s_cbranch_execnz .LBB4_1269
; %bb.504:                              ;   in Loop: Header=BB4_143 Depth=2
	s_or_saveexec_b32 s27, s27
	v_mov_b32_e32 v24, s26
	s_xor_b32 exec_lo, exec_lo, s27
	s_cbranch_execnz .LBB4_1272
.LBB4_505:                              ;   in Loop: Header=BB4_143 Depth=2
	s_or_b32 exec_lo, exec_lo, s27
	s_and_saveexec_b32 s26, s11
	s_cbranch_execz .LBB4_507
.LBB4_506:                              ;   in Loop: Header=BB4_143 Depth=2
	v_and_b32_e32 v24, 7, v25
	v_bfe_u32 v130, v25, 3, 4
	v_lshlrev_b32_e32 v131, 24, v25
	s_delay_alu instid0(VALU_DEP_3) | instskip(NEXT) | instid1(VALU_DEP_3)
	v_clz_i32_u32_e32 v128, v24
	v_cmp_eq_u32_e32 vcc_lo, 0, v130
	s_delay_alu instid0(VALU_DEP_2) | instskip(NEXT) | instid1(VALU_DEP_1)
	v_min_u32_e32 v128, 32, v128
	v_subrev_nc_u32_e32 v129, 28, v128
	v_sub_nc_u32_e32 v128, 29, v128
	s_delay_alu instid0(VALU_DEP_1) | instskip(NEXT) | instid1(VALU_DEP_1)
	v_dual_cndmask_b32 v128, v130, v128 :: v_dual_lshlrev_b32 v129, v129, v25
	v_and_b32_e32 v129, 7, v129
	s_delay_alu instid0(VALU_DEP_2) | instskip(NEXT) | instid1(VALU_DEP_2)
	v_lshl_add_u32 v128, v128, 23, 0x3b800000
	v_dual_cndmask_b32 v24, v24, v129 :: v_dual_and_b32 v129, 0x80000000, v131
	s_delay_alu instid0(VALU_DEP_1) | instskip(NEXT) | instid1(VALU_DEP_1)
	v_lshlrev_b32_e32 v24, 20, v24
	v_or3_b32 v24, v129, v128, v24
.LBB4_507:                              ;   in Loop: Header=BB4_143 Depth=2
	s_or_b32 exec_lo, exec_lo, s26
	v_and_b32_e32 v129, 0xff, v21
	s_mov_b32 s11, 0
	s_mov_b32 s27, exec_lo
                                        ; implicit-def: $sgpr26
	s_delay_alu instid0(VALU_DEP_1)
	v_cmpx_lt_i16_e64 0x7f, v129
	s_xor_b32 s27, exec_lo, s27
	s_cbranch_execnz .LBB4_1273
; %bb.508:                              ;   in Loop: Header=BB4_143 Depth=2
	s_or_saveexec_b32 s27, s27
	v_mov_b32_e32 v128, s26
	s_xor_b32 exec_lo, exec_lo, s27
	s_cbranch_execnz .LBB4_1276
.LBB4_509:                              ;   in Loop: Header=BB4_143 Depth=2
	s_or_b32 exec_lo, exec_lo, s27
	s_and_saveexec_b32 s26, s11
	s_cbranch_execz .LBB4_511
.LBB4_510:                              ;   in Loop: Header=BB4_143 Depth=2
	v_and_b32_e32 v128, 7, v21
	v_bfe_u32 v131, v21, 3, 4
	v_lshlrev_b32_e32 v132, 24, v21
	s_delay_alu instid0(VALU_DEP_3) | instskip(NEXT) | instid1(VALU_DEP_3)
	v_clz_i32_u32_e32 v129, v128
	v_cmp_eq_u32_e32 vcc_lo, 0, v131
	s_delay_alu instid0(VALU_DEP_2) | instskip(NEXT) | instid1(VALU_DEP_1)
	v_min_u32_e32 v129, 32, v129
	v_subrev_nc_u32_e32 v130, 28, v129
	v_sub_nc_u32_e32 v129, 29, v129
	s_delay_alu instid0(VALU_DEP_2) | instskip(NEXT) | instid1(VALU_DEP_1)
	v_lshlrev_b32_e32 v130, v130, v21
	v_dual_cndmask_b32 v129, v131, v129 :: v_dual_and_b32 v130, 7, v130
	s_delay_alu instid0(VALU_DEP_1) | instskip(NEXT) | instid1(VALU_DEP_2)
	v_lshl_add_u32 v129, v129, 23, 0x3b800000
	v_cndmask_b32_e32 v128, v128, v130, vcc_lo
	v_and_b32_e32 v130, 0x80000000, v132
	s_delay_alu instid0(VALU_DEP_2) | instskip(NEXT) | instid1(VALU_DEP_1)
	v_lshlrev_b32_e32 v128, 20, v128
	v_or3_b32 v128, v130, v129, v128
.LBB4_511:                              ;   in Loop: Header=BB4_143 Depth=2
	s_or_b32 exec_lo, exec_lo, s26
	s_delay_alu instid0(VALU_DEP_1) | instskip(SKIP_1) | instid1(VALU_DEP_1)
	v_max_f32_e32 v128, v128, v128
	v_max_f32_e32 v24, v24, v24
	v_min_f32_e32 v128, v24, v128
.LBB4_512:                              ;   in Loop: Header=BB4_143 Depth=2
	s_delay_alu instid0(VALU_DEP_1) | instskip(NEXT) | instid1(VALU_DEP_1)
	v_and_b32_e32 v24, 0x7f800000, v128
	v_cmp_ne_u32_e32 vcc_lo, 0x7f800000, v24
	v_mov_b32_e32 v24, 0x80
	s_and_saveexec_b32 s26, vcc_lo
	s_cbranch_execz .LBB4_520
; %bb.513:                              ;   in Loop: Header=BB4_143 Depth=2
	v_mov_b32_e32 v24, 0
	s_mov_b32 s27, exec_lo
	v_cmpx_ne_u32_e32 0, v128
	s_cbranch_execz .LBB4_519
; %bb.514:                              ;   in Loop: Header=BB4_143 Depth=2
	v_bfe_u32 v24, v128, 23, 8
	s_delay_alu instid0(VALU_DEP_1) | instskip(SKIP_1) | instid1(VALU_DEP_2)
	v_sub_nc_u32_e32 v130, 0x78, v24
	v_cmp_gt_u32_e32 vcc_lo, 0x79, v24
	v_dual_cndmask_b32 v130, 0, v130 :: v_dual_and_b32 v129, 0x7fffff, v128
	s_delay_alu instid0(VALU_DEP_1) | instskip(SKIP_2) | instid1(VALU_DEP_4)
	v_or_b32_e32 v131, 0x800000, v129
	v_cmp_eq_u32_e32 vcc_lo, 0, v24
	v_add_nc_u32_e32 v24, 0xffffff89, v24
	v_cndmask_b32_e64 v130, v130, 0x77, vcc_lo
	s_delay_alu instid0(VALU_DEP_4) | instskip(NEXT) | instid1(VALU_DEP_3)
	v_cndmask_b32_e32 v129, v131, v129, vcc_lo
	v_cndmask_b32_e64 v24, v24, 0xffffff8a, vcc_lo
	s_delay_alu instid0(VALU_DEP_3) | instskip(NEXT) | instid1(VALU_DEP_3)
	v_lshl_add_u32 v131, 0x100000, v130, -1
	v_lshrrev_b32_e32 v132, v130, v129
	v_lshlrev_b32_e64 v134, v130, 0x80000
	s_delay_alu instid0(VALU_DEP_4) | instskip(NEXT) | instid1(VALU_DEP_4)
	v_add_nc_u32_e32 v130, v130, v24
	v_and_b32_e32 v129, v131, v129
	s_delay_alu instid0(VALU_DEP_4) | instskip(NEXT) | instid1(VALU_DEP_2)
	v_bfe_u32 v133, v132, 20, 1
	v_cmp_eq_u32_e64 s11, v129, v134
	s_delay_alu instid0(VALU_DEP_2) | instskip(NEXT) | instid1(VALU_DEP_1)
	v_add_nc_u32_e32 v131, -1, v133
	v_cndmask_b32_e64 v129, 0, v131, s11
	v_lshrrev_b32_e32 v131, 23, v132
	s_mov_b32 s11, exec_lo
	s_delay_alu instid0(VALU_DEP_2) | instskip(NEXT) | instid1(VALU_DEP_2)
	v_add_nc_u32_e32 v129, v129, v132
	v_xor_b32_e32 v131, 1, v131
	s_delay_alu instid0(VALU_DEP_2) | instskip(NEXT) | instid1(VALU_DEP_1)
	v_and_b32_e32 v24, 0xfffff, v129
	v_add_nc_u32_e32 v129, v24, v132
                                        ; implicit-def: $vgpr24
	s_delay_alu instid0(VALU_DEP_3)
	v_cmpx_ne_u32_e64 v130, v131
	s_xor_b32 s11, exec_lo, s11
; %bb.515:                              ;   in Loop: Header=BB4_143 Depth=2
	s_delay_alu instid0(VALU_DEP_2) | instskip(SKIP_2) | instid1(VALU_DEP_2)
	v_cmp_lt_u32_e32 vcc_lo, 0xffffff, v129
	v_sub_nc_u32_e32 v24, v130, v131
	v_cndmask_b32_e64 v130, 0, 1, vcc_lo
	v_add_co_ci_u32_e32 v24, vcc_lo, 0, v24, vcc_lo
	s_delay_alu instid0(VALU_DEP_2)
	v_lshrrev_b32_e32 v129, v130, v129
; %bb.516:                              ;   in Loop: Header=BB4_143 Depth=2
	s_and_not1_saveexec_b32 s11, s11
; %bb.517:                              ;   in Loop: Header=BB4_143 Depth=2
	s_delay_alu instid0(VALU_DEP_1)
	v_bfe_u32 v24, v129, 23, 1
; %bb.518:                              ;   in Loop: Header=BB4_143 Depth=2
	s_or_b32 exec_lo, exec_lo, s11
	v_lshrrev_b32_e32 v129, 20, v129
	s_delay_alu instid0(VALU_DEP_2) | instskip(SKIP_2) | instid1(VALU_DEP_2)
	v_cmp_gt_i32_e32 vcc_lo, 16, v24
	v_lshrrev_b32_e32 v128, 24, v128
	v_min_i32_e32 v130, 15, v24
	v_dual_cndmask_b32 v129, 7, v129 :: v_dual_and_b32 v128, 0x80, v128
	s_delay_alu instid0(VALU_DEP_2) | instskip(NEXT) | instid1(VALU_DEP_2)
	v_lshlrev_b32_e32 v130, 3, v130
	v_or_b32_e32 v24, v24, v129
	s_delay_alu instid0(VALU_DEP_1) | instskip(SKIP_1) | instid1(VALU_DEP_1)
	v_cmp_ne_u32_e32 vcc_lo, 0, v24
	v_and_b32_e32 v131, 7, v129
	v_or3_b32 v128, v130, v128, v131
	s_delay_alu instid0(VALU_DEP_1)
	v_cndmask_b32_e32 v24, 0, v128, vcc_lo
.LBB4_519:                              ;   in Loop: Header=BB4_143 Depth=2
	s_or_b32 exec_lo, exec_lo, s27
.LBB4_520:                              ;   in Loop: Header=BB4_143 Depth=2
	s_delay_alu instid0(SALU_CYCLE_1)
	s_or_b32 exec_lo, exec_lo, s26
	v_lshrrev_b16 v129, 8, v25
	v_lshrrev_b16 v128, 8, v21
	s_and_b32 vcc_lo, exec_lo, s25
	s_cbranch_vccz .LBB4_530
; %bb.521:                              ;   in Loop: Header=BB4_143 Depth=2
	s_mov_b32 s11, 0
	s_mov_b32 s27, exec_lo
                                        ; implicit-def: $sgpr26
	v_cmpx_lt_i16_e64 0x7f, v129
	s_xor_b32 s27, exec_lo, s27
	s_cbranch_execnz .LBB4_1277
; %bb.522:                              ;   in Loop: Header=BB4_143 Depth=2
	s_or_saveexec_b32 s27, s27
	v_mov_b32_e32 v130, s26
	s_xor_b32 exec_lo, exec_lo, s27
	s_cbranch_execnz .LBB4_1280
.LBB4_523:                              ;   in Loop: Header=BB4_143 Depth=2
	s_or_b32 exec_lo, exec_lo, s27
	s_and_saveexec_b32 s26, s11
	s_cbranch_execz .LBB4_525
.LBB4_524:                              ;   in Loop: Header=BB4_143 Depth=2
	v_and_b32_e32 v130, 0xffff, v129
	v_lshlrev_b32_e32 v134, 16, v25
	s_delay_alu instid0(VALU_DEP_2) | instskip(NEXT) | instid1(VALU_DEP_1)
	v_and_b32_e32 v131, 7, v130
	v_clz_i32_u32_e32 v132, v131
	s_delay_alu instid0(VALU_DEP_1) | instskip(NEXT) | instid1(VALU_DEP_1)
	v_min_u32_e32 v132, 32, v132
	v_subrev_nc_u32_e32 v133, 28, v132
	v_sub_nc_u32_e32 v132, 29, v132
	s_delay_alu instid0(VALU_DEP_2) | instskip(SKIP_1) | instid1(VALU_DEP_2)
	v_lshlrev_b32_e32 v133, v133, v130
	v_bfe_u32 v130, v130, 3, 4
	v_and_b32_e32 v133, 7, v133
	s_delay_alu instid0(VALU_DEP_2) | instskip(NEXT) | instid1(VALU_DEP_2)
	v_cmp_eq_u32_e32 vcc_lo, 0, v130
	v_dual_cndmask_b32 v130, v130, v132 :: v_dual_cndmask_b32 v131, v131, v133
	v_and_b32_e32 v132, 0x80000000, v134
	s_delay_alu instid0(VALU_DEP_2) | instskip(NEXT) | instid1(VALU_DEP_3)
	v_lshl_add_u32 v130, v130, 23, 0x3b800000
	v_lshlrev_b32_e32 v131, 20, v131
	s_delay_alu instid0(VALU_DEP_1)
	v_or3_b32 v130, v132, v130, v131
.LBB4_525:                              ;   in Loop: Header=BB4_143 Depth=2
	s_or_b32 exec_lo, exec_lo, s26
	s_mov_b32 s11, 0
	s_mov_b32 s27, exec_lo
                                        ; implicit-def: $sgpr26
	v_cmpx_lt_i16_e64 0x7f, v128
	s_xor_b32 s27, exec_lo, s27
	s_cbranch_execnz .LBB4_1281
; %bb.526:                              ;   in Loop: Header=BB4_143 Depth=2
	s_or_saveexec_b32 s27, s27
	v_mov_b32_e32 v131, s26
	s_xor_b32 exec_lo, exec_lo, s27
	s_cbranch_execnz .LBB4_1284
.LBB4_527:                              ;   in Loop: Header=BB4_143 Depth=2
	s_or_b32 exec_lo, exec_lo, s27
	s_and_saveexec_b32 s26, s11
	s_cbranch_execz .LBB4_529
.LBB4_528:                              ;   in Loop: Header=BB4_143 Depth=2
	v_and_b32_e32 v131, 0xffff, v128
	v_lshlrev_b32_e32 v135, 16, v21
	s_delay_alu instid0(VALU_DEP_2) | instskip(NEXT) | instid1(VALU_DEP_1)
	v_and_b32_e32 v132, 7, v131
	v_clz_i32_u32_e32 v133, v132
	s_delay_alu instid0(VALU_DEP_1) | instskip(NEXT) | instid1(VALU_DEP_1)
	v_min_u32_e32 v133, 32, v133
	v_subrev_nc_u32_e32 v134, 28, v133
	v_sub_nc_u32_e32 v133, 29, v133
	s_delay_alu instid0(VALU_DEP_2) | instskip(SKIP_1) | instid1(VALU_DEP_2)
	v_lshlrev_b32_e32 v134, v134, v131
	v_bfe_u32 v131, v131, 3, 4
	v_and_b32_e32 v134, 7, v134
	s_delay_alu instid0(VALU_DEP_2) | instskip(NEXT) | instid1(VALU_DEP_2)
	v_cmp_eq_u32_e32 vcc_lo, 0, v131
	v_dual_cndmask_b32 v131, v131, v133 :: v_dual_cndmask_b32 v132, v132, v134
	v_and_b32_e32 v133, 0x80000000, v135
	s_delay_alu instid0(VALU_DEP_2) | instskip(NEXT) | instid1(VALU_DEP_3)
	v_lshl_add_u32 v131, v131, 23, 0x3b800000
	v_lshlrev_b32_e32 v132, 20, v132
	s_delay_alu instid0(VALU_DEP_1)
	v_or3_b32 v131, v133, v131, v132
.LBB4_529:                              ;   in Loop: Header=BB4_143 Depth=2
	s_or_b32 exec_lo, exec_lo, s26
	s_delay_alu instid0(VALU_DEP_1) | instskip(SKIP_1) | instid1(VALU_DEP_1)
	v_dual_max_f32 v131, v131, v131 :: v_dual_max_f32 v130, v130, v130
	s_mov_b32 s11, 0
	v_max_f32_e32 v130, v130, v131
	s_branch .LBB4_531
.LBB4_530:                              ;   in Loop: Header=BB4_143 Depth=2
	s_mov_b32 s11, -1
                                        ; implicit-def: $vgpr130
.LBB4_531:                              ;   in Loop: Header=BB4_143 Depth=2
	s_delay_alu instid0(SALU_CYCLE_1)
	s_and_b32 vcc_lo, exec_lo, s11
	s_cbranch_vccz .LBB4_541
; %bb.532:                              ;   in Loop: Header=BB4_143 Depth=2
	s_mov_b32 s11, 0
	s_mov_b32 s27, exec_lo
                                        ; implicit-def: $sgpr26
	v_cmpx_lt_i16_e64 0x7f, v129
	s_xor_b32 s27, exec_lo, s27
	s_cbranch_execnz .LBB4_1285
; %bb.533:                              ;   in Loop: Header=BB4_143 Depth=2
	s_or_saveexec_b32 s27, s27
	v_mov_b32_e32 v130, s26
	s_xor_b32 exec_lo, exec_lo, s27
	s_cbranch_execnz .LBB4_1288
.LBB4_534:                              ;   in Loop: Header=BB4_143 Depth=2
	s_or_b32 exec_lo, exec_lo, s27
	s_and_saveexec_b32 s26, s11
	s_cbranch_execz .LBB4_536
.LBB4_535:                              ;   in Loop: Header=BB4_143 Depth=2
	v_and_b32_e32 v129, 0xffff, v129
	v_lshlrev_b32_e32 v133, 16, v25
	s_delay_alu instid0(VALU_DEP_2) | instskip(NEXT) | instid1(VALU_DEP_1)
	v_and_b32_e32 v130, 7, v129
	v_clz_i32_u32_e32 v131, v130
	s_delay_alu instid0(VALU_DEP_1) | instskip(NEXT) | instid1(VALU_DEP_1)
	v_min_u32_e32 v131, 32, v131
	v_subrev_nc_u32_e32 v132, 28, v131
	v_sub_nc_u32_e32 v131, 29, v131
	s_delay_alu instid0(VALU_DEP_2) | instskip(SKIP_1) | instid1(VALU_DEP_2)
	v_lshlrev_b32_e32 v132, v132, v129
	v_bfe_u32 v129, v129, 3, 4
	v_and_b32_e32 v132, 7, v132
	s_delay_alu instid0(VALU_DEP_2) | instskip(NEXT) | instid1(VALU_DEP_2)
	v_cmp_eq_u32_e32 vcc_lo, 0, v129
	v_dual_cndmask_b32 v129, v129, v131 :: v_dual_cndmask_b32 v130, v130, v132
	v_and_b32_e32 v131, 0x80000000, v133
	s_delay_alu instid0(VALU_DEP_2) | instskip(NEXT) | instid1(VALU_DEP_3)
	v_lshl_add_u32 v129, v129, 23, 0x3b800000
	v_lshlrev_b32_e32 v130, 20, v130
	s_delay_alu instid0(VALU_DEP_1)
	v_or3_b32 v130, v131, v129, v130
.LBB4_536:                              ;   in Loop: Header=BB4_143 Depth=2
	s_or_b32 exec_lo, exec_lo, s26
	s_mov_b32 s11, 0
	s_mov_b32 s27, exec_lo
                                        ; implicit-def: $sgpr26
	v_cmpx_lt_i16_e64 0x7f, v128
	s_xor_b32 s27, exec_lo, s27
	s_cbranch_execnz .LBB4_1289
; %bb.537:                              ;   in Loop: Header=BB4_143 Depth=2
	s_or_saveexec_b32 s27, s27
	v_mov_b32_e32 v129, s26
	s_xor_b32 exec_lo, exec_lo, s27
	s_cbranch_execnz .LBB4_1292
.LBB4_538:                              ;   in Loop: Header=BB4_143 Depth=2
	s_or_b32 exec_lo, exec_lo, s27
	s_and_saveexec_b32 s26, s11
	s_cbranch_execz .LBB4_540
.LBB4_539:                              ;   in Loop: Header=BB4_143 Depth=2
	v_and_b32_e32 v128, 0xffff, v128
	v_lshlrev_b32_e32 v133, 16, v21
	s_delay_alu instid0(VALU_DEP_2) | instskip(NEXT) | instid1(VALU_DEP_1)
	v_and_b32_e32 v129, 7, v128
	v_clz_i32_u32_e32 v131, v129
	s_delay_alu instid0(VALU_DEP_1) | instskip(NEXT) | instid1(VALU_DEP_1)
	v_min_u32_e32 v131, 32, v131
	v_subrev_nc_u32_e32 v132, 28, v131
	v_sub_nc_u32_e32 v131, 29, v131
	s_delay_alu instid0(VALU_DEP_2) | instskip(SKIP_1) | instid1(VALU_DEP_2)
	v_lshlrev_b32_e32 v132, v132, v128
	v_bfe_u32 v128, v128, 3, 4
	v_and_b32_e32 v132, 7, v132
	s_delay_alu instid0(VALU_DEP_2) | instskip(NEXT) | instid1(VALU_DEP_2)
	v_cmp_eq_u32_e32 vcc_lo, 0, v128
	v_dual_cndmask_b32 v128, v128, v131 :: v_dual_cndmask_b32 v129, v129, v132
	v_and_b32_e32 v131, 0x80000000, v133
	s_delay_alu instid0(VALU_DEP_2) | instskip(NEXT) | instid1(VALU_DEP_3)
	v_lshl_add_u32 v128, v128, 23, 0x3b800000
	v_lshlrev_b32_e32 v129, 20, v129
	s_delay_alu instid0(VALU_DEP_1)
	v_or3_b32 v129, v131, v128, v129
.LBB4_540:                              ;   in Loop: Header=BB4_143 Depth=2
	s_or_b32 exec_lo, exec_lo, s26
	s_delay_alu instid0(VALU_DEP_1) | instskip(NEXT) | instid1(VALU_DEP_1)
	v_dual_max_f32 v128, v129, v129 :: v_dual_max_f32 v129, v130, v130
	v_min_f32_e32 v130, v129, v128
.LBB4_541:                              ;   in Loop: Header=BB4_143 Depth=2
	s_delay_alu instid0(VALU_DEP_1) | instskip(NEXT) | instid1(VALU_DEP_1)
	v_and_b32_e32 v128, 0x7f800000, v130
	v_cmp_ne_u32_e32 vcc_lo, 0x7f800000, v128
	v_mov_b32_e32 v128, 0x80
	s_and_saveexec_b32 s26, vcc_lo
	s_cbranch_execz .LBB4_549
; %bb.542:                              ;   in Loop: Header=BB4_143 Depth=2
	v_mov_b32_e32 v128, 0
	s_mov_b32 s27, exec_lo
	v_cmpx_ne_u32_e32 0, v130
	s_cbranch_execz .LBB4_548
; %bb.543:                              ;   in Loop: Header=BB4_143 Depth=2
	v_bfe_u32 v128, v130, 23, 8
	v_and_b32_e32 v129, 0x7fffff, v130
	s_delay_alu instid0(VALU_DEP_2) | instskip(SKIP_1) | instid1(VALU_DEP_3)
	v_sub_nc_u32_e32 v131, 0x78, v128
	v_cmp_gt_u32_e32 vcc_lo, 0x79, v128
	v_or_b32_e32 v132, 0x800000, v129
	s_delay_alu instid0(VALU_DEP_3) | instskip(SKIP_2) | instid1(VALU_DEP_3)
	v_cndmask_b32_e32 v131, 0, v131, vcc_lo
	v_cmp_eq_u32_e32 vcc_lo, 0, v128
	v_add_nc_u32_e32 v128, 0xffffff89, v128
	v_cndmask_b32_e64 v131, v131, 0x77, vcc_lo
	v_cndmask_b32_e32 v129, v132, v129, vcc_lo
	s_delay_alu instid0(VALU_DEP_3) | instskip(NEXT) | instid1(VALU_DEP_3)
	v_cndmask_b32_e64 v128, v128, 0xffffff8a, vcc_lo
	v_lshl_add_u32 v132, 0x100000, v131, -1
	s_delay_alu instid0(VALU_DEP_3) | instskip(SKIP_1) | instid1(VALU_DEP_4)
	v_lshrrev_b32_e32 v133, v131, v129
	v_lshlrev_b32_e64 v135, v131, 0x80000
	v_add_nc_u32_e32 v131, v131, v128
	s_delay_alu instid0(VALU_DEP_4) | instskip(NEXT) | instid1(VALU_DEP_4)
	v_and_b32_e32 v129, v132, v129
	v_bfe_u32 v134, v133, 20, 1
	s_delay_alu instid0(VALU_DEP_2) | instskip(NEXT) | instid1(VALU_DEP_2)
	v_cmp_eq_u32_e64 s11, v129, v135
	v_add_nc_u32_e32 v132, -1, v134
	s_delay_alu instid0(VALU_DEP_1) | instskip(SKIP_2) | instid1(VALU_DEP_2)
	v_cndmask_b32_e64 v129, 0, v132, s11
	v_lshrrev_b32_e32 v132, 23, v133
	s_mov_b32 s11, exec_lo
	v_add_nc_u32_e32 v129, v129, v133
	s_delay_alu instid0(VALU_DEP_2) | instskip(NEXT) | instid1(VALU_DEP_2)
	v_xor_b32_e32 v132, 1, v132
	v_and_b32_e32 v128, 0xfffff, v129
	s_delay_alu instid0(VALU_DEP_1) | instskip(NEXT) | instid1(VALU_DEP_3)
	v_add_nc_u32_e32 v129, v128, v133
                                        ; implicit-def: $vgpr128
	v_cmpx_ne_u32_e64 v131, v132
	s_xor_b32 s11, exec_lo, s11
; %bb.544:                              ;   in Loop: Header=BB4_143 Depth=2
	s_delay_alu instid0(VALU_DEP_2) | instskip(SKIP_2) | instid1(VALU_DEP_2)
	v_cmp_lt_u32_e32 vcc_lo, 0xffffff, v129
	v_sub_nc_u32_e32 v128, v131, v132
	v_cndmask_b32_e64 v131, 0, 1, vcc_lo
	v_add_co_ci_u32_e32 v128, vcc_lo, 0, v128, vcc_lo
	s_delay_alu instid0(VALU_DEP_2)
	v_lshrrev_b32_e32 v129, v131, v129
; %bb.545:                              ;   in Loop: Header=BB4_143 Depth=2
	s_and_not1_saveexec_b32 s11, s11
; %bb.546:                              ;   in Loop: Header=BB4_143 Depth=2
	s_delay_alu instid0(VALU_DEP_1)
	v_bfe_u32 v128, v129, 23, 1
; %bb.547:                              ;   in Loop: Header=BB4_143 Depth=2
	s_or_b32 exec_lo, exec_lo, s11
	v_lshrrev_b32_e32 v129, 20, v129
	s_delay_alu instid0(VALU_DEP_2) | instskip(SKIP_2) | instid1(VALU_DEP_2)
	v_cmp_gt_i32_e32 vcc_lo, 16, v128
	v_lshrrev_b32_e32 v130, 24, v130
	v_min_i32_e32 v131, 15, v128
	v_dual_cndmask_b32 v129, 7, v129 :: v_dual_and_b32 v130, 0x80, v130
	s_delay_alu instid0(VALU_DEP_1) | instskip(SKIP_1) | instid1(VALU_DEP_2)
	v_or_b32_e32 v128, v128, v129
	v_and_b32_e32 v132, 7, v129
	v_cmp_ne_u32_e32 vcc_lo, 0, v128
	v_lshlrev_b32_e32 v131, 3, v131
	s_delay_alu instid0(VALU_DEP_1) | instskip(NEXT) | instid1(VALU_DEP_1)
	v_or3_b32 v129, v131, v130, v132
	v_cndmask_b32_e32 v128, 0, v129, vcc_lo
.LBB4_548:                              ;   in Loop: Header=BB4_143 Depth=2
	s_or_b32 exec_lo, exec_lo, s27
.LBB4_549:                              ;   in Loop: Header=BB4_143 Depth=2
	s_delay_alu instid0(SALU_CYCLE_1)
	s_or_b32 exec_lo, exec_lo, s26
	v_lshrrev_b32_e32 v130, 16, v25
	v_lshrrev_b32_e32 v129, 16, v21
	s_and_b32 vcc_lo, exec_lo, s25
	s_cbranch_vccz .LBB4_559
; %bb.550:                              ;   in Loop: Header=BB4_143 Depth=2
	s_delay_alu instid0(VALU_DEP_2) | instskip(SKIP_2) | instid1(VALU_DEP_1)
	v_and_b32_e32 v132, 0xff, v130
	s_mov_b32 s11, 0
	s_mov_b32 s27, exec_lo
                                        ; implicit-def: $sgpr26
	v_cmpx_lt_i16_e64 0x7f, v132
	s_xor_b32 s27, exec_lo, s27
	s_cbranch_execnz .LBB4_1293
; %bb.551:                              ;   in Loop: Header=BB4_143 Depth=2
	s_or_saveexec_b32 s27, s27
	v_mov_b32_e32 v131, s26
	s_xor_b32 exec_lo, exec_lo, s27
	s_cbranch_execnz .LBB4_1296
.LBB4_552:                              ;   in Loop: Header=BB4_143 Depth=2
	s_or_b32 exec_lo, exec_lo, s27
	s_and_saveexec_b32 s26, s11
	s_cbranch_execz .LBB4_554
.LBB4_553:                              ;   in Loop: Header=BB4_143 Depth=2
	v_bfe_u32 v131, v25, 16, 3
	v_bfe_u32 v134, v25, 19, 4
	v_lshlrev_b32_e32 v135, 24, v130
	s_delay_alu instid0(VALU_DEP_3) | instskip(NEXT) | instid1(VALU_DEP_3)
	v_clz_i32_u32_e32 v132, v131
	v_cmp_eq_u32_e32 vcc_lo, 0, v134
	s_delay_alu instid0(VALU_DEP_2) | instskip(NEXT) | instid1(VALU_DEP_1)
	v_min_u32_e32 v132, 32, v132
	v_subrev_nc_u32_e32 v133, 28, v132
	v_sub_nc_u32_e32 v132, 29, v132
	s_delay_alu instid0(VALU_DEP_1) | instskip(NEXT) | instid1(VALU_DEP_1)
	v_dual_cndmask_b32 v132, v134, v132 :: v_dual_lshlrev_b32 v133, v133, v130
	v_and_b32_e32 v133, 7, v133
	s_delay_alu instid0(VALU_DEP_2) | instskip(NEXT) | instid1(VALU_DEP_2)
	v_lshl_add_u32 v132, v132, 23, 0x3b800000
	v_cndmask_b32_e32 v131, v131, v133, vcc_lo
	v_and_b32_e32 v133, 0x80000000, v135
	s_delay_alu instid0(VALU_DEP_2) | instskip(NEXT) | instid1(VALU_DEP_1)
	v_lshlrev_b32_e32 v131, 20, v131
	v_or3_b32 v131, v133, v132, v131
.LBB4_554:                              ;   in Loop: Header=BB4_143 Depth=2
	s_or_b32 exec_lo, exec_lo, s26
	v_and_b32_e32 v133, 0xff, v129
	s_mov_b32 s11, 0
	s_mov_b32 s27, exec_lo
                                        ; implicit-def: $sgpr26
	s_delay_alu instid0(VALU_DEP_1)
	v_cmpx_lt_i16_e64 0x7f, v133
	s_xor_b32 s27, exec_lo, s27
	s_cbranch_execnz .LBB4_1297
; %bb.555:                              ;   in Loop: Header=BB4_143 Depth=2
	s_or_saveexec_b32 s27, s27
	v_mov_b32_e32 v132, s26
	s_xor_b32 exec_lo, exec_lo, s27
	s_cbranch_execnz .LBB4_1300
.LBB4_556:                              ;   in Loop: Header=BB4_143 Depth=2
	s_or_b32 exec_lo, exec_lo, s27
	s_and_saveexec_b32 s26, s11
	s_cbranch_execz .LBB4_558
.LBB4_557:                              ;   in Loop: Header=BB4_143 Depth=2
	v_bfe_u32 v132, v21, 16, 3
	v_bfe_u32 v135, v21, 19, 4
	v_lshlrev_b32_e32 v144, 24, v129
	s_delay_alu instid0(VALU_DEP_3) | instskip(NEXT) | instid1(VALU_DEP_3)
	v_clz_i32_u32_e32 v133, v132
	v_cmp_eq_u32_e32 vcc_lo, 0, v135
	s_delay_alu instid0(VALU_DEP_2) | instskip(NEXT) | instid1(VALU_DEP_1)
	v_min_u32_e32 v133, 32, v133
	v_subrev_nc_u32_e32 v134, 28, v133
	v_sub_nc_u32_e32 v133, 29, v133
	s_delay_alu instid0(VALU_DEP_2) | instskip(NEXT) | instid1(VALU_DEP_1)
	v_lshlrev_b32_e32 v134, v134, v129
	v_dual_cndmask_b32 v133, v135, v133 :: v_dual_and_b32 v134, 7, v134
	s_delay_alu instid0(VALU_DEP_1) | instskip(NEXT) | instid1(VALU_DEP_2)
	v_lshl_add_u32 v133, v133, 23, 0x3b800000
	v_cndmask_b32_e32 v132, v132, v134, vcc_lo
	v_and_b32_e32 v134, 0x80000000, v144
	s_delay_alu instid0(VALU_DEP_2) | instskip(NEXT) | instid1(VALU_DEP_1)
	v_lshlrev_b32_e32 v132, 20, v132
	v_or3_b32 v132, v134, v133, v132
.LBB4_558:                              ;   in Loop: Header=BB4_143 Depth=2
	s_or_b32 exec_lo, exec_lo, s26
	s_delay_alu instid0(VALU_DEP_1) | instskip(SKIP_1) | instid1(VALU_DEP_1)
	v_dual_max_f32 v132, v132, v132 :: v_dual_max_f32 v131, v131, v131
	s_mov_b32 s11, 0
	v_max_f32_e32 v131, v131, v132
	s_branch .LBB4_560
.LBB4_559:                              ;   in Loop: Header=BB4_143 Depth=2
	s_mov_b32 s11, -1
                                        ; implicit-def: $vgpr131
.LBB4_560:                              ;   in Loop: Header=BB4_143 Depth=2
	s_delay_alu instid0(SALU_CYCLE_1)
	s_and_b32 vcc_lo, exec_lo, s11
	s_cbranch_vccz .LBB4_570
; %bb.561:                              ;   in Loop: Header=BB4_143 Depth=2
	v_and_b32_e32 v132, 0xff, v130
	s_mov_b32 s11, 0
	s_mov_b32 s27, exec_lo
                                        ; implicit-def: $sgpr26
	s_delay_alu instid0(VALU_DEP_1)
	v_cmpx_lt_i16_e64 0x7f, v132
	s_xor_b32 s27, exec_lo, s27
	s_cbranch_execnz .LBB4_1301
; %bb.562:                              ;   in Loop: Header=BB4_143 Depth=2
	s_or_saveexec_b32 s27, s27
	v_mov_b32_e32 v131, s26
	s_xor_b32 exec_lo, exec_lo, s27
	s_cbranch_execnz .LBB4_1304
.LBB4_563:                              ;   in Loop: Header=BB4_143 Depth=2
	s_or_b32 exec_lo, exec_lo, s27
	s_and_saveexec_b32 s26, s11
	s_cbranch_execz .LBB4_565
.LBB4_564:                              ;   in Loop: Header=BB4_143 Depth=2
	v_bfe_u32 v131, v25, 16, 3
	v_bfe_u32 v134, v25, 19, 4
	s_delay_alu instid0(VALU_DEP_2) | instskip(NEXT) | instid1(VALU_DEP_2)
	v_clz_i32_u32_e32 v132, v131
	v_cmp_eq_u32_e32 vcc_lo, 0, v134
	s_delay_alu instid0(VALU_DEP_2) | instskip(NEXT) | instid1(VALU_DEP_1)
	v_min_u32_e32 v132, 32, v132
	v_subrev_nc_u32_e32 v133, 28, v132
	v_sub_nc_u32_e32 v132, 29, v132
	s_delay_alu instid0(VALU_DEP_1) | instskip(NEXT) | instid1(VALU_DEP_1)
	v_dual_cndmask_b32 v132, v134, v132 :: v_dual_lshlrev_b32 v133, v133, v130
	v_and_b32_e32 v133, 7, v133
	v_lshlrev_b32_e32 v130, 24, v130
	s_delay_alu instid0(VALU_DEP_3) | instskip(NEXT) | instid1(VALU_DEP_2)
	v_lshl_add_u32 v132, v132, 23, 0x3b800000
	v_dual_cndmask_b32 v131, v131, v133 :: v_dual_and_b32 v130, 0x80000000, v130
	s_delay_alu instid0(VALU_DEP_1) | instskip(NEXT) | instid1(VALU_DEP_1)
	v_lshlrev_b32_e32 v131, 20, v131
	v_or3_b32 v131, v130, v132, v131
.LBB4_565:                              ;   in Loop: Header=BB4_143 Depth=2
	s_or_b32 exec_lo, exec_lo, s26
	v_and_b32_e32 v132, 0xff, v129
	s_mov_b32 s11, 0
	s_mov_b32 s27, exec_lo
                                        ; implicit-def: $sgpr26
	s_delay_alu instid0(VALU_DEP_1)
	v_cmpx_lt_i16_e64 0x7f, v132
	s_xor_b32 s27, exec_lo, s27
	s_cbranch_execnz .LBB4_1305
; %bb.566:                              ;   in Loop: Header=BB4_143 Depth=2
	s_or_saveexec_b32 s27, s27
	v_mov_b32_e32 v130, s26
	s_xor_b32 exec_lo, exec_lo, s27
	s_cbranch_execnz .LBB4_1308
.LBB4_567:                              ;   in Loop: Header=BB4_143 Depth=2
	s_or_b32 exec_lo, exec_lo, s27
	s_and_saveexec_b32 s26, s11
	s_cbranch_execz .LBB4_569
.LBB4_568:                              ;   in Loop: Header=BB4_143 Depth=2
	v_bfe_u32 v130, v21, 16, 3
	v_bfe_u32 v134, v21, 19, 4
	s_delay_alu instid0(VALU_DEP_2) | instskip(NEXT) | instid1(VALU_DEP_2)
	v_clz_i32_u32_e32 v132, v130
	v_cmp_eq_u32_e32 vcc_lo, 0, v134
	s_delay_alu instid0(VALU_DEP_2) | instskip(NEXT) | instid1(VALU_DEP_1)
	v_min_u32_e32 v132, 32, v132
	v_subrev_nc_u32_e32 v133, 28, v132
	v_sub_nc_u32_e32 v132, 29, v132
	s_delay_alu instid0(VALU_DEP_1) | instskip(SKIP_1) | instid1(VALU_DEP_2)
	v_dual_cndmask_b32 v132, v134, v132 :: v_dual_lshlrev_b32 v133, v133, v129
	v_lshlrev_b32_e32 v129, 24, v129
	v_and_b32_e32 v133, 7, v133
	s_delay_alu instid0(VALU_DEP_3) | instskip(NEXT) | instid1(VALU_DEP_3)
	v_lshl_add_u32 v132, v132, 23, 0x3b800000
	v_and_b32_e32 v129, 0x80000000, v129
	s_delay_alu instid0(VALU_DEP_3) | instskip(NEXT) | instid1(VALU_DEP_1)
	v_cndmask_b32_e32 v130, v130, v133, vcc_lo
	v_lshlrev_b32_e32 v130, 20, v130
	s_delay_alu instid0(VALU_DEP_1)
	v_or3_b32 v130, v129, v132, v130
.LBB4_569:                              ;   in Loop: Header=BB4_143 Depth=2
	s_or_b32 exec_lo, exec_lo, s26
	s_delay_alu instid0(VALU_DEP_1) | instskip(NEXT) | instid1(VALU_DEP_1)
	v_dual_max_f32 v129, v130, v130 :: v_dual_max_f32 v130, v131, v131
	v_min_f32_e32 v131, v130, v129
.LBB4_570:                              ;   in Loop: Header=BB4_143 Depth=2
	s_delay_alu instid0(VALU_DEP_1) | instskip(NEXT) | instid1(VALU_DEP_1)
	v_and_b32_e32 v129, 0x7f800000, v131
	v_cmp_ne_u32_e32 vcc_lo, 0x7f800000, v129
	v_mov_b32_e32 v129, 0x80
	s_and_saveexec_b32 s26, vcc_lo
	s_cbranch_execz .LBB4_578
; %bb.571:                              ;   in Loop: Header=BB4_143 Depth=2
	v_mov_b32_e32 v129, 0
	s_mov_b32 s27, exec_lo
	v_cmpx_ne_u32_e32 0, v131
	s_cbranch_execz .LBB4_577
; %bb.572:                              ;   in Loop: Header=BB4_143 Depth=2
	v_bfe_u32 v129, v131, 23, 8
	v_and_b32_e32 v130, 0x7fffff, v131
	s_delay_alu instid0(VALU_DEP_2) | instskip(SKIP_1) | instid1(VALU_DEP_3)
	v_sub_nc_u32_e32 v132, 0x78, v129
	v_cmp_gt_u32_e32 vcc_lo, 0x79, v129
	v_or_b32_e32 v133, 0x800000, v130
	s_delay_alu instid0(VALU_DEP_3) | instskip(SKIP_2) | instid1(VALU_DEP_3)
	v_cndmask_b32_e32 v132, 0, v132, vcc_lo
	v_cmp_eq_u32_e32 vcc_lo, 0, v129
	v_add_nc_u32_e32 v129, 0xffffff89, v129
	v_cndmask_b32_e64 v132, v132, 0x77, vcc_lo
	v_cndmask_b32_e32 v130, v133, v130, vcc_lo
	s_delay_alu instid0(VALU_DEP_3) | instskip(NEXT) | instid1(VALU_DEP_3)
	v_cndmask_b32_e64 v129, v129, 0xffffff8a, vcc_lo
	v_lshl_add_u32 v133, 0x100000, v132, -1
	s_delay_alu instid0(VALU_DEP_3) | instskip(SKIP_1) | instid1(VALU_DEP_4)
	v_lshrrev_b32_e32 v134, v132, v130
	v_lshlrev_b32_e64 v144, v132, 0x80000
	v_add_nc_u32_e32 v132, v132, v129
	s_delay_alu instid0(VALU_DEP_4) | instskip(NEXT) | instid1(VALU_DEP_4)
	v_and_b32_e32 v130, v133, v130
	v_bfe_u32 v135, v134, 20, 1
	s_delay_alu instid0(VALU_DEP_2) | instskip(NEXT) | instid1(VALU_DEP_2)
	v_cmp_eq_u32_e64 s11, v130, v144
	v_add_nc_u32_e32 v133, -1, v135
	s_delay_alu instid0(VALU_DEP_1) | instskip(SKIP_2) | instid1(VALU_DEP_2)
	v_cndmask_b32_e64 v130, 0, v133, s11
	v_lshrrev_b32_e32 v133, 23, v134
	s_mov_b32 s11, exec_lo
	v_add_nc_u32_e32 v130, v130, v134
	s_delay_alu instid0(VALU_DEP_2) | instskip(NEXT) | instid1(VALU_DEP_2)
	v_xor_b32_e32 v133, 1, v133
	v_and_b32_e32 v129, 0xfffff, v130
	s_delay_alu instid0(VALU_DEP_1) | instskip(NEXT) | instid1(VALU_DEP_3)
	v_add_nc_u32_e32 v130, v129, v134
                                        ; implicit-def: $vgpr129
	v_cmpx_ne_u32_e64 v132, v133
	s_xor_b32 s11, exec_lo, s11
; %bb.573:                              ;   in Loop: Header=BB4_143 Depth=2
	s_delay_alu instid0(VALU_DEP_2) | instskip(SKIP_2) | instid1(VALU_DEP_2)
	v_cmp_lt_u32_e32 vcc_lo, 0xffffff, v130
	v_sub_nc_u32_e32 v129, v132, v133
	v_cndmask_b32_e64 v132, 0, 1, vcc_lo
	v_add_co_ci_u32_e32 v129, vcc_lo, 0, v129, vcc_lo
	s_delay_alu instid0(VALU_DEP_2)
	v_lshrrev_b32_e32 v130, v132, v130
; %bb.574:                              ;   in Loop: Header=BB4_143 Depth=2
	s_and_not1_saveexec_b32 s11, s11
; %bb.575:                              ;   in Loop: Header=BB4_143 Depth=2
	s_delay_alu instid0(VALU_DEP_1)
	v_bfe_u32 v129, v130, 23, 1
; %bb.576:                              ;   in Loop: Header=BB4_143 Depth=2
	s_or_b32 exec_lo, exec_lo, s11
	v_lshrrev_b32_e32 v130, 20, v130
	s_delay_alu instid0(VALU_DEP_2) | instskip(SKIP_2) | instid1(VALU_DEP_2)
	v_cmp_gt_i32_e32 vcc_lo, 16, v129
	v_lshrrev_b32_e32 v131, 24, v131
	v_min_i32_e32 v132, 15, v129
	v_dual_cndmask_b32 v130, 7, v130 :: v_dual_and_b32 v131, 0x80, v131
	s_delay_alu instid0(VALU_DEP_1) | instskip(SKIP_1) | instid1(VALU_DEP_2)
	v_or_b32_e32 v129, v129, v130
	v_and_b32_e32 v133, 7, v130
	v_cmp_ne_u32_e32 vcc_lo, 0, v129
	v_lshlrev_b32_e32 v132, 3, v132
	s_delay_alu instid0(VALU_DEP_1) | instskip(NEXT) | instid1(VALU_DEP_1)
	v_and_b32_e32 v132, 0xf8, v132
	v_or3_b32 v130, v132, v131, v133
	s_delay_alu instid0(VALU_DEP_1)
	v_cndmask_b32_e32 v129, 0, v130, vcc_lo
.LBB4_577:                              ;   in Loop: Header=BB4_143 Depth=2
	s_or_b32 exec_lo, exec_lo, s27
.LBB4_578:                              ;   in Loop: Header=BB4_143 Depth=2
	s_delay_alu instid0(SALU_CYCLE_1)
	s_or_b32 exec_lo, exec_lo, s26
	v_lshrrev_b32_e32 v131, 24, v25
	v_lshrrev_b32_e32 v130, 24, v21
	s_and_b32 vcc_lo, exec_lo, s25
	s_cbranch_vccz .LBB4_588
; %bb.579:                              ;   in Loop: Header=BB4_143 Depth=2
	s_mov_b32 s11, 0
	s_mov_b32 s27, exec_lo
                                        ; implicit-def: $sgpr26
	v_cmpx_lt_i16_e64 0x7f, v131
	s_xor_b32 s27, exec_lo, s27
	s_cbranch_execnz .LBB4_1309
; %bb.580:                              ;   in Loop: Header=BB4_143 Depth=2
	s_or_saveexec_b32 s27, s27
	v_mov_b32_e32 v132, s26
	s_xor_b32 exec_lo, exec_lo, s27
	s_cbranch_execnz .LBB4_1312
.LBB4_581:                              ;   in Loop: Header=BB4_143 Depth=2
	s_or_b32 exec_lo, exec_lo, s27
	s_and_saveexec_b32 s26, s11
	s_cbranch_execz .LBB4_583
.LBB4_582:                              ;   in Loop: Header=BB4_143 Depth=2
	v_bfe_u32 v132, v25, 24, 3
	v_bfe_u32 v135, v25, 27, 4
	s_delay_alu instid0(VALU_DEP_2) | instskip(NEXT) | instid1(VALU_DEP_2)
	v_clz_i32_u32_e32 v133, v132
	v_cmp_eq_u32_e32 vcc_lo, 0, v135
	s_delay_alu instid0(VALU_DEP_2) | instskip(NEXT) | instid1(VALU_DEP_1)
	v_min_u32_e32 v133, 32, v133
	v_subrev_nc_u32_e32 v134, 28, v133
	v_sub_nc_u32_e32 v133, 29, v133
	s_delay_alu instid0(VALU_DEP_1) | instskip(NEXT) | instid1(VALU_DEP_1)
	v_dual_cndmask_b32 v133, v135, v133 :: v_dual_lshlrev_b32 v134, v134, v131
	v_and_b32_e32 v134, 7, v134
	s_delay_alu instid0(VALU_DEP_2) | instskip(NEXT) | instid1(VALU_DEP_2)
	v_lshl_add_u32 v133, v133, 23, 0x3b800000
	v_cndmask_b32_e32 v132, v132, v134, vcc_lo
	v_and_b32_e32 v134, 0x80000000, v25
	s_delay_alu instid0(VALU_DEP_2) | instskip(NEXT) | instid1(VALU_DEP_1)
	v_lshlrev_b32_e32 v132, 20, v132
	v_or3_b32 v132, v134, v133, v132
.LBB4_583:                              ;   in Loop: Header=BB4_143 Depth=2
	s_or_b32 exec_lo, exec_lo, s26
	s_mov_b32 s11, 0
	s_mov_b32 s27, exec_lo
                                        ; implicit-def: $sgpr26
	v_cmpx_lt_i16_e64 0x7f, v130
	s_xor_b32 s27, exec_lo, s27
	s_cbranch_execnz .LBB4_1313
; %bb.584:                              ;   in Loop: Header=BB4_143 Depth=2
	s_or_saveexec_b32 s27, s27
	v_mov_b32_e32 v133, s26
	s_xor_b32 exec_lo, exec_lo, s27
	s_cbranch_execnz .LBB4_1316
.LBB4_585:                              ;   in Loop: Header=BB4_143 Depth=2
	s_or_b32 exec_lo, exec_lo, s27
	s_and_saveexec_b32 s26, s11
	s_cbranch_execz .LBB4_587
.LBB4_586:                              ;   in Loop: Header=BB4_143 Depth=2
	v_bfe_u32 v133, v21, 24, 3
	v_bfe_u32 v144, v21, 27, 4
	s_delay_alu instid0(VALU_DEP_2) | instskip(NEXT) | instid1(VALU_DEP_2)
	v_clz_i32_u32_e32 v134, v133
	v_cmp_eq_u32_e32 vcc_lo, 0, v144
	s_delay_alu instid0(VALU_DEP_2) | instskip(NEXT) | instid1(VALU_DEP_1)
	v_min_u32_e32 v134, 32, v134
	v_subrev_nc_u32_e32 v135, 28, v134
	v_sub_nc_u32_e32 v134, 29, v134
	s_delay_alu instid0(VALU_DEP_2) | instskip(NEXT) | instid1(VALU_DEP_1)
	v_lshlrev_b32_e32 v135, v135, v130
	v_dual_cndmask_b32 v134, v144, v134 :: v_dual_and_b32 v135, 7, v135
	s_delay_alu instid0(VALU_DEP_1) | instskip(NEXT) | instid1(VALU_DEP_2)
	v_lshl_add_u32 v134, v134, 23, 0x3b800000
	v_cndmask_b32_e32 v133, v133, v135, vcc_lo
	v_and_b32_e32 v135, 0x80000000, v21
	s_delay_alu instid0(VALU_DEP_2) | instskip(NEXT) | instid1(VALU_DEP_1)
	v_lshlrev_b32_e32 v133, 20, v133
	v_or3_b32 v133, v135, v134, v133
.LBB4_587:                              ;   in Loop: Header=BB4_143 Depth=2
	s_or_b32 exec_lo, exec_lo, s26
	s_delay_alu instid0(VALU_DEP_1) | instskip(SKIP_1) | instid1(VALU_DEP_1)
	v_dual_max_f32 v133, v133, v133 :: v_dual_max_f32 v132, v132, v132
	s_mov_b32 s11, 0
	v_max_f32_e32 v132, v132, v133
	s_branch .LBB4_589
.LBB4_588:                              ;   in Loop: Header=BB4_143 Depth=2
	s_mov_b32 s11, -1
                                        ; implicit-def: $vgpr132
.LBB4_589:                              ;   in Loop: Header=BB4_143 Depth=2
	s_delay_alu instid0(SALU_CYCLE_1)
	s_and_b32 vcc_lo, exec_lo, s11
	s_cbranch_vccz .LBB4_599
; %bb.590:                              ;   in Loop: Header=BB4_143 Depth=2
	s_mov_b32 s11, 0
	s_mov_b32 s27, exec_lo
                                        ; implicit-def: $sgpr26
	v_cmpx_lt_i16_e64 0x7f, v131
	s_xor_b32 s27, exec_lo, s27
	s_cbranch_execnz .LBB4_1317
; %bb.591:                              ;   in Loop: Header=BB4_143 Depth=2
	s_or_saveexec_b32 s27, s27
	v_mov_b32_e32 v132, s26
	s_xor_b32 exec_lo, exec_lo, s27
	s_cbranch_execnz .LBB4_1320
.LBB4_592:                              ;   in Loop: Header=BB4_143 Depth=2
	s_or_b32 exec_lo, exec_lo, s27
	s_and_saveexec_b32 s26, s11
	s_cbranch_execz .LBB4_594
.LBB4_593:                              ;   in Loop: Header=BB4_143 Depth=2
	v_bfe_u32 v132, v25, 24, 3
	s_delay_alu instid0(VALU_DEP_1) | instskip(NEXT) | instid1(VALU_DEP_1)
	v_clz_i32_u32_e32 v133, v132
	v_min_u32_e32 v133, 32, v133
	s_delay_alu instid0(VALU_DEP_1) | instskip(SKIP_1) | instid1(VALU_DEP_2)
	v_subrev_nc_u32_e32 v134, 28, v133
	v_sub_nc_u32_e32 v133, 29, v133
	v_lshlrev_b32_e32 v131, v134, v131
	v_bfe_u32 v134, v25, 27, 4
	v_and_b32_e32 v25, 0x80000000, v25
	s_delay_alu instid0(VALU_DEP_3) | instskip(NEXT) | instid1(VALU_DEP_3)
	v_and_b32_e32 v131, 7, v131
	v_cmp_eq_u32_e32 vcc_lo, 0, v134
	v_cndmask_b32_e32 v133, v134, v133, vcc_lo
	s_delay_alu instid0(VALU_DEP_3) | instskip(NEXT) | instid1(VALU_DEP_2)
	v_cndmask_b32_e32 v131, v132, v131, vcc_lo
	v_lshl_add_u32 v132, v133, 23, 0x3b800000
	s_delay_alu instid0(VALU_DEP_2) | instskip(NEXT) | instid1(VALU_DEP_1)
	v_lshlrev_b32_e32 v131, 20, v131
	v_or3_b32 v132, v25, v132, v131
.LBB4_594:                              ;   in Loop: Header=BB4_143 Depth=2
	s_or_b32 exec_lo, exec_lo, s26
	s_mov_b32 s11, 0
	s_mov_b32 s27, exec_lo
                                        ; implicit-def: $sgpr26
	v_cmpx_lt_i16_e64 0x7f, v130
	s_xor_b32 s27, exec_lo, s27
	s_cbranch_execnz .LBB4_1321
; %bb.595:                              ;   in Loop: Header=BB4_143 Depth=2
	s_or_saveexec_b32 s27, s27
	v_mov_b32_e32 v25, s26
	s_xor_b32 exec_lo, exec_lo, s27
	s_cbranch_execnz .LBB4_1324
.LBB4_596:                              ;   in Loop: Header=BB4_143 Depth=2
	s_or_b32 exec_lo, exec_lo, s27
	s_and_saveexec_b32 s26, s11
	s_cbranch_execz .LBB4_598
.LBB4_597:                              ;   in Loop: Header=BB4_143 Depth=2
	v_bfe_u32 v25, v21, 24, 3
	s_delay_alu instid0(VALU_DEP_1) | instskip(NEXT) | instid1(VALU_DEP_1)
	v_clz_i32_u32_e32 v131, v25
	v_min_u32_e32 v131, 32, v131
	s_delay_alu instid0(VALU_DEP_1) | instskip(SKIP_1) | instid1(VALU_DEP_2)
	v_subrev_nc_u32_e32 v133, 28, v131
	v_sub_nc_u32_e32 v131, 29, v131
	v_lshlrev_b32_e32 v130, v133, v130
	v_bfe_u32 v133, v21, 27, 4
	v_and_b32_e32 v21, 0x80000000, v21
	s_delay_alu instid0(VALU_DEP_2) | instskip(NEXT) | instid1(VALU_DEP_4)
	v_cmp_eq_u32_e32 vcc_lo, 0, v133
	v_dual_cndmask_b32 v131, v133, v131 :: v_dual_and_b32 v130, 7, v130
	s_delay_alu instid0(VALU_DEP_1) | instskip(NEXT) | instid1(VALU_DEP_2)
	v_cndmask_b32_e32 v25, v25, v130, vcc_lo
	v_lshl_add_u32 v130, v131, 23, 0x3b800000
	s_delay_alu instid0(VALU_DEP_2) | instskip(NEXT) | instid1(VALU_DEP_1)
	v_lshlrev_b32_e32 v25, 20, v25
	v_or3_b32 v25, v21, v130, v25
.LBB4_598:                              ;   in Loop: Header=BB4_143 Depth=2
	s_or_b32 exec_lo, exec_lo, s26
	s_delay_alu instid0(VALU_DEP_1) | instskip(SKIP_1) | instid1(VALU_DEP_1)
	v_max_f32_e32 v21, v25, v25
	v_max_f32_e32 v25, v132, v132
	v_min_f32_e32 v132, v25, v21
.LBB4_599:                              ;   in Loop: Header=BB4_143 Depth=2
	s_delay_alu instid0(VALU_DEP_1) | instskip(NEXT) | instid1(VALU_DEP_1)
	v_and_b32_e32 v21, 0x7f800000, v132
	v_cmp_ne_u32_e32 vcc_lo, 0x7f800000, v21
	v_mov_b32_e32 v21, 0x8000
	s_and_saveexec_b32 s26, vcc_lo
	s_cbranch_execz .LBB4_607
; %bb.600:                              ;   in Loop: Header=BB4_143 Depth=2
	v_mov_b32_e32 v21, 0
	s_mov_b32 s27, exec_lo
	v_cmpx_ne_u32_e32 0, v132
	s_cbranch_execz .LBB4_606
; %bb.601:                              ;   in Loop: Header=BB4_143 Depth=2
	v_bfe_u32 v21, v132, 23, 8
	s_delay_alu instid0(VALU_DEP_1) | instskip(SKIP_1) | instid1(VALU_DEP_2)
	v_sub_nc_u32_e32 v130, 0x78, v21
	v_cmp_gt_u32_e32 vcc_lo, 0x79, v21
	v_dual_cndmask_b32 v130, 0, v130 :: v_dual_and_b32 v25, 0x7fffff, v132
	s_delay_alu instid0(VALU_DEP_1) | instskip(SKIP_2) | instid1(VALU_DEP_4)
	v_or_b32_e32 v131, 0x800000, v25
	v_cmp_eq_u32_e32 vcc_lo, 0, v21
	v_add_nc_u32_e32 v21, 0xffffff89, v21
	v_cndmask_b32_e64 v130, v130, 0x77, vcc_lo
	s_delay_alu instid0(VALU_DEP_4) | instskip(NEXT) | instid1(VALU_DEP_3)
	v_cndmask_b32_e32 v25, v131, v25, vcc_lo
	v_cndmask_b32_e64 v21, v21, 0xffffff8a, vcc_lo
	s_delay_alu instid0(VALU_DEP_3) | instskip(NEXT) | instid1(VALU_DEP_3)
	v_lshl_add_u32 v131, 0x100000, v130, -1
	v_lshrrev_b32_e32 v133, v130, v25
	v_lshlrev_b32_e64 v135, v130, 0x80000
	s_delay_alu instid0(VALU_DEP_4) | instskip(NEXT) | instid1(VALU_DEP_4)
	v_add_nc_u32_e32 v130, v130, v21
	v_and_b32_e32 v25, v131, v25
	s_delay_alu instid0(VALU_DEP_4) | instskip(NEXT) | instid1(VALU_DEP_2)
	v_bfe_u32 v134, v133, 20, 1
	v_cmp_eq_u32_e64 s11, v25, v135
	s_delay_alu instid0(VALU_DEP_2) | instskip(NEXT) | instid1(VALU_DEP_1)
	v_add_nc_u32_e32 v131, -1, v134
	v_cndmask_b32_e64 v25, 0, v131, s11
	v_lshrrev_b32_e32 v131, 23, v133
	s_mov_b32 s11, exec_lo
	s_delay_alu instid0(VALU_DEP_2) | instskip(NEXT) | instid1(VALU_DEP_2)
	v_add_nc_u32_e32 v25, v25, v133
	v_xor_b32_e32 v131, 1, v131
	s_delay_alu instid0(VALU_DEP_2) | instskip(NEXT) | instid1(VALU_DEP_1)
	v_and_b32_e32 v21, 0xfffff, v25
	v_add_nc_u32_e32 v25, v21, v133
                                        ; implicit-def: $vgpr21
	s_delay_alu instid0(VALU_DEP_3)
	v_cmpx_ne_u32_e64 v130, v131
	s_xor_b32 s11, exec_lo, s11
; %bb.602:                              ;   in Loop: Header=BB4_143 Depth=2
	s_delay_alu instid0(VALU_DEP_2) | instskip(SKIP_2) | instid1(VALU_DEP_2)
	v_cmp_lt_u32_e32 vcc_lo, 0xffffff, v25
	v_sub_nc_u32_e32 v21, v130, v131
	v_cndmask_b32_e64 v130, 0, 1, vcc_lo
	v_add_co_ci_u32_e32 v21, vcc_lo, 0, v21, vcc_lo
	s_delay_alu instid0(VALU_DEP_2)
	v_lshrrev_b32_e32 v25, v130, v25
; %bb.603:                              ;   in Loop: Header=BB4_143 Depth=2
	s_and_not1_saveexec_b32 s11, s11
; %bb.604:                              ;   in Loop: Header=BB4_143 Depth=2
	s_delay_alu instid0(VALU_DEP_1)
	v_bfe_u32 v21, v25, 23, 1
; %bb.605:                              ;   in Loop: Header=BB4_143 Depth=2
	s_or_b32 exec_lo, exec_lo, s11
	v_lshrrev_b32_e32 v25, 20, v25
	s_delay_alu instid0(VALU_DEP_2) | instskip(SKIP_2) | instid1(VALU_DEP_2)
	v_cmp_gt_i32_e32 vcc_lo, 16, v21
	v_min_i32_e32 v130, 15, v21
	v_lshrrev_b32_e32 v131, 24, v132
	v_dual_cndmask_b32 v25, 7, v25 :: v_dual_lshlrev_b32 v130, 3, v130
	s_delay_alu instid0(VALU_DEP_2) | instskip(NEXT) | instid1(VALU_DEP_2)
	v_and_b32_e32 v131, 0x80, v131
	v_or_b32_e32 v21, v21, v25
	v_and_b32_e32 v132, 7, v25
	s_delay_alu instid0(VALU_DEP_2) | instskip(SKIP_1) | instid1(VALU_DEP_1)
	v_cmp_ne_u32_e32 vcc_lo, 0, v21
	v_and_b32_e32 v130, 0xf8, v130
	v_or3_b32 v130, v131, v130, v132
	s_delay_alu instid0(VALU_DEP_1) | instskip(NEXT) | instid1(VALU_DEP_1)
	v_lshlrev_b32_e32 v25, 8, v130
	v_cndmask_b32_e32 v21, 0, v25, vcc_lo
.LBB4_606:                              ;   in Loop: Header=BB4_143 Depth=2
	s_or_b32 exec_lo, exec_lo, s27
.LBB4_607:                              ;   in Loop: Header=BB4_143 Depth=2
	s_delay_alu instid0(SALU_CYCLE_1) | instskip(NEXT) | instid1(SALU_CYCLE_1)
	s_or_b32 exec_lo, exec_lo, s26
	s_and_not1_b32 vcc_lo, exec_lo, s25
	s_cbranch_vccnz .LBB4_617
; %bb.608:                              ;   in Loop: Header=BB4_143 Depth=2
	v_and_b32_e32 v130, 0xff, v14
	s_mov_b32 s11, 0
	s_mov_b32 s27, exec_lo
                                        ; implicit-def: $sgpr26
	s_delay_alu instid0(VALU_DEP_1)
	v_cmpx_lt_i16_e64 0x7f, v130
	s_xor_b32 s27, exec_lo, s27
	s_cbranch_execnz .LBB4_1325
; %bb.609:                              ;   in Loop: Header=BB4_143 Depth=2
	s_or_saveexec_b32 s27, s27
	v_mov_b32_e32 v25, s26
	s_xor_b32 exec_lo, exec_lo, s27
	s_cbranch_execnz .LBB4_1328
.LBB4_610:                              ;   in Loop: Header=BB4_143 Depth=2
	s_or_b32 exec_lo, exec_lo, s27
	s_and_saveexec_b32 s26, s11
	s_cbranch_execz .LBB4_612
.LBB4_611:                              ;   in Loop: Header=BB4_143 Depth=2
	v_and_b32_e32 v25, 7, v14
	v_bfe_u32 v132, v14, 3, 4
	v_lshlrev_b32_e32 v133, 24, v14
	s_delay_alu instid0(VALU_DEP_3) | instskip(NEXT) | instid1(VALU_DEP_3)
	v_clz_i32_u32_e32 v130, v25
	v_cmp_eq_u32_e32 vcc_lo, 0, v132
	s_delay_alu instid0(VALU_DEP_2) | instskip(NEXT) | instid1(VALU_DEP_1)
	v_min_u32_e32 v130, 32, v130
	v_subrev_nc_u32_e32 v131, 28, v130
	v_sub_nc_u32_e32 v130, 29, v130
	s_delay_alu instid0(VALU_DEP_2) | instskip(NEXT) | instid1(VALU_DEP_1)
	v_lshlrev_b32_e32 v131, v131, v14
	v_dual_cndmask_b32 v130, v132, v130 :: v_dual_and_b32 v131, 7, v131
	s_delay_alu instid0(VALU_DEP_1) | instskip(NEXT) | instid1(VALU_DEP_2)
	v_lshl_add_u32 v130, v130, 23, 0x3b800000
	v_cndmask_b32_e32 v25, v25, v131, vcc_lo
	v_and_b32_e32 v131, 0x80000000, v133
	s_delay_alu instid0(VALU_DEP_2) | instskip(NEXT) | instid1(VALU_DEP_1)
	v_lshlrev_b32_e32 v25, 20, v25
	v_or3_b32 v25, v131, v130, v25
.LBB4_612:                              ;   in Loop: Header=BB4_143 Depth=2
	s_or_b32 exec_lo, exec_lo, s26
	s_waitcnt vmcnt(0)
	v_and_b32_e32 v131, 0xff, v10
	s_mov_b32 s11, 0
	s_mov_b32 s27, exec_lo
                                        ; implicit-def: $sgpr26
	s_delay_alu instid0(VALU_DEP_1)
	v_cmpx_lt_i16_e64 0x7f, v131
	s_xor_b32 s27, exec_lo, s27
	s_cbranch_execnz .LBB4_1329
; %bb.613:                              ;   in Loop: Header=BB4_143 Depth=2
	s_or_saveexec_b32 s27, s27
	v_mov_b32_e32 v130, s26
	s_xor_b32 exec_lo, exec_lo, s27
	s_cbranch_execnz .LBB4_1332
.LBB4_614:                              ;   in Loop: Header=BB4_143 Depth=2
	s_or_b32 exec_lo, exec_lo, s27
	s_and_saveexec_b32 s26, s11
	s_cbranch_execz .LBB4_616
.LBB4_615:                              ;   in Loop: Header=BB4_143 Depth=2
	v_bfe_u32 v133, v10, 3, 4
	v_lshlrev_b32_e32 v134, 24, v10
	s_delay_alu instid0(VALU_DEP_2) | instskip(SKIP_1) | instid1(VALU_DEP_1)
	v_cmp_eq_u32_e32 vcc_lo, 0, v133
	v_and_b32_e32 v130, 7, v10
	v_clz_i32_u32_e32 v131, v130
	s_delay_alu instid0(VALU_DEP_1) | instskip(NEXT) | instid1(VALU_DEP_1)
	v_min_u32_e32 v131, 32, v131
	v_subrev_nc_u32_e32 v132, 28, v131
	v_sub_nc_u32_e32 v131, 29, v131
	s_delay_alu instid0(VALU_DEP_1) | instskip(NEXT) | instid1(VALU_DEP_1)
	v_dual_cndmask_b32 v131, v133, v131 :: v_dual_lshlrev_b32 v132, v132, v10
	v_and_b32_e32 v132, 7, v132
	s_delay_alu instid0(VALU_DEP_2) | instskip(NEXT) | instid1(VALU_DEP_2)
	v_lshl_add_u32 v131, v131, 23, 0x3b800000
	v_cndmask_b32_e32 v130, v130, v132, vcc_lo
	v_and_b32_e32 v132, 0x80000000, v134
	s_delay_alu instid0(VALU_DEP_2) | instskip(NEXT) | instid1(VALU_DEP_1)
	v_lshlrev_b32_e32 v130, 20, v130
	v_or3_b32 v130, v132, v131, v130
.LBB4_616:                              ;   in Loop: Header=BB4_143 Depth=2
	s_or_b32 exec_lo, exec_lo, s26
	s_delay_alu instid0(VALU_DEP_1) | instskip(SKIP_1) | instid1(VALU_DEP_1)
	v_dual_max_f32 v130, v130, v130 :: v_dual_max_f32 v25, v25, v25
	s_mov_b32 s11, 0
	v_max_f32_e32 v130, v25, v130
	s_branch .LBB4_618
.LBB4_617:                              ;   in Loop: Header=BB4_143 Depth=2
	s_mov_b32 s11, -1
                                        ; implicit-def: $vgpr130
.LBB4_618:                              ;   in Loop: Header=BB4_143 Depth=2
	s_delay_alu instid0(SALU_CYCLE_1)
	s_and_b32 vcc_lo, exec_lo, s11
	s_cbranch_vccz .LBB4_628
; %bb.619:                              ;   in Loop: Header=BB4_143 Depth=2
	v_and_b32_e32 v130, 0xff, v14
	s_mov_b32 s11, 0
	s_mov_b32 s27, exec_lo
                                        ; implicit-def: $sgpr26
	s_delay_alu instid0(VALU_DEP_1)
	v_cmpx_lt_i16_e64 0x7f, v130
	s_xor_b32 s27, exec_lo, s27
	s_cbranch_execnz .LBB4_1333
; %bb.620:                              ;   in Loop: Header=BB4_143 Depth=2
	s_or_saveexec_b32 s27, s27
	v_mov_b32_e32 v25, s26
	s_xor_b32 exec_lo, exec_lo, s27
	s_cbranch_execnz .LBB4_1336
.LBB4_621:                              ;   in Loop: Header=BB4_143 Depth=2
	s_or_b32 exec_lo, exec_lo, s27
	s_and_saveexec_b32 s26, s11
	s_cbranch_execz .LBB4_623
.LBB4_622:                              ;   in Loop: Header=BB4_143 Depth=2
	v_and_b32_e32 v25, 7, v14
	v_bfe_u32 v132, v14, 3, 4
	v_lshlrev_b32_e32 v133, 24, v14
	s_delay_alu instid0(VALU_DEP_3) | instskip(NEXT) | instid1(VALU_DEP_3)
	v_clz_i32_u32_e32 v130, v25
	v_cmp_eq_u32_e32 vcc_lo, 0, v132
	s_delay_alu instid0(VALU_DEP_2) | instskip(NEXT) | instid1(VALU_DEP_1)
	v_min_u32_e32 v130, 32, v130
	v_subrev_nc_u32_e32 v131, 28, v130
	v_sub_nc_u32_e32 v130, 29, v130
	s_delay_alu instid0(VALU_DEP_2) | instskip(NEXT) | instid1(VALU_DEP_1)
	v_lshlrev_b32_e32 v131, v131, v14
	v_dual_cndmask_b32 v130, v132, v130 :: v_dual_and_b32 v131, 7, v131
	s_delay_alu instid0(VALU_DEP_1) | instskip(NEXT) | instid1(VALU_DEP_2)
	v_lshl_add_u32 v130, v130, 23, 0x3b800000
	v_cndmask_b32_e32 v25, v25, v131, vcc_lo
	v_and_b32_e32 v131, 0x80000000, v133
	s_delay_alu instid0(VALU_DEP_2) | instskip(NEXT) | instid1(VALU_DEP_1)
	v_lshlrev_b32_e32 v25, 20, v25
	v_or3_b32 v25, v131, v130, v25
.LBB4_623:                              ;   in Loop: Header=BB4_143 Depth=2
	s_or_b32 exec_lo, exec_lo, s26
	s_waitcnt vmcnt(0)
	v_and_b32_e32 v131, 0xff, v10
	s_mov_b32 s11, 0
	s_mov_b32 s27, exec_lo
                                        ; implicit-def: $sgpr26
	s_delay_alu instid0(VALU_DEP_1)
	v_cmpx_lt_i16_e64 0x7f, v131
	s_xor_b32 s27, exec_lo, s27
	s_cbranch_execnz .LBB4_1337
; %bb.624:                              ;   in Loop: Header=BB4_143 Depth=2
	s_or_saveexec_b32 s27, s27
	v_mov_b32_e32 v130, s26
	s_xor_b32 exec_lo, exec_lo, s27
	s_cbranch_execnz .LBB4_1340
.LBB4_625:                              ;   in Loop: Header=BB4_143 Depth=2
	s_or_b32 exec_lo, exec_lo, s27
	s_and_saveexec_b32 s26, s11
	s_cbranch_execz .LBB4_627
.LBB4_626:                              ;   in Loop: Header=BB4_143 Depth=2
	v_bfe_u32 v133, v10, 3, 4
	v_lshlrev_b32_e32 v134, 24, v10
	s_delay_alu instid0(VALU_DEP_2) | instskip(SKIP_1) | instid1(VALU_DEP_1)
	v_cmp_eq_u32_e32 vcc_lo, 0, v133
	v_and_b32_e32 v130, 7, v10
	v_clz_i32_u32_e32 v131, v130
	s_delay_alu instid0(VALU_DEP_1) | instskip(NEXT) | instid1(VALU_DEP_1)
	v_min_u32_e32 v131, 32, v131
	v_subrev_nc_u32_e32 v132, 28, v131
	v_sub_nc_u32_e32 v131, 29, v131
	s_delay_alu instid0(VALU_DEP_1) | instskip(NEXT) | instid1(VALU_DEP_1)
	v_dual_cndmask_b32 v131, v133, v131 :: v_dual_lshlrev_b32 v132, v132, v10
	v_and_b32_e32 v132, 7, v132
	s_delay_alu instid0(VALU_DEP_2) | instskip(NEXT) | instid1(VALU_DEP_2)
	v_lshl_add_u32 v131, v131, 23, 0x3b800000
	v_cndmask_b32_e32 v130, v130, v132, vcc_lo
	v_and_b32_e32 v132, 0x80000000, v134
	s_delay_alu instid0(VALU_DEP_2) | instskip(NEXT) | instid1(VALU_DEP_1)
	v_lshlrev_b32_e32 v130, 20, v130
	v_or3_b32 v130, v132, v131, v130
.LBB4_627:                              ;   in Loop: Header=BB4_143 Depth=2
	s_or_b32 exec_lo, exec_lo, s26
	s_delay_alu instid0(VALU_DEP_1) | instskip(NEXT) | instid1(VALU_DEP_1)
	v_dual_max_f32 v130, v130, v130 :: v_dual_max_f32 v25, v25, v25
	v_min_f32_e32 v130, v25, v130
.LBB4_628:                              ;   in Loop: Header=BB4_143 Depth=2
	s_delay_alu instid0(VALU_DEP_1) | instskip(NEXT) | instid1(VALU_DEP_1)
	v_and_b32_e32 v25, 0x7f800000, v130
	v_cmp_ne_u32_e32 vcc_lo, 0x7f800000, v25
	v_mov_b32_e32 v25, 0x80
	s_and_saveexec_b32 s26, vcc_lo
	s_cbranch_execz .LBB4_636
; %bb.629:                              ;   in Loop: Header=BB4_143 Depth=2
	v_mov_b32_e32 v25, 0
	s_mov_b32 s27, exec_lo
	v_cmpx_ne_u32_e32 0, v130
	s_cbranch_execz .LBB4_635
; %bb.630:                              ;   in Loop: Header=BB4_143 Depth=2
	v_bfe_u32 v25, v130, 23, 8
	s_delay_alu instid0(VALU_DEP_1) | instskip(SKIP_1) | instid1(VALU_DEP_2)
	v_sub_nc_u32_e32 v132, 0x78, v25
	v_cmp_gt_u32_e32 vcc_lo, 0x79, v25
	v_dual_cndmask_b32 v132, 0, v132 :: v_dual_and_b32 v131, 0x7fffff, v130
	s_delay_alu instid0(VALU_DEP_1) | instskip(SKIP_2) | instid1(VALU_DEP_4)
	v_or_b32_e32 v133, 0x800000, v131
	v_cmp_eq_u32_e32 vcc_lo, 0, v25
	v_add_nc_u32_e32 v25, 0xffffff89, v25
	v_cndmask_b32_e64 v132, v132, 0x77, vcc_lo
	s_delay_alu instid0(VALU_DEP_2) | instskip(SKIP_1) | instid1(VALU_DEP_3)
	v_cndmask_b32_e64 v25, v25, 0xffffff8a, vcc_lo
	v_cndmask_b32_e32 v131, v133, v131, vcc_lo
	v_lshl_add_u32 v133, 0x100000, v132, -1
	v_lshlrev_b32_e64 v144, v132, 0x80000
	s_delay_alu instid0(VALU_DEP_3) | instskip(SKIP_1) | instid1(VALU_DEP_4)
	v_lshrrev_b32_e32 v134, v132, v131
	v_add_nc_u32_e32 v132, v132, v25
	v_and_b32_e32 v131, v133, v131
	s_delay_alu instid0(VALU_DEP_3) | instskip(NEXT) | instid1(VALU_DEP_2)
	v_bfe_u32 v135, v134, 20, 1
	v_cmp_eq_u32_e64 s11, v131, v144
	s_delay_alu instid0(VALU_DEP_2) | instskip(NEXT) | instid1(VALU_DEP_1)
	v_add_nc_u32_e32 v133, -1, v135
	v_cndmask_b32_e64 v131, 0, v133, s11
	v_lshrrev_b32_e32 v133, 23, v134
	s_mov_b32 s11, exec_lo
	s_delay_alu instid0(VALU_DEP_2) | instskip(NEXT) | instid1(VALU_DEP_2)
	v_add_nc_u32_e32 v131, v131, v134
	v_xor_b32_e32 v133, 1, v133
	s_delay_alu instid0(VALU_DEP_2) | instskip(NEXT) | instid1(VALU_DEP_1)
	v_and_b32_e32 v25, 0xfffff, v131
	v_add_nc_u32_e32 v131, v25, v134
                                        ; implicit-def: $vgpr25
	s_delay_alu instid0(VALU_DEP_3)
	v_cmpx_ne_u32_e64 v132, v133
	s_xor_b32 s11, exec_lo, s11
; %bb.631:                              ;   in Loop: Header=BB4_143 Depth=2
	s_delay_alu instid0(VALU_DEP_2) | instskip(SKIP_2) | instid1(VALU_DEP_2)
	v_cmp_lt_u32_e32 vcc_lo, 0xffffff, v131
	v_sub_nc_u32_e32 v25, v132, v133
	v_cndmask_b32_e64 v132, 0, 1, vcc_lo
	v_add_co_ci_u32_e32 v25, vcc_lo, 0, v25, vcc_lo
	s_delay_alu instid0(VALU_DEP_2)
	v_lshrrev_b32_e32 v131, v132, v131
; %bb.632:                              ;   in Loop: Header=BB4_143 Depth=2
	s_and_not1_saveexec_b32 s11, s11
; %bb.633:                              ;   in Loop: Header=BB4_143 Depth=2
	s_delay_alu instid0(VALU_DEP_1)
	v_bfe_u32 v25, v131, 23, 1
; %bb.634:                              ;   in Loop: Header=BB4_143 Depth=2
	s_or_b32 exec_lo, exec_lo, s11
	v_lshrrev_b32_e32 v131, 20, v131
	s_delay_alu instid0(VALU_DEP_2) | instskip(SKIP_2) | instid1(VALU_DEP_2)
	v_cmp_gt_i32_e32 vcc_lo, 16, v25
	v_lshrrev_b32_e32 v130, 24, v130
	v_min_i32_e32 v132, 15, v25
	v_dual_cndmask_b32 v131, 7, v131 :: v_dual_and_b32 v130, 0x80, v130
	s_delay_alu instid0(VALU_DEP_1) | instskip(SKIP_1) | instid1(VALU_DEP_2)
	v_or_b32_e32 v25, v25, v131
	v_and_b32_e32 v133, 7, v131
	v_cmp_ne_u32_e32 vcc_lo, 0, v25
	v_lshlrev_b32_e32 v132, 3, v132
	s_delay_alu instid0(VALU_DEP_1) | instskip(NEXT) | instid1(VALU_DEP_1)
	v_or3_b32 v130, v132, v130, v133
	v_cndmask_b32_e32 v25, 0, v130, vcc_lo
.LBB4_635:                              ;   in Loop: Header=BB4_143 Depth=2
	s_or_b32 exec_lo, exec_lo, s27
.LBB4_636:                              ;   in Loop: Header=BB4_143 Depth=2
	s_delay_alu instid0(SALU_CYCLE_1)
	s_or_b32 exec_lo, exec_lo, s26
	v_lshrrev_b16 v131, 8, v14
	s_waitcnt vmcnt(0)
	v_lshrrev_b16 v130, 8, v10
	s_and_not1_b32 vcc_lo, exec_lo, s25
	s_cbranch_vccnz .LBB4_646
; %bb.637:                              ;   in Loop: Header=BB4_143 Depth=2
	s_mov_b32 s11, 0
	s_mov_b32 s27, exec_lo
                                        ; implicit-def: $sgpr26
	v_cmpx_lt_i16_e64 0x7f, v131
	s_xor_b32 s27, exec_lo, s27
	s_cbranch_execnz .LBB4_1341
; %bb.638:                              ;   in Loop: Header=BB4_143 Depth=2
	s_or_saveexec_b32 s27, s27
	v_mov_b32_e32 v132, s26
	s_xor_b32 exec_lo, exec_lo, s27
	s_cbranch_execnz .LBB4_1344
.LBB4_639:                              ;   in Loop: Header=BB4_143 Depth=2
	s_or_b32 exec_lo, exec_lo, s27
	s_and_saveexec_b32 s26, s11
	s_cbranch_execz .LBB4_641
.LBB4_640:                              ;   in Loop: Header=BB4_143 Depth=2
	v_and_b32_e32 v132, 0xffff, v131
	s_delay_alu instid0(VALU_DEP_1) | instskip(NEXT) | instid1(VALU_DEP_1)
	v_and_b32_e32 v133, 7, v132
	v_clz_i32_u32_e32 v134, v133
	s_delay_alu instid0(VALU_DEP_1) | instskip(NEXT) | instid1(VALU_DEP_1)
	v_min_u32_e32 v134, 32, v134
	v_subrev_nc_u32_e32 v135, 28, v134
	v_sub_nc_u32_e32 v134, 29, v134
	s_delay_alu instid0(VALU_DEP_2) | instskip(SKIP_1) | instid1(VALU_DEP_2)
	v_lshlrev_b32_e32 v135, v135, v132
	v_bfe_u32 v132, v132, 3, 4
	v_and_b32_e32 v135, 7, v135
	s_delay_alu instid0(VALU_DEP_2) | instskip(SKIP_1) | instid1(VALU_DEP_3)
	v_cmp_eq_u32_e32 vcc_lo, 0, v132
	v_cndmask_b32_e32 v132, v132, v134, vcc_lo
	v_dual_cndmask_b32 v133, v133, v135 :: v_dual_lshlrev_b32 v144, 16, v14
	s_delay_alu instid0(VALU_DEP_2) | instskip(NEXT) | instid1(VALU_DEP_2)
	v_lshl_add_u32 v132, v132, 23, 0x3b800000
	v_and_b32_e32 v134, 0x80000000, v144
	s_delay_alu instid0(VALU_DEP_3) | instskip(NEXT) | instid1(VALU_DEP_1)
	v_lshlrev_b32_e32 v133, 20, v133
	v_or3_b32 v132, v134, v132, v133
.LBB4_641:                              ;   in Loop: Header=BB4_143 Depth=2
	s_or_b32 exec_lo, exec_lo, s26
	s_mov_b32 s11, 0
	s_mov_b32 s27, exec_lo
                                        ; implicit-def: $sgpr26
	v_cmpx_lt_i16_e64 0x7f, v130
	s_xor_b32 s27, exec_lo, s27
	s_cbranch_execnz .LBB4_1345
; %bb.642:                              ;   in Loop: Header=BB4_143 Depth=2
	s_or_saveexec_b32 s27, s27
	v_mov_b32_e32 v133, s26
	s_xor_b32 exec_lo, exec_lo, s27
	s_cbranch_execnz .LBB4_1348
.LBB4_643:                              ;   in Loop: Header=BB4_143 Depth=2
	s_or_b32 exec_lo, exec_lo, s27
	s_and_saveexec_b32 s26, s11
	s_cbranch_execz .LBB4_645
.LBB4_644:                              ;   in Loop: Header=BB4_143 Depth=2
	v_and_b32_e32 v133, 0xffff, v130
	v_lshlrev_b32_e32 v145, 16, v10
	s_delay_alu instid0(VALU_DEP_2) | instskip(NEXT) | instid1(VALU_DEP_1)
	v_and_b32_e32 v134, 7, v133
	v_clz_i32_u32_e32 v135, v134
	s_delay_alu instid0(VALU_DEP_1) | instskip(NEXT) | instid1(VALU_DEP_1)
	v_min_u32_e32 v135, 32, v135
	v_subrev_nc_u32_e32 v144, 28, v135
	v_sub_nc_u32_e32 v135, 29, v135
	s_delay_alu instid0(VALU_DEP_2) | instskip(SKIP_1) | instid1(VALU_DEP_2)
	v_lshlrev_b32_e32 v144, v144, v133
	v_bfe_u32 v133, v133, 3, 4
	v_and_b32_e32 v144, 7, v144
	s_delay_alu instid0(VALU_DEP_2) | instskip(NEXT) | instid1(VALU_DEP_2)
	v_cmp_eq_u32_e32 vcc_lo, 0, v133
	v_dual_cndmask_b32 v133, v133, v135 :: v_dual_cndmask_b32 v134, v134, v144
	v_and_b32_e32 v135, 0x80000000, v145
	s_delay_alu instid0(VALU_DEP_2) | instskip(NEXT) | instid1(VALU_DEP_3)
	v_lshl_add_u32 v133, v133, 23, 0x3b800000
	v_lshlrev_b32_e32 v134, 20, v134
	s_delay_alu instid0(VALU_DEP_1)
	v_or3_b32 v133, v135, v133, v134
.LBB4_645:                              ;   in Loop: Header=BB4_143 Depth=2
	s_or_b32 exec_lo, exec_lo, s26
	s_delay_alu instid0(VALU_DEP_1) | instskip(SKIP_1) | instid1(VALU_DEP_1)
	v_dual_max_f32 v133, v133, v133 :: v_dual_max_f32 v132, v132, v132
	s_mov_b32 s11, 0
	v_max_f32_e32 v132, v132, v133
	s_branch .LBB4_647
.LBB4_646:                              ;   in Loop: Header=BB4_143 Depth=2
	s_mov_b32 s11, -1
                                        ; implicit-def: $vgpr132
.LBB4_647:                              ;   in Loop: Header=BB4_143 Depth=2
	s_delay_alu instid0(SALU_CYCLE_1)
	s_and_b32 vcc_lo, exec_lo, s11
	s_cbranch_vccz .LBB4_657
; %bb.648:                              ;   in Loop: Header=BB4_143 Depth=2
	s_mov_b32 s11, 0
	s_mov_b32 s27, exec_lo
                                        ; implicit-def: $sgpr26
	v_cmpx_lt_i16_e64 0x7f, v131
	s_xor_b32 s27, exec_lo, s27
	s_cbranch_execnz .LBB4_1349
; %bb.649:                              ;   in Loop: Header=BB4_143 Depth=2
	s_or_saveexec_b32 s27, s27
	v_mov_b32_e32 v132, s26
	s_xor_b32 exec_lo, exec_lo, s27
	s_cbranch_execnz .LBB4_1352
.LBB4_650:                              ;   in Loop: Header=BB4_143 Depth=2
	s_or_b32 exec_lo, exec_lo, s27
	s_and_saveexec_b32 s26, s11
	s_cbranch_execz .LBB4_652
.LBB4_651:                              ;   in Loop: Header=BB4_143 Depth=2
	v_and_b32_e32 v131, 0xffff, v131
	v_lshlrev_b32_e32 v135, 16, v14
	s_delay_alu instid0(VALU_DEP_2) | instskip(NEXT) | instid1(VALU_DEP_1)
	v_and_b32_e32 v132, 7, v131
	v_clz_i32_u32_e32 v133, v132
	s_delay_alu instid0(VALU_DEP_1) | instskip(NEXT) | instid1(VALU_DEP_1)
	v_min_u32_e32 v133, 32, v133
	v_subrev_nc_u32_e32 v134, 28, v133
	v_sub_nc_u32_e32 v133, 29, v133
	s_delay_alu instid0(VALU_DEP_2) | instskip(SKIP_1) | instid1(VALU_DEP_2)
	v_lshlrev_b32_e32 v134, v134, v131
	v_bfe_u32 v131, v131, 3, 4
	v_and_b32_e32 v134, 7, v134
	s_delay_alu instid0(VALU_DEP_2) | instskip(NEXT) | instid1(VALU_DEP_2)
	v_cmp_eq_u32_e32 vcc_lo, 0, v131
	v_dual_cndmask_b32 v131, v131, v133 :: v_dual_cndmask_b32 v132, v132, v134
	v_and_b32_e32 v133, 0x80000000, v135
	s_delay_alu instid0(VALU_DEP_2) | instskip(NEXT) | instid1(VALU_DEP_3)
	v_lshl_add_u32 v131, v131, 23, 0x3b800000
	v_lshlrev_b32_e32 v132, 20, v132
	s_delay_alu instid0(VALU_DEP_1)
	v_or3_b32 v132, v133, v131, v132
.LBB4_652:                              ;   in Loop: Header=BB4_143 Depth=2
	s_or_b32 exec_lo, exec_lo, s26
	s_mov_b32 s11, 0
	s_mov_b32 s27, exec_lo
                                        ; implicit-def: $sgpr26
	v_cmpx_lt_i16_e64 0x7f, v130
	s_xor_b32 s27, exec_lo, s27
	s_cbranch_execnz .LBB4_1353
; %bb.653:                              ;   in Loop: Header=BB4_143 Depth=2
	s_or_saveexec_b32 s27, s27
	v_mov_b32_e32 v131, s26
	s_xor_b32 exec_lo, exec_lo, s27
	s_cbranch_execnz .LBB4_1356
.LBB4_654:                              ;   in Loop: Header=BB4_143 Depth=2
	s_or_b32 exec_lo, exec_lo, s27
	s_and_saveexec_b32 s26, s11
	s_cbranch_execz .LBB4_656
.LBB4_655:                              ;   in Loop: Header=BB4_143 Depth=2
	v_and_b32_e32 v130, 0xffff, v130
	v_lshlrev_b32_e32 v135, 16, v10
	s_delay_alu instid0(VALU_DEP_2) | instskip(NEXT) | instid1(VALU_DEP_1)
	v_and_b32_e32 v131, 7, v130
	v_clz_i32_u32_e32 v133, v131
	s_delay_alu instid0(VALU_DEP_1) | instskip(NEXT) | instid1(VALU_DEP_1)
	v_min_u32_e32 v133, 32, v133
	v_subrev_nc_u32_e32 v134, 28, v133
	v_sub_nc_u32_e32 v133, 29, v133
	s_delay_alu instid0(VALU_DEP_2) | instskip(SKIP_1) | instid1(VALU_DEP_2)
	v_lshlrev_b32_e32 v134, v134, v130
	v_bfe_u32 v130, v130, 3, 4
	v_and_b32_e32 v134, 7, v134
	s_delay_alu instid0(VALU_DEP_2) | instskip(NEXT) | instid1(VALU_DEP_2)
	v_cmp_eq_u32_e32 vcc_lo, 0, v130
	v_dual_cndmask_b32 v130, v130, v133 :: v_dual_cndmask_b32 v131, v131, v134
	v_and_b32_e32 v133, 0x80000000, v135
	s_delay_alu instid0(VALU_DEP_2) | instskip(NEXT) | instid1(VALU_DEP_3)
	v_lshl_add_u32 v130, v130, 23, 0x3b800000
	v_lshlrev_b32_e32 v131, 20, v131
	s_delay_alu instid0(VALU_DEP_1)
	v_or3_b32 v131, v133, v130, v131
.LBB4_656:                              ;   in Loop: Header=BB4_143 Depth=2
	s_or_b32 exec_lo, exec_lo, s26
	s_delay_alu instid0(VALU_DEP_1) | instskip(NEXT) | instid1(VALU_DEP_1)
	v_dual_max_f32 v130, v131, v131 :: v_dual_max_f32 v131, v132, v132
	v_min_f32_e32 v132, v131, v130
.LBB4_657:                              ;   in Loop: Header=BB4_143 Depth=2
	s_delay_alu instid0(VALU_DEP_1) | instskip(NEXT) | instid1(VALU_DEP_1)
	v_and_b32_e32 v130, 0x7f800000, v132
	v_cmp_ne_u32_e32 vcc_lo, 0x7f800000, v130
	v_mov_b32_e32 v130, 0x80
	s_and_saveexec_b32 s26, vcc_lo
	s_cbranch_execz .LBB4_665
; %bb.658:                              ;   in Loop: Header=BB4_143 Depth=2
	v_mov_b32_e32 v130, 0
	s_mov_b32 s27, exec_lo
	v_cmpx_ne_u32_e32 0, v132
	s_cbranch_execz .LBB4_664
; %bb.659:                              ;   in Loop: Header=BB4_143 Depth=2
	v_bfe_u32 v130, v132, 23, 8
	v_and_b32_e32 v131, 0x7fffff, v132
	s_delay_alu instid0(VALU_DEP_2) | instskip(SKIP_1) | instid1(VALU_DEP_3)
	v_sub_nc_u32_e32 v133, 0x78, v130
	v_cmp_gt_u32_e32 vcc_lo, 0x79, v130
	v_or_b32_e32 v134, 0x800000, v131
	s_delay_alu instid0(VALU_DEP_3) | instskip(SKIP_2) | instid1(VALU_DEP_3)
	v_cndmask_b32_e32 v133, 0, v133, vcc_lo
	v_cmp_eq_u32_e32 vcc_lo, 0, v130
	v_add_nc_u32_e32 v130, 0xffffff89, v130
	v_cndmask_b32_e64 v133, v133, 0x77, vcc_lo
	v_cndmask_b32_e32 v131, v134, v131, vcc_lo
	s_delay_alu instid0(VALU_DEP_3) | instskip(NEXT) | instid1(VALU_DEP_3)
	v_cndmask_b32_e64 v130, v130, 0xffffff8a, vcc_lo
	v_lshl_add_u32 v134, 0x100000, v133, -1
	s_delay_alu instid0(VALU_DEP_3) | instskip(SKIP_1) | instid1(VALU_DEP_4)
	v_lshrrev_b32_e32 v135, v133, v131
	v_lshlrev_b32_e64 v145, v133, 0x80000
	v_add_nc_u32_e32 v133, v133, v130
	s_delay_alu instid0(VALU_DEP_4) | instskip(NEXT) | instid1(VALU_DEP_4)
	v_and_b32_e32 v131, v134, v131
	v_bfe_u32 v144, v135, 20, 1
	s_delay_alu instid0(VALU_DEP_2) | instskip(NEXT) | instid1(VALU_DEP_2)
	v_cmp_eq_u32_e64 s11, v131, v145
	v_add_nc_u32_e32 v134, -1, v144
	s_delay_alu instid0(VALU_DEP_1) | instskip(SKIP_2) | instid1(VALU_DEP_2)
	v_cndmask_b32_e64 v131, 0, v134, s11
	v_lshrrev_b32_e32 v134, 23, v135
	s_mov_b32 s11, exec_lo
	v_add_nc_u32_e32 v131, v131, v135
	s_delay_alu instid0(VALU_DEP_2) | instskip(NEXT) | instid1(VALU_DEP_2)
	v_xor_b32_e32 v134, 1, v134
	v_and_b32_e32 v130, 0xfffff, v131
	s_delay_alu instid0(VALU_DEP_1) | instskip(NEXT) | instid1(VALU_DEP_3)
	v_add_nc_u32_e32 v131, v130, v135
                                        ; implicit-def: $vgpr130
	v_cmpx_ne_u32_e64 v133, v134
	s_xor_b32 s11, exec_lo, s11
; %bb.660:                              ;   in Loop: Header=BB4_143 Depth=2
	s_delay_alu instid0(VALU_DEP_2) | instskip(SKIP_2) | instid1(VALU_DEP_2)
	v_cmp_lt_u32_e32 vcc_lo, 0xffffff, v131
	v_sub_nc_u32_e32 v130, v133, v134
	v_cndmask_b32_e64 v133, 0, 1, vcc_lo
	v_add_co_ci_u32_e32 v130, vcc_lo, 0, v130, vcc_lo
	s_delay_alu instid0(VALU_DEP_2)
	v_lshrrev_b32_e32 v131, v133, v131
; %bb.661:                              ;   in Loop: Header=BB4_143 Depth=2
	s_and_not1_saveexec_b32 s11, s11
; %bb.662:                              ;   in Loop: Header=BB4_143 Depth=2
	s_delay_alu instid0(VALU_DEP_1)
	v_bfe_u32 v130, v131, 23, 1
; %bb.663:                              ;   in Loop: Header=BB4_143 Depth=2
	s_or_b32 exec_lo, exec_lo, s11
	v_lshrrev_b32_e32 v131, 20, v131
	s_delay_alu instid0(VALU_DEP_2) | instskip(SKIP_2) | instid1(VALU_DEP_2)
	v_cmp_gt_i32_e32 vcc_lo, 16, v130
	v_lshrrev_b32_e32 v132, 24, v132
	v_min_i32_e32 v133, 15, v130
	v_dual_cndmask_b32 v131, 7, v131 :: v_dual_and_b32 v132, 0x80, v132
	s_delay_alu instid0(VALU_DEP_1) | instskip(SKIP_1) | instid1(VALU_DEP_2)
	v_or_b32_e32 v130, v130, v131
	v_and_b32_e32 v134, 7, v131
	v_cmp_ne_u32_e32 vcc_lo, 0, v130
	v_lshlrev_b32_e32 v133, 3, v133
	s_delay_alu instid0(VALU_DEP_1) | instskip(NEXT) | instid1(VALU_DEP_1)
	v_or3_b32 v131, v133, v132, v134
	v_cndmask_b32_e32 v130, 0, v131, vcc_lo
.LBB4_664:                              ;   in Loop: Header=BB4_143 Depth=2
	s_or_b32 exec_lo, exec_lo, s27
.LBB4_665:                              ;   in Loop: Header=BB4_143 Depth=2
	s_delay_alu instid0(SALU_CYCLE_1)
	s_or_b32 exec_lo, exec_lo, s26
	v_lshrrev_b32_e32 v132, 16, v14
	v_lshrrev_b32_e32 v131, 16, v10
	s_and_not1_b32 vcc_lo, exec_lo, s25
	s_cbranch_vccnz .LBB4_675
; %bb.666:                              ;   in Loop: Header=BB4_143 Depth=2
	s_delay_alu instid0(VALU_DEP_2) | instskip(SKIP_2) | instid1(VALU_DEP_1)
	v_and_b32_e32 v134, 0xff, v132
	s_mov_b32 s11, 0
	s_mov_b32 s27, exec_lo
                                        ; implicit-def: $sgpr26
	v_cmpx_lt_i16_e64 0x7f, v134
	s_xor_b32 s27, exec_lo, s27
	s_cbranch_execnz .LBB4_1357
; %bb.667:                              ;   in Loop: Header=BB4_143 Depth=2
	s_or_saveexec_b32 s27, s27
	v_mov_b32_e32 v133, s26
	s_xor_b32 exec_lo, exec_lo, s27
	s_cbranch_execnz .LBB4_1360
.LBB4_668:                              ;   in Loop: Header=BB4_143 Depth=2
	s_or_b32 exec_lo, exec_lo, s27
	s_and_saveexec_b32 s26, s11
	s_cbranch_execz .LBB4_670
.LBB4_669:                              ;   in Loop: Header=BB4_143 Depth=2
	v_bfe_u32 v133, v14, 16, 3
	v_bfe_u32 v144, v14, 19, 4
	v_lshlrev_b32_e32 v145, 24, v132
	s_delay_alu instid0(VALU_DEP_3) | instskip(NEXT) | instid1(VALU_DEP_3)
	v_clz_i32_u32_e32 v134, v133
	v_cmp_eq_u32_e32 vcc_lo, 0, v144
	s_delay_alu instid0(VALU_DEP_2) | instskip(NEXT) | instid1(VALU_DEP_1)
	v_min_u32_e32 v134, 32, v134
	v_subrev_nc_u32_e32 v135, 28, v134
	v_sub_nc_u32_e32 v134, 29, v134
	s_delay_alu instid0(VALU_DEP_1) | instskip(NEXT) | instid1(VALU_DEP_1)
	v_dual_cndmask_b32 v134, v144, v134 :: v_dual_lshlrev_b32 v135, v135, v132
	v_and_b32_e32 v135, 7, v135
	s_delay_alu instid0(VALU_DEP_2) | instskip(NEXT) | instid1(VALU_DEP_2)
	v_lshl_add_u32 v134, v134, 23, 0x3b800000
	v_cndmask_b32_e32 v133, v133, v135, vcc_lo
	v_and_b32_e32 v135, 0x80000000, v145
	s_delay_alu instid0(VALU_DEP_2) | instskip(NEXT) | instid1(VALU_DEP_1)
	v_lshlrev_b32_e32 v133, 20, v133
	v_or3_b32 v133, v135, v134, v133
.LBB4_670:                              ;   in Loop: Header=BB4_143 Depth=2
	s_or_b32 exec_lo, exec_lo, s26
	v_and_b32_e32 v135, 0xff, v131
	s_mov_b32 s11, 0
	s_mov_b32 s27, exec_lo
                                        ; implicit-def: $sgpr26
	s_delay_alu instid0(VALU_DEP_1)
	v_cmpx_lt_i16_e64 0x7f, v135
	s_xor_b32 s27, exec_lo, s27
	s_cbranch_execnz .LBB4_1361
; %bb.671:                              ;   in Loop: Header=BB4_143 Depth=2
	s_or_saveexec_b32 s27, s27
	v_mov_b32_e32 v134, s26
	s_xor_b32 exec_lo, exec_lo, s27
	s_cbranch_execnz .LBB4_1364
.LBB4_672:                              ;   in Loop: Header=BB4_143 Depth=2
	s_or_b32 exec_lo, exec_lo, s27
	s_and_saveexec_b32 s26, s11
	s_cbranch_execz .LBB4_674
.LBB4_673:                              ;   in Loop: Header=BB4_143 Depth=2
	v_bfe_u32 v134, v10, 16, 3
	v_bfe_u32 v145, v10, 19, 4
	v_lshlrev_b32_e32 v146, 24, v131
	s_delay_alu instid0(VALU_DEP_3) | instskip(NEXT) | instid1(VALU_DEP_3)
	v_clz_i32_u32_e32 v135, v134
	v_cmp_eq_u32_e32 vcc_lo, 0, v145
	s_delay_alu instid0(VALU_DEP_2) | instskip(NEXT) | instid1(VALU_DEP_1)
	v_min_u32_e32 v135, 32, v135
	v_subrev_nc_u32_e32 v144, 28, v135
	v_sub_nc_u32_e32 v135, 29, v135
	s_delay_alu instid0(VALU_DEP_2) | instskip(NEXT) | instid1(VALU_DEP_1)
	v_lshlrev_b32_e32 v144, v144, v131
	v_dual_cndmask_b32 v135, v145, v135 :: v_dual_and_b32 v144, 7, v144
	s_delay_alu instid0(VALU_DEP_1) | instskip(NEXT) | instid1(VALU_DEP_2)
	v_lshl_add_u32 v135, v135, 23, 0x3b800000
	v_cndmask_b32_e32 v134, v134, v144, vcc_lo
	v_and_b32_e32 v144, 0x80000000, v146
	s_delay_alu instid0(VALU_DEP_2) | instskip(NEXT) | instid1(VALU_DEP_1)
	v_lshlrev_b32_e32 v134, 20, v134
	v_or3_b32 v134, v144, v135, v134
.LBB4_674:                              ;   in Loop: Header=BB4_143 Depth=2
	s_or_b32 exec_lo, exec_lo, s26
	s_delay_alu instid0(VALU_DEP_1) | instskip(SKIP_1) | instid1(VALU_DEP_1)
	v_dual_max_f32 v134, v134, v134 :: v_dual_max_f32 v133, v133, v133
	s_mov_b32 s11, 0
	v_max_f32_e32 v133, v133, v134
	s_branch .LBB4_676
.LBB4_675:                              ;   in Loop: Header=BB4_143 Depth=2
	s_mov_b32 s11, -1
                                        ; implicit-def: $vgpr133
.LBB4_676:                              ;   in Loop: Header=BB4_143 Depth=2
	s_delay_alu instid0(SALU_CYCLE_1)
	s_and_b32 vcc_lo, exec_lo, s11
	s_cbranch_vccz .LBB4_686
; %bb.677:                              ;   in Loop: Header=BB4_143 Depth=2
	v_and_b32_e32 v134, 0xff, v132
	s_mov_b32 s11, 0
	s_mov_b32 s27, exec_lo
                                        ; implicit-def: $sgpr26
	s_delay_alu instid0(VALU_DEP_1)
	v_cmpx_lt_i16_e64 0x7f, v134
	s_xor_b32 s27, exec_lo, s27
	s_cbranch_execnz .LBB4_1365
; %bb.678:                              ;   in Loop: Header=BB4_143 Depth=2
	s_or_saveexec_b32 s27, s27
	v_mov_b32_e32 v133, s26
	s_xor_b32 exec_lo, exec_lo, s27
	s_cbranch_execnz .LBB4_1368
.LBB4_679:                              ;   in Loop: Header=BB4_143 Depth=2
	s_or_b32 exec_lo, exec_lo, s27
	s_and_saveexec_b32 s26, s11
	s_cbranch_execz .LBB4_681
.LBB4_680:                              ;   in Loop: Header=BB4_143 Depth=2
	v_bfe_u32 v133, v14, 16, 3
	v_bfe_u32 v144, v14, 19, 4
	s_delay_alu instid0(VALU_DEP_2) | instskip(NEXT) | instid1(VALU_DEP_2)
	v_clz_i32_u32_e32 v134, v133
	v_cmp_eq_u32_e32 vcc_lo, 0, v144
	s_delay_alu instid0(VALU_DEP_2) | instskip(NEXT) | instid1(VALU_DEP_1)
	v_min_u32_e32 v134, 32, v134
	v_subrev_nc_u32_e32 v135, 28, v134
	v_sub_nc_u32_e32 v134, 29, v134
	s_delay_alu instid0(VALU_DEP_1) | instskip(NEXT) | instid1(VALU_DEP_1)
	v_dual_cndmask_b32 v134, v144, v134 :: v_dual_lshlrev_b32 v135, v135, v132
	v_and_b32_e32 v135, 7, v135
	v_lshlrev_b32_e32 v132, 24, v132
	s_delay_alu instid0(VALU_DEP_3) | instskip(NEXT) | instid1(VALU_DEP_2)
	v_lshl_add_u32 v134, v134, 23, 0x3b800000
	v_dual_cndmask_b32 v133, v133, v135 :: v_dual_and_b32 v132, 0x80000000, v132
	s_delay_alu instid0(VALU_DEP_1) | instskip(NEXT) | instid1(VALU_DEP_1)
	v_lshlrev_b32_e32 v133, 20, v133
	v_or3_b32 v133, v132, v134, v133
.LBB4_681:                              ;   in Loop: Header=BB4_143 Depth=2
	s_or_b32 exec_lo, exec_lo, s26
	v_and_b32_e32 v134, 0xff, v131
	s_mov_b32 s11, 0
	s_mov_b32 s27, exec_lo
                                        ; implicit-def: $sgpr26
	s_delay_alu instid0(VALU_DEP_1)
	v_cmpx_lt_i16_e64 0x7f, v134
	s_xor_b32 s27, exec_lo, s27
	s_cbranch_execnz .LBB4_1369
; %bb.682:                              ;   in Loop: Header=BB4_143 Depth=2
	s_or_saveexec_b32 s27, s27
	v_mov_b32_e32 v132, s26
	s_xor_b32 exec_lo, exec_lo, s27
	s_cbranch_execnz .LBB4_1372
.LBB4_683:                              ;   in Loop: Header=BB4_143 Depth=2
	s_or_b32 exec_lo, exec_lo, s27
	s_and_saveexec_b32 s26, s11
	s_cbranch_execz .LBB4_685
.LBB4_684:                              ;   in Loop: Header=BB4_143 Depth=2
	v_bfe_u32 v132, v10, 16, 3
	v_bfe_u32 v144, v10, 19, 4
	s_delay_alu instid0(VALU_DEP_2) | instskip(NEXT) | instid1(VALU_DEP_2)
	v_clz_i32_u32_e32 v134, v132
	v_cmp_eq_u32_e32 vcc_lo, 0, v144
	s_delay_alu instid0(VALU_DEP_2) | instskip(NEXT) | instid1(VALU_DEP_1)
	v_min_u32_e32 v134, 32, v134
	v_subrev_nc_u32_e32 v135, 28, v134
	v_sub_nc_u32_e32 v134, 29, v134
	s_delay_alu instid0(VALU_DEP_1) | instskip(SKIP_1) | instid1(VALU_DEP_2)
	v_dual_cndmask_b32 v134, v144, v134 :: v_dual_lshlrev_b32 v135, v135, v131
	v_lshlrev_b32_e32 v131, 24, v131
	v_and_b32_e32 v135, 7, v135
	s_delay_alu instid0(VALU_DEP_3) | instskip(NEXT) | instid1(VALU_DEP_3)
	v_lshl_add_u32 v134, v134, 23, 0x3b800000
	v_and_b32_e32 v131, 0x80000000, v131
	s_delay_alu instid0(VALU_DEP_3) | instskip(NEXT) | instid1(VALU_DEP_1)
	v_cndmask_b32_e32 v132, v132, v135, vcc_lo
	v_lshlrev_b32_e32 v132, 20, v132
	s_delay_alu instid0(VALU_DEP_1)
	v_or3_b32 v132, v131, v134, v132
.LBB4_685:                              ;   in Loop: Header=BB4_143 Depth=2
	s_or_b32 exec_lo, exec_lo, s26
	s_delay_alu instid0(VALU_DEP_1) | instskip(NEXT) | instid1(VALU_DEP_1)
	v_dual_max_f32 v131, v132, v132 :: v_dual_max_f32 v132, v133, v133
	v_min_f32_e32 v133, v132, v131
.LBB4_686:                              ;   in Loop: Header=BB4_143 Depth=2
	s_delay_alu instid0(VALU_DEP_1) | instskip(NEXT) | instid1(VALU_DEP_1)
	v_and_b32_e32 v131, 0x7f800000, v133
	v_cmp_ne_u32_e32 vcc_lo, 0x7f800000, v131
	v_mov_b32_e32 v131, 0x80
	s_and_saveexec_b32 s26, vcc_lo
	s_cbranch_execz .LBB4_694
; %bb.687:                              ;   in Loop: Header=BB4_143 Depth=2
	v_mov_b32_e32 v131, 0
	s_mov_b32 s27, exec_lo
	v_cmpx_ne_u32_e32 0, v133
	s_cbranch_execz .LBB4_693
; %bb.688:                              ;   in Loop: Header=BB4_143 Depth=2
	v_bfe_u32 v131, v133, 23, 8
	v_and_b32_e32 v132, 0x7fffff, v133
	s_delay_alu instid0(VALU_DEP_2) | instskip(SKIP_1) | instid1(VALU_DEP_3)
	v_sub_nc_u32_e32 v134, 0x78, v131
	v_cmp_gt_u32_e32 vcc_lo, 0x79, v131
	v_or_b32_e32 v135, 0x800000, v132
	s_delay_alu instid0(VALU_DEP_3) | instskip(SKIP_2) | instid1(VALU_DEP_3)
	v_cndmask_b32_e32 v134, 0, v134, vcc_lo
	v_cmp_eq_u32_e32 vcc_lo, 0, v131
	v_add_nc_u32_e32 v131, 0xffffff89, v131
	v_cndmask_b32_e64 v134, v134, 0x77, vcc_lo
	v_cndmask_b32_e32 v132, v135, v132, vcc_lo
	s_delay_alu instid0(VALU_DEP_3) | instskip(NEXT) | instid1(VALU_DEP_3)
	v_cndmask_b32_e64 v131, v131, 0xffffff8a, vcc_lo
	v_lshl_add_u32 v135, 0x100000, v134, -1
	s_delay_alu instid0(VALU_DEP_3) | instskip(SKIP_1) | instid1(VALU_DEP_4)
	v_lshrrev_b32_e32 v144, v134, v132
	v_lshlrev_b32_e64 v146, v134, 0x80000
	v_add_nc_u32_e32 v134, v134, v131
	s_delay_alu instid0(VALU_DEP_4) | instskip(NEXT) | instid1(VALU_DEP_4)
	v_and_b32_e32 v132, v135, v132
	v_bfe_u32 v145, v144, 20, 1
	s_delay_alu instid0(VALU_DEP_2) | instskip(NEXT) | instid1(VALU_DEP_2)
	v_cmp_eq_u32_e64 s11, v132, v146
	v_add_nc_u32_e32 v135, -1, v145
	s_delay_alu instid0(VALU_DEP_1) | instskip(SKIP_2) | instid1(VALU_DEP_2)
	v_cndmask_b32_e64 v132, 0, v135, s11
	v_lshrrev_b32_e32 v135, 23, v144
	s_mov_b32 s11, exec_lo
	v_add_nc_u32_e32 v132, v132, v144
	s_delay_alu instid0(VALU_DEP_2) | instskip(NEXT) | instid1(VALU_DEP_2)
	v_xor_b32_e32 v135, 1, v135
	v_and_b32_e32 v131, 0xfffff, v132
	s_delay_alu instid0(VALU_DEP_1) | instskip(NEXT) | instid1(VALU_DEP_3)
	v_add_nc_u32_e32 v132, v131, v144
                                        ; implicit-def: $vgpr131
	v_cmpx_ne_u32_e64 v134, v135
	s_xor_b32 s11, exec_lo, s11
; %bb.689:                              ;   in Loop: Header=BB4_143 Depth=2
	s_delay_alu instid0(VALU_DEP_2) | instskip(SKIP_2) | instid1(VALU_DEP_2)
	v_cmp_lt_u32_e32 vcc_lo, 0xffffff, v132
	v_sub_nc_u32_e32 v131, v134, v135
	v_cndmask_b32_e64 v134, 0, 1, vcc_lo
	v_add_co_ci_u32_e32 v131, vcc_lo, 0, v131, vcc_lo
	s_delay_alu instid0(VALU_DEP_2)
	v_lshrrev_b32_e32 v132, v134, v132
; %bb.690:                              ;   in Loop: Header=BB4_143 Depth=2
	s_and_not1_saveexec_b32 s11, s11
; %bb.691:                              ;   in Loop: Header=BB4_143 Depth=2
	s_delay_alu instid0(VALU_DEP_1)
	v_bfe_u32 v131, v132, 23, 1
; %bb.692:                              ;   in Loop: Header=BB4_143 Depth=2
	s_or_b32 exec_lo, exec_lo, s11
	v_lshrrev_b32_e32 v132, 20, v132
	s_delay_alu instid0(VALU_DEP_2) | instskip(SKIP_2) | instid1(VALU_DEP_2)
	v_cmp_gt_i32_e32 vcc_lo, 16, v131
	v_lshrrev_b32_e32 v133, 24, v133
	v_min_i32_e32 v134, 15, v131
	v_dual_cndmask_b32 v132, 7, v132 :: v_dual_and_b32 v133, 0x80, v133
	s_delay_alu instid0(VALU_DEP_1) | instskip(SKIP_1) | instid1(VALU_DEP_2)
	v_or_b32_e32 v131, v131, v132
	v_and_b32_e32 v135, 7, v132
	v_cmp_ne_u32_e32 vcc_lo, 0, v131
	v_lshlrev_b32_e32 v134, 3, v134
	s_delay_alu instid0(VALU_DEP_1) | instskip(NEXT) | instid1(VALU_DEP_1)
	v_or3_b32 v132, v134, v133, v135
	v_cndmask_b32_e32 v131, 0, v132, vcc_lo
.LBB4_693:                              ;   in Loop: Header=BB4_143 Depth=2
	s_or_b32 exec_lo, exec_lo, s27
.LBB4_694:                              ;   in Loop: Header=BB4_143 Depth=2
	s_delay_alu instid0(SALU_CYCLE_1)
	s_or_b32 exec_lo, exec_lo, s26
	v_lshrrev_b32_e32 v133, 24, v14
	v_lshrrev_b32_e32 v132, 24, v10
	s_and_not1_b32 vcc_lo, exec_lo, s25
	s_cbranch_vccnz .LBB4_704
; %bb.695:                              ;   in Loop: Header=BB4_143 Depth=2
	s_mov_b32 s11, 0
	s_mov_b32 s27, exec_lo
                                        ; implicit-def: $sgpr26
	v_cmpx_lt_i16_e64 0x7f, v133
	s_xor_b32 s27, exec_lo, s27
	s_cbranch_execnz .LBB4_1373
; %bb.696:                              ;   in Loop: Header=BB4_143 Depth=2
	s_or_saveexec_b32 s27, s27
	v_mov_b32_e32 v134, s26
	s_xor_b32 exec_lo, exec_lo, s27
	s_cbranch_execnz .LBB4_1376
.LBB4_697:                              ;   in Loop: Header=BB4_143 Depth=2
	s_or_b32 exec_lo, exec_lo, s27
	s_and_saveexec_b32 s26, s11
	s_cbranch_execz .LBB4_699
.LBB4_698:                              ;   in Loop: Header=BB4_143 Depth=2
	v_bfe_u32 v134, v14, 24, 3
	v_bfe_u32 v145, v14, 27, 4
	s_delay_alu instid0(VALU_DEP_2) | instskip(NEXT) | instid1(VALU_DEP_2)
	v_clz_i32_u32_e32 v135, v134
	v_cmp_eq_u32_e32 vcc_lo, 0, v145
	s_delay_alu instid0(VALU_DEP_2) | instskip(NEXT) | instid1(VALU_DEP_1)
	v_min_u32_e32 v135, 32, v135
	v_subrev_nc_u32_e32 v144, 28, v135
	v_sub_nc_u32_e32 v135, 29, v135
	s_delay_alu instid0(VALU_DEP_1) | instskip(NEXT) | instid1(VALU_DEP_1)
	v_dual_cndmask_b32 v135, v145, v135 :: v_dual_lshlrev_b32 v144, v144, v133
	v_and_b32_e32 v144, 7, v144
	s_delay_alu instid0(VALU_DEP_2) | instskip(NEXT) | instid1(VALU_DEP_2)
	v_lshl_add_u32 v135, v135, 23, 0x3b800000
	v_cndmask_b32_e32 v134, v134, v144, vcc_lo
	v_and_b32_e32 v144, 0x80000000, v14
	s_delay_alu instid0(VALU_DEP_2) | instskip(NEXT) | instid1(VALU_DEP_1)
	v_lshlrev_b32_e32 v134, 20, v134
	v_or3_b32 v134, v144, v135, v134
.LBB4_699:                              ;   in Loop: Header=BB4_143 Depth=2
	s_or_b32 exec_lo, exec_lo, s26
	s_mov_b32 s11, 0
	s_mov_b32 s27, exec_lo
                                        ; implicit-def: $sgpr26
	v_cmpx_lt_i16_e64 0x7f, v132
	s_xor_b32 s27, exec_lo, s27
	s_cbranch_execnz .LBB4_1377
; %bb.700:                              ;   in Loop: Header=BB4_143 Depth=2
	s_or_saveexec_b32 s27, s27
	v_mov_b32_e32 v135, s26
	s_xor_b32 exec_lo, exec_lo, s27
	s_cbranch_execnz .LBB4_1380
.LBB4_701:                              ;   in Loop: Header=BB4_143 Depth=2
	s_or_b32 exec_lo, exec_lo, s27
	s_and_saveexec_b32 s26, s11
	s_cbranch_execz .LBB4_703
.LBB4_702:                              ;   in Loop: Header=BB4_143 Depth=2
	v_bfe_u32 v135, v10, 24, 3
	v_bfe_u32 v146, v10, 27, 4
	s_delay_alu instid0(VALU_DEP_2) | instskip(NEXT) | instid1(VALU_DEP_2)
	v_clz_i32_u32_e32 v144, v135
	v_cmp_eq_u32_e32 vcc_lo, 0, v146
	s_delay_alu instid0(VALU_DEP_2) | instskip(NEXT) | instid1(VALU_DEP_1)
	v_min_u32_e32 v144, 32, v144
	v_subrev_nc_u32_e32 v145, 28, v144
	v_sub_nc_u32_e32 v144, 29, v144
	s_delay_alu instid0(VALU_DEP_2) | instskip(NEXT) | instid1(VALU_DEP_1)
	v_lshlrev_b32_e32 v145, v145, v132
	v_dual_cndmask_b32 v144, v146, v144 :: v_dual_and_b32 v145, 7, v145
	s_delay_alu instid0(VALU_DEP_1) | instskip(NEXT) | instid1(VALU_DEP_2)
	v_lshl_add_u32 v144, v144, 23, 0x3b800000
	v_cndmask_b32_e32 v135, v135, v145, vcc_lo
	v_and_b32_e32 v145, 0x80000000, v10
	s_delay_alu instid0(VALU_DEP_2) | instskip(NEXT) | instid1(VALU_DEP_1)
	v_lshlrev_b32_e32 v135, 20, v135
	v_or3_b32 v135, v145, v144, v135
.LBB4_703:                              ;   in Loop: Header=BB4_143 Depth=2
	s_or_b32 exec_lo, exec_lo, s26
	s_delay_alu instid0(VALU_DEP_1) | instskip(SKIP_1) | instid1(VALU_DEP_1)
	v_dual_max_f32 v135, v135, v135 :: v_dual_max_f32 v134, v134, v134
	s_mov_b32 s11, 0
	v_max_f32_e32 v134, v134, v135
	s_branch .LBB4_705
.LBB4_704:                              ;   in Loop: Header=BB4_143 Depth=2
	s_mov_b32 s11, -1
                                        ; implicit-def: $vgpr134
.LBB4_705:                              ;   in Loop: Header=BB4_143 Depth=2
	s_delay_alu instid0(SALU_CYCLE_1)
	s_and_b32 vcc_lo, exec_lo, s11
	s_cbranch_vccz .LBB4_715
; %bb.706:                              ;   in Loop: Header=BB4_143 Depth=2
	s_mov_b32 s11, 0
	s_mov_b32 s27, exec_lo
                                        ; implicit-def: $sgpr26
	v_cmpx_lt_i16_e64 0x7f, v133
	s_xor_b32 s27, exec_lo, s27
	s_cbranch_execnz .LBB4_1381
; %bb.707:                              ;   in Loop: Header=BB4_143 Depth=2
	s_or_saveexec_b32 s27, s27
	v_mov_b32_e32 v134, s26
	s_xor_b32 exec_lo, exec_lo, s27
	s_cbranch_execnz .LBB4_1384
.LBB4_708:                              ;   in Loop: Header=BB4_143 Depth=2
	s_or_b32 exec_lo, exec_lo, s27
	s_and_saveexec_b32 s26, s11
	s_cbranch_execz .LBB4_710
.LBB4_709:                              ;   in Loop: Header=BB4_143 Depth=2
	v_bfe_u32 v134, v14, 24, 3
	s_delay_alu instid0(VALU_DEP_1) | instskip(NEXT) | instid1(VALU_DEP_1)
	v_clz_i32_u32_e32 v135, v134
	v_min_u32_e32 v135, 32, v135
	s_delay_alu instid0(VALU_DEP_1) | instskip(SKIP_1) | instid1(VALU_DEP_2)
	v_subrev_nc_u32_e32 v144, 28, v135
	v_sub_nc_u32_e32 v135, 29, v135
	v_lshlrev_b32_e32 v133, v144, v133
	v_bfe_u32 v144, v14, 27, 4
	v_and_b32_e32 v14, 0x80000000, v14
	s_delay_alu instid0(VALU_DEP_3) | instskip(NEXT) | instid1(VALU_DEP_3)
	v_and_b32_e32 v133, 7, v133
	v_cmp_eq_u32_e32 vcc_lo, 0, v144
	v_cndmask_b32_e32 v135, v144, v135, vcc_lo
	s_delay_alu instid0(VALU_DEP_3) | instskip(NEXT) | instid1(VALU_DEP_2)
	v_cndmask_b32_e32 v133, v134, v133, vcc_lo
	v_lshl_add_u32 v134, v135, 23, 0x3b800000
	s_delay_alu instid0(VALU_DEP_2) | instskip(NEXT) | instid1(VALU_DEP_1)
	v_lshlrev_b32_e32 v133, 20, v133
	v_or3_b32 v134, v14, v134, v133
.LBB4_710:                              ;   in Loop: Header=BB4_143 Depth=2
	s_or_b32 exec_lo, exec_lo, s26
	s_mov_b32 s11, 0
	s_mov_b32 s27, exec_lo
                                        ; implicit-def: $sgpr26
	v_cmpx_lt_i16_e64 0x7f, v132
	s_xor_b32 s27, exec_lo, s27
	s_cbranch_execnz .LBB4_1385
; %bb.711:                              ;   in Loop: Header=BB4_143 Depth=2
	s_or_saveexec_b32 s27, s27
	v_mov_b32_e32 v14, s26
	s_xor_b32 exec_lo, exec_lo, s27
	s_cbranch_execnz .LBB4_1388
.LBB4_712:                              ;   in Loop: Header=BB4_143 Depth=2
	s_or_b32 exec_lo, exec_lo, s27
	s_and_saveexec_b32 s26, s11
	s_cbranch_execz .LBB4_714
.LBB4_713:                              ;   in Loop: Header=BB4_143 Depth=2
	v_bfe_u32 v14, v10, 24, 3
	s_delay_alu instid0(VALU_DEP_1) | instskip(NEXT) | instid1(VALU_DEP_1)
	v_clz_i32_u32_e32 v133, v14
	v_min_u32_e32 v133, 32, v133
	s_delay_alu instid0(VALU_DEP_1) | instskip(SKIP_1) | instid1(VALU_DEP_2)
	v_subrev_nc_u32_e32 v135, 28, v133
	v_sub_nc_u32_e32 v133, 29, v133
	v_lshlrev_b32_e32 v132, v135, v132
	v_bfe_u32 v135, v10, 27, 4
	v_and_b32_e32 v10, 0x80000000, v10
	s_delay_alu instid0(VALU_DEP_2) | instskip(NEXT) | instid1(VALU_DEP_4)
	v_cmp_eq_u32_e32 vcc_lo, 0, v135
	v_dual_cndmask_b32 v133, v135, v133 :: v_dual_and_b32 v132, 7, v132
	s_delay_alu instid0(VALU_DEP_1) | instskip(NEXT) | instid1(VALU_DEP_2)
	v_cndmask_b32_e32 v14, v14, v132, vcc_lo
	v_lshl_add_u32 v132, v133, 23, 0x3b800000
	s_delay_alu instid0(VALU_DEP_2) | instskip(NEXT) | instid1(VALU_DEP_1)
	v_lshlrev_b32_e32 v14, 20, v14
	v_or3_b32 v14, v10, v132, v14
.LBB4_714:                              ;   in Loop: Header=BB4_143 Depth=2
	s_or_b32 exec_lo, exec_lo, s26
	s_delay_alu instid0(VALU_DEP_1) | instskip(SKIP_1) | instid1(VALU_DEP_1)
	v_max_f32_e32 v10, v14, v14
	v_max_f32_e32 v14, v134, v134
	v_min_f32_e32 v134, v14, v10
.LBB4_715:                              ;   in Loop: Header=BB4_143 Depth=2
	s_delay_alu instid0(VALU_DEP_1) | instskip(NEXT) | instid1(VALU_DEP_1)
	v_and_b32_e32 v10, 0x7f800000, v134
	v_cmp_ne_u32_e32 vcc_lo, 0x7f800000, v10
	v_mov_b32_e32 v10, 0x80
	s_and_saveexec_b32 s26, vcc_lo
	s_cbranch_execz .LBB4_723
; %bb.716:                              ;   in Loop: Header=BB4_143 Depth=2
	v_mov_b32_e32 v10, 0
	s_mov_b32 s27, exec_lo
	v_cmpx_ne_u32_e32 0, v134
	s_cbranch_execz .LBB4_722
; %bb.717:                              ;   in Loop: Header=BB4_143 Depth=2
	v_bfe_u32 v10, v134, 23, 8
	v_and_b32_e32 v14, 0x7fffff, v134
	s_delay_alu instid0(VALU_DEP_2) | instskip(SKIP_1) | instid1(VALU_DEP_3)
	v_sub_nc_u32_e32 v132, 0x78, v10
	v_cmp_gt_u32_e32 vcc_lo, 0x79, v10
	v_or_b32_e32 v133, 0x800000, v14
	s_delay_alu instid0(VALU_DEP_3) | instskip(SKIP_2) | instid1(VALU_DEP_3)
	v_cndmask_b32_e32 v132, 0, v132, vcc_lo
	v_cmp_eq_u32_e32 vcc_lo, 0, v10
	v_add_nc_u32_e32 v10, 0xffffff89, v10
	v_cndmask_b32_e64 v132, v132, 0x77, vcc_lo
	v_cndmask_b32_e32 v14, v133, v14, vcc_lo
	s_delay_alu instid0(VALU_DEP_3) | instskip(NEXT) | instid1(VALU_DEP_3)
	v_cndmask_b32_e64 v10, v10, 0xffffff8a, vcc_lo
	v_lshl_add_u32 v133, 0x100000, v132, -1
	s_delay_alu instid0(VALU_DEP_3) | instskip(SKIP_1) | instid1(VALU_DEP_4)
	v_lshrrev_b32_e32 v135, v132, v14
	v_lshlrev_b32_e64 v145, v132, 0x80000
	v_add_nc_u32_e32 v132, v132, v10
	s_delay_alu instid0(VALU_DEP_4) | instskip(NEXT) | instid1(VALU_DEP_4)
	v_and_b32_e32 v14, v133, v14
	v_bfe_u32 v144, v135, 20, 1
	s_delay_alu instid0(VALU_DEP_2) | instskip(NEXT) | instid1(VALU_DEP_2)
	v_cmp_eq_u32_e64 s11, v14, v145
	v_add_nc_u32_e32 v133, -1, v144
	s_delay_alu instid0(VALU_DEP_1) | instskip(SKIP_2) | instid1(VALU_DEP_2)
	v_cndmask_b32_e64 v14, 0, v133, s11
	v_lshrrev_b32_e32 v133, 23, v135
	s_mov_b32 s11, exec_lo
	v_add_nc_u32_e32 v14, v14, v135
	s_delay_alu instid0(VALU_DEP_2) | instskip(NEXT) | instid1(VALU_DEP_2)
	v_xor_b32_e32 v133, 1, v133
	v_and_b32_e32 v10, 0xfffff, v14
	s_delay_alu instid0(VALU_DEP_1) | instskip(NEXT) | instid1(VALU_DEP_3)
	v_add_nc_u32_e32 v14, v10, v135
                                        ; implicit-def: $vgpr10
	v_cmpx_ne_u32_e64 v132, v133
	s_xor_b32 s11, exec_lo, s11
; %bb.718:                              ;   in Loop: Header=BB4_143 Depth=2
	s_delay_alu instid0(VALU_DEP_2) | instskip(SKIP_2) | instid1(VALU_DEP_2)
	v_cmp_lt_u32_e32 vcc_lo, 0xffffff, v14
	v_sub_nc_u32_e32 v10, v132, v133
	v_cndmask_b32_e64 v132, 0, 1, vcc_lo
	v_add_co_ci_u32_e32 v10, vcc_lo, 0, v10, vcc_lo
	s_delay_alu instid0(VALU_DEP_2)
	v_lshrrev_b32_e32 v14, v132, v14
; %bb.719:                              ;   in Loop: Header=BB4_143 Depth=2
	s_and_not1_saveexec_b32 s11, s11
; %bb.720:                              ;   in Loop: Header=BB4_143 Depth=2
	s_delay_alu instid0(VALU_DEP_1)
	v_bfe_u32 v10, v14, 23, 1
; %bb.721:                              ;   in Loop: Header=BB4_143 Depth=2
	s_or_b32 exec_lo, exec_lo, s11
	v_lshrrev_b32_e32 v14, 20, v14
	s_delay_alu instid0(VALU_DEP_2) | instskip(SKIP_2) | instid1(VALU_DEP_4)
	v_cmp_gt_i32_e32 vcc_lo, 16, v10
	v_lshrrev_b32_e32 v132, 24, v134
	v_min_i32_e32 v133, 15, v10
	v_cndmask_b32_e32 v14, 7, v14, vcc_lo
	s_delay_alu instid0(VALU_DEP_3) | instskip(NEXT) | instid1(VALU_DEP_3)
	v_and_b32_e32 v132, 0x80, v132
	v_lshlrev_b32_e32 v133, 3, v133
	s_delay_alu instid0(VALU_DEP_3) | instskip(SKIP_1) | instid1(VALU_DEP_2)
	v_and_b32_e32 v134, 7, v14
	v_or_b32_e32 v10, v10, v14
	v_or3_b32 v14, v133, v132, v134
	s_delay_alu instid0(VALU_DEP_2) | instskip(NEXT) | instid1(VALU_DEP_2)
	v_cmp_ne_u32_e32 vcc_lo, 0, v10
	v_cndmask_b32_e32 v10, 0, v14, vcc_lo
.LBB4_722:                              ;   in Loop: Header=BB4_143 Depth=2
	s_or_b32 exec_lo, exec_lo, s27
.LBB4_723:                              ;   in Loop: Header=BB4_143 Depth=2
	s_delay_alu instid0(SALU_CYCLE_1) | instskip(NEXT) | instid1(SALU_CYCLE_1)
	s_or_b32 exec_lo, exec_lo, s26
	s_and_not1_b32 vcc_lo, exec_lo, s25
	s_cbranch_vccnz .LBB4_733
; %bb.724:                              ;   in Loop: Header=BB4_143 Depth=2
	v_and_b32_e32 v132, 0xff, v15
	s_mov_b32 s11, 0
	s_mov_b32 s27, exec_lo
                                        ; implicit-def: $sgpr26
	s_delay_alu instid0(VALU_DEP_1)
	v_cmpx_lt_i16_e64 0x7f, v132
	s_xor_b32 s27, exec_lo, s27
	s_cbranch_execnz .LBB4_1389
; %bb.725:                              ;   in Loop: Header=BB4_143 Depth=2
	s_or_saveexec_b32 s27, s27
	v_mov_b32_e32 v14, s26
	s_xor_b32 exec_lo, exec_lo, s27
	s_cbranch_execnz .LBB4_1392
.LBB4_726:                              ;   in Loop: Header=BB4_143 Depth=2
	s_or_b32 exec_lo, exec_lo, s27
	s_and_saveexec_b32 s26, s11
	s_cbranch_execz .LBB4_728
.LBB4_727:                              ;   in Loop: Header=BB4_143 Depth=2
	v_and_b32_e32 v14, 7, v15
	v_bfe_u32 v134, v15, 3, 4
	s_delay_alu instid0(VALU_DEP_2) | instskip(NEXT) | instid1(VALU_DEP_2)
	v_clz_i32_u32_e32 v132, v14
	v_cmp_eq_u32_e32 vcc_lo, 0, v134
	s_delay_alu instid0(VALU_DEP_2) | instskip(NEXT) | instid1(VALU_DEP_1)
	v_min_u32_e32 v132, 32, v132
	v_subrev_nc_u32_e32 v133, 28, v132
	v_sub_nc_u32_e32 v132, 29, v132
	s_delay_alu instid0(VALU_DEP_1) | instskip(NEXT) | instid1(VALU_DEP_1)
	v_dual_cndmask_b32 v132, v134, v132 :: v_dual_lshlrev_b32 v133, v133, v15
	v_and_b32_e32 v133, 7, v133
	v_lshlrev_b32_e32 v135, 24, v15
	s_delay_alu instid0(VALU_DEP_3) | instskip(NEXT) | instid1(VALU_DEP_2)
	v_lshl_add_u32 v132, v132, 23, 0x3b800000
	v_dual_cndmask_b32 v14, v14, v133 :: v_dual_and_b32 v133, 0x80000000, v135
	s_delay_alu instid0(VALU_DEP_1) | instskip(NEXT) | instid1(VALU_DEP_1)
	v_lshlrev_b32_e32 v14, 20, v14
	v_or3_b32 v14, v133, v132, v14
.LBB4_728:                              ;   in Loop: Header=BB4_143 Depth=2
	s_or_b32 exec_lo, exec_lo, s26
	v_and_b32_e32 v133, 0xff, v11
	s_mov_b32 s11, 0
	s_mov_b32 s27, exec_lo
                                        ; implicit-def: $sgpr26
	s_delay_alu instid0(VALU_DEP_1)
	v_cmpx_lt_i16_e64 0x7f, v133
	s_xor_b32 s27, exec_lo, s27
	s_cbranch_execnz .LBB4_1393
; %bb.729:                              ;   in Loop: Header=BB4_143 Depth=2
	s_or_saveexec_b32 s27, s27
	v_mov_b32_e32 v132, s26
	s_xor_b32 exec_lo, exec_lo, s27
	s_cbranch_execnz .LBB4_1396
.LBB4_730:                              ;   in Loop: Header=BB4_143 Depth=2
	s_or_b32 exec_lo, exec_lo, s27
	s_and_saveexec_b32 s26, s11
	s_cbranch_execz .LBB4_732
.LBB4_731:                              ;   in Loop: Header=BB4_143 Depth=2
	v_bfe_u32 v135, v11, 3, 4
	v_lshlrev_b32_e32 v144, 24, v11
	s_delay_alu instid0(VALU_DEP_2) | instskip(SKIP_1) | instid1(VALU_DEP_1)
	v_cmp_eq_u32_e32 vcc_lo, 0, v135
	v_and_b32_e32 v132, 7, v11
	v_clz_i32_u32_e32 v133, v132
	s_delay_alu instid0(VALU_DEP_1) | instskip(NEXT) | instid1(VALU_DEP_1)
	v_min_u32_e32 v133, 32, v133
	v_subrev_nc_u32_e32 v134, 28, v133
	v_sub_nc_u32_e32 v133, 29, v133
	s_delay_alu instid0(VALU_DEP_1) | instskip(NEXT) | instid1(VALU_DEP_1)
	v_dual_cndmask_b32 v133, v135, v133 :: v_dual_lshlrev_b32 v134, v134, v11
	v_and_b32_e32 v134, 7, v134
	s_delay_alu instid0(VALU_DEP_2) | instskip(NEXT) | instid1(VALU_DEP_2)
	v_lshl_add_u32 v133, v133, 23, 0x3b800000
	v_cndmask_b32_e32 v132, v132, v134, vcc_lo
	v_and_b32_e32 v134, 0x80000000, v144
	s_delay_alu instid0(VALU_DEP_2) | instskip(NEXT) | instid1(VALU_DEP_1)
	v_lshlrev_b32_e32 v132, 20, v132
	v_or3_b32 v132, v134, v133, v132
.LBB4_732:                              ;   in Loop: Header=BB4_143 Depth=2
	s_or_b32 exec_lo, exec_lo, s26
	s_delay_alu instid0(VALU_DEP_1) | instskip(SKIP_2) | instid1(VALU_DEP_1)
	v_max_f32_e32 v132, v132, v132
	v_max_f32_e32 v14, v14, v14
	s_mov_b32 s11, 0
	v_max_f32_e32 v132, v14, v132
	s_branch .LBB4_734
.LBB4_733:                              ;   in Loop: Header=BB4_143 Depth=2
	s_mov_b32 s11, -1
                                        ; implicit-def: $vgpr132
.LBB4_734:                              ;   in Loop: Header=BB4_143 Depth=2
	s_delay_alu instid0(SALU_CYCLE_1)
	s_and_b32 vcc_lo, exec_lo, s11
	s_cbranch_vccz .LBB4_744
; %bb.735:                              ;   in Loop: Header=BB4_143 Depth=2
	v_and_b32_e32 v132, 0xff, v15
	s_mov_b32 s11, 0
	s_mov_b32 s27, exec_lo
                                        ; implicit-def: $sgpr26
	s_delay_alu instid0(VALU_DEP_1)
	v_cmpx_lt_i16_e64 0x7f, v132
	s_xor_b32 s27, exec_lo, s27
	s_cbranch_execnz .LBB4_1397
; %bb.736:                              ;   in Loop: Header=BB4_143 Depth=2
	s_or_saveexec_b32 s27, s27
	v_mov_b32_e32 v14, s26
	s_xor_b32 exec_lo, exec_lo, s27
	s_cbranch_execnz .LBB4_1400
.LBB4_737:                              ;   in Loop: Header=BB4_143 Depth=2
	s_or_b32 exec_lo, exec_lo, s27
	s_and_saveexec_b32 s26, s11
	s_cbranch_execz .LBB4_739
.LBB4_738:                              ;   in Loop: Header=BB4_143 Depth=2
	v_and_b32_e32 v14, 7, v15
	v_bfe_u32 v134, v15, 3, 4
	s_delay_alu instid0(VALU_DEP_2) | instskip(NEXT) | instid1(VALU_DEP_2)
	v_clz_i32_u32_e32 v132, v14
	v_cmp_eq_u32_e32 vcc_lo, 0, v134
	s_delay_alu instid0(VALU_DEP_2) | instskip(NEXT) | instid1(VALU_DEP_1)
	v_min_u32_e32 v132, 32, v132
	v_subrev_nc_u32_e32 v133, 28, v132
	v_sub_nc_u32_e32 v132, 29, v132
	s_delay_alu instid0(VALU_DEP_1) | instskip(NEXT) | instid1(VALU_DEP_1)
	v_dual_cndmask_b32 v132, v134, v132 :: v_dual_lshlrev_b32 v133, v133, v15
	v_and_b32_e32 v133, 7, v133
	v_lshlrev_b32_e32 v135, 24, v15
	s_delay_alu instid0(VALU_DEP_3) | instskip(NEXT) | instid1(VALU_DEP_2)
	v_lshl_add_u32 v132, v132, 23, 0x3b800000
	v_dual_cndmask_b32 v14, v14, v133 :: v_dual_and_b32 v133, 0x80000000, v135
	s_delay_alu instid0(VALU_DEP_1) | instskip(NEXT) | instid1(VALU_DEP_1)
	v_lshlrev_b32_e32 v14, 20, v14
	v_or3_b32 v14, v133, v132, v14
.LBB4_739:                              ;   in Loop: Header=BB4_143 Depth=2
	s_or_b32 exec_lo, exec_lo, s26
	v_and_b32_e32 v133, 0xff, v11
	s_mov_b32 s11, 0
	s_mov_b32 s27, exec_lo
                                        ; implicit-def: $sgpr26
	s_delay_alu instid0(VALU_DEP_1)
	v_cmpx_lt_i16_e64 0x7f, v133
	s_xor_b32 s27, exec_lo, s27
	s_cbranch_execnz .LBB4_1401
; %bb.740:                              ;   in Loop: Header=BB4_143 Depth=2
	s_or_saveexec_b32 s27, s27
	v_mov_b32_e32 v132, s26
	s_xor_b32 exec_lo, exec_lo, s27
	s_cbranch_execnz .LBB4_1404
.LBB4_741:                              ;   in Loop: Header=BB4_143 Depth=2
	s_or_b32 exec_lo, exec_lo, s27
	s_and_saveexec_b32 s26, s11
	s_cbranch_execz .LBB4_743
.LBB4_742:                              ;   in Loop: Header=BB4_143 Depth=2
	v_bfe_u32 v135, v11, 3, 4
	v_lshlrev_b32_e32 v144, 24, v11
	s_delay_alu instid0(VALU_DEP_2) | instskip(SKIP_1) | instid1(VALU_DEP_1)
	v_cmp_eq_u32_e32 vcc_lo, 0, v135
	v_and_b32_e32 v132, 7, v11
	v_clz_i32_u32_e32 v133, v132
	s_delay_alu instid0(VALU_DEP_1) | instskip(NEXT) | instid1(VALU_DEP_1)
	v_min_u32_e32 v133, 32, v133
	v_subrev_nc_u32_e32 v134, 28, v133
	v_sub_nc_u32_e32 v133, 29, v133
	s_delay_alu instid0(VALU_DEP_1) | instskip(NEXT) | instid1(VALU_DEP_1)
	v_dual_cndmask_b32 v133, v135, v133 :: v_dual_lshlrev_b32 v134, v134, v11
	v_and_b32_e32 v134, 7, v134
	s_delay_alu instid0(VALU_DEP_2) | instskip(NEXT) | instid1(VALU_DEP_2)
	v_lshl_add_u32 v133, v133, 23, 0x3b800000
	v_cndmask_b32_e32 v132, v132, v134, vcc_lo
	v_and_b32_e32 v134, 0x80000000, v144
	s_delay_alu instid0(VALU_DEP_2) | instskip(NEXT) | instid1(VALU_DEP_1)
	v_lshlrev_b32_e32 v132, 20, v132
	v_or3_b32 v132, v134, v133, v132
.LBB4_743:                              ;   in Loop: Header=BB4_143 Depth=2
	s_or_b32 exec_lo, exec_lo, s26
	s_delay_alu instid0(VALU_DEP_1) | instskip(SKIP_1) | instid1(VALU_DEP_1)
	v_max_f32_e32 v132, v132, v132
	v_max_f32_e32 v14, v14, v14
	v_min_f32_e32 v132, v14, v132
.LBB4_744:                              ;   in Loop: Header=BB4_143 Depth=2
	s_delay_alu instid0(VALU_DEP_1) | instskip(NEXT) | instid1(VALU_DEP_1)
	v_and_b32_e32 v14, 0x7f800000, v132
	v_cmp_ne_u32_e32 vcc_lo, 0x7f800000, v14
	v_mov_b32_e32 v14, 0x80
	s_and_saveexec_b32 s26, vcc_lo
	s_cbranch_execz .LBB4_752
; %bb.745:                              ;   in Loop: Header=BB4_143 Depth=2
	v_mov_b32_e32 v14, 0
	s_mov_b32 s27, exec_lo
	v_cmpx_ne_u32_e32 0, v132
	s_cbranch_execz .LBB4_751
; %bb.746:                              ;   in Loop: Header=BB4_143 Depth=2
	v_bfe_u32 v14, v132, 23, 8
	s_delay_alu instid0(VALU_DEP_1) | instskip(SKIP_1) | instid1(VALU_DEP_2)
	v_sub_nc_u32_e32 v134, 0x78, v14
	v_cmp_gt_u32_e32 vcc_lo, 0x79, v14
	v_dual_cndmask_b32 v134, 0, v134 :: v_dual_and_b32 v133, 0x7fffff, v132
	s_delay_alu instid0(VALU_DEP_1) | instskip(SKIP_2) | instid1(VALU_DEP_4)
	v_or_b32_e32 v135, 0x800000, v133
	v_cmp_eq_u32_e32 vcc_lo, 0, v14
	v_add_nc_u32_e32 v14, 0xffffff89, v14
	v_cndmask_b32_e64 v134, v134, 0x77, vcc_lo
	s_delay_alu instid0(VALU_DEP_4) | instskip(NEXT) | instid1(VALU_DEP_3)
	v_cndmask_b32_e32 v133, v135, v133, vcc_lo
	v_cndmask_b32_e64 v14, v14, 0xffffff8a, vcc_lo
	s_delay_alu instid0(VALU_DEP_3) | instskip(NEXT) | instid1(VALU_DEP_3)
	v_lshl_add_u32 v135, 0x100000, v134, -1
	v_lshrrev_b32_e32 v144, v134, v133
	v_lshlrev_b32_e64 v146, v134, 0x80000
	s_delay_alu instid0(VALU_DEP_4) | instskip(NEXT) | instid1(VALU_DEP_4)
	v_add_nc_u32_e32 v134, v134, v14
	v_and_b32_e32 v133, v135, v133
	s_delay_alu instid0(VALU_DEP_4) | instskip(NEXT) | instid1(VALU_DEP_2)
	v_bfe_u32 v145, v144, 20, 1
	v_cmp_eq_u32_e64 s11, v133, v146
	s_delay_alu instid0(VALU_DEP_2) | instskip(NEXT) | instid1(VALU_DEP_1)
	v_add_nc_u32_e32 v135, -1, v145
	v_cndmask_b32_e64 v133, 0, v135, s11
	v_lshrrev_b32_e32 v135, 23, v144
	s_mov_b32 s11, exec_lo
	s_delay_alu instid0(VALU_DEP_2) | instskip(NEXT) | instid1(VALU_DEP_2)
	v_add_nc_u32_e32 v133, v133, v144
	v_xor_b32_e32 v135, 1, v135
	s_delay_alu instid0(VALU_DEP_2) | instskip(NEXT) | instid1(VALU_DEP_1)
	v_and_b32_e32 v14, 0xfffff, v133
	v_add_nc_u32_e32 v133, v14, v144
                                        ; implicit-def: $vgpr14
	s_delay_alu instid0(VALU_DEP_3)
	v_cmpx_ne_u32_e64 v134, v135
	s_xor_b32 s11, exec_lo, s11
; %bb.747:                              ;   in Loop: Header=BB4_143 Depth=2
	s_delay_alu instid0(VALU_DEP_2) | instskip(SKIP_2) | instid1(VALU_DEP_2)
	v_cmp_lt_u32_e32 vcc_lo, 0xffffff, v133
	v_sub_nc_u32_e32 v14, v134, v135
	v_cndmask_b32_e64 v134, 0, 1, vcc_lo
	v_add_co_ci_u32_e32 v14, vcc_lo, 0, v14, vcc_lo
	s_delay_alu instid0(VALU_DEP_2)
	v_lshrrev_b32_e32 v133, v134, v133
; %bb.748:                              ;   in Loop: Header=BB4_143 Depth=2
	s_and_not1_saveexec_b32 s11, s11
; %bb.749:                              ;   in Loop: Header=BB4_143 Depth=2
	s_delay_alu instid0(VALU_DEP_1)
	v_bfe_u32 v14, v133, 23, 1
; %bb.750:                              ;   in Loop: Header=BB4_143 Depth=2
	s_or_b32 exec_lo, exec_lo, s11
	v_lshrrev_b32_e32 v133, 20, v133
	s_delay_alu instid0(VALU_DEP_2) | instskip(SKIP_2) | instid1(VALU_DEP_2)
	v_cmp_gt_i32_e32 vcc_lo, 16, v14
	v_lshrrev_b32_e32 v132, 24, v132
	v_min_i32_e32 v134, 15, v14
	v_dual_cndmask_b32 v133, 7, v133 :: v_dual_and_b32 v132, 0x80, v132
	s_delay_alu instid0(VALU_DEP_2) | instskip(NEXT) | instid1(VALU_DEP_2)
	v_lshlrev_b32_e32 v134, 3, v134
	v_or_b32_e32 v14, v14, v133
	s_delay_alu instid0(VALU_DEP_1) | instskip(SKIP_1) | instid1(VALU_DEP_1)
	v_cmp_ne_u32_e32 vcc_lo, 0, v14
	v_and_b32_e32 v135, 7, v133
	v_or3_b32 v132, v134, v132, v135
	s_delay_alu instid0(VALU_DEP_1)
	v_cndmask_b32_e32 v14, 0, v132, vcc_lo
.LBB4_751:                              ;   in Loop: Header=BB4_143 Depth=2
	s_or_b32 exec_lo, exec_lo, s27
.LBB4_752:                              ;   in Loop: Header=BB4_143 Depth=2
	s_delay_alu instid0(SALU_CYCLE_1)
	s_or_b32 exec_lo, exec_lo, s26
	v_lshrrev_b16 v133, 8, v15
	v_lshrrev_b16 v132, 8, v11
	s_and_not1_b32 vcc_lo, exec_lo, s25
	s_cbranch_vccnz .LBB4_762
; %bb.753:                              ;   in Loop: Header=BB4_143 Depth=2
	s_mov_b32 s11, 0
	s_mov_b32 s27, exec_lo
                                        ; implicit-def: $sgpr26
	v_cmpx_lt_i16_e64 0x7f, v133
	s_xor_b32 s27, exec_lo, s27
	s_cbranch_execnz .LBB4_1405
; %bb.754:                              ;   in Loop: Header=BB4_143 Depth=2
	s_or_saveexec_b32 s27, s27
	v_mov_b32_e32 v134, s26
	s_xor_b32 exec_lo, exec_lo, s27
	s_cbranch_execnz .LBB4_1408
.LBB4_755:                              ;   in Loop: Header=BB4_143 Depth=2
	s_or_b32 exec_lo, exec_lo, s27
	s_and_saveexec_b32 s26, s11
	s_cbranch_execz .LBB4_757
.LBB4_756:                              ;   in Loop: Header=BB4_143 Depth=2
	v_and_b32_e32 v134, 0xffff, v133
	s_delay_alu instid0(VALU_DEP_1) | instskip(NEXT) | instid1(VALU_DEP_1)
	v_and_b32_e32 v135, 7, v134
	v_clz_i32_u32_e32 v144, v135
	s_delay_alu instid0(VALU_DEP_1) | instskip(NEXT) | instid1(VALU_DEP_1)
	v_min_u32_e32 v144, 32, v144
	v_subrev_nc_u32_e32 v145, 28, v144
	v_sub_nc_u32_e32 v144, 29, v144
	s_delay_alu instid0(VALU_DEP_2) | instskip(SKIP_1) | instid1(VALU_DEP_2)
	v_lshlrev_b32_e32 v145, v145, v134
	v_bfe_u32 v134, v134, 3, 4
	v_and_b32_e32 v145, 7, v145
	s_delay_alu instid0(VALU_DEP_2) | instskip(SKIP_1) | instid1(VALU_DEP_3)
	v_cmp_eq_u32_e32 vcc_lo, 0, v134
	v_cndmask_b32_e32 v134, v134, v144, vcc_lo
	v_dual_cndmask_b32 v135, v135, v145 :: v_dual_lshlrev_b32 v146, 16, v15
	s_delay_alu instid0(VALU_DEP_2) | instskip(NEXT) | instid1(VALU_DEP_2)
	v_lshl_add_u32 v134, v134, 23, 0x3b800000
	v_and_b32_e32 v144, 0x80000000, v146
	s_delay_alu instid0(VALU_DEP_3) | instskip(NEXT) | instid1(VALU_DEP_1)
	v_lshlrev_b32_e32 v135, 20, v135
	v_or3_b32 v134, v144, v134, v135
.LBB4_757:                              ;   in Loop: Header=BB4_143 Depth=2
	s_or_b32 exec_lo, exec_lo, s26
	s_mov_b32 s11, 0
	s_mov_b32 s27, exec_lo
                                        ; implicit-def: $sgpr26
	v_cmpx_lt_i16_e64 0x7f, v132
	s_xor_b32 s27, exec_lo, s27
	s_cbranch_execnz .LBB4_1409
; %bb.758:                              ;   in Loop: Header=BB4_143 Depth=2
	s_or_saveexec_b32 s27, s27
	v_mov_b32_e32 v135, s26
	s_xor_b32 exec_lo, exec_lo, s27
	s_cbranch_execnz .LBB4_1412
.LBB4_759:                              ;   in Loop: Header=BB4_143 Depth=2
	s_or_b32 exec_lo, exec_lo, s27
	s_and_saveexec_b32 s26, s11
	s_cbranch_execz .LBB4_761
.LBB4_760:                              ;   in Loop: Header=BB4_143 Depth=2
	v_and_b32_e32 v135, 0xffff, v132
	v_lshlrev_b32_e32 v147, 16, v11
	s_delay_alu instid0(VALU_DEP_2) | instskip(NEXT) | instid1(VALU_DEP_1)
	v_and_b32_e32 v144, 7, v135
	v_clz_i32_u32_e32 v145, v144
	s_delay_alu instid0(VALU_DEP_1) | instskip(NEXT) | instid1(VALU_DEP_1)
	v_min_u32_e32 v145, 32, v145
	v_subrev_nc_u32_e32 v146, 28, v145
	v_sub_nc_u32_e32 v145, 29, v145
	s_delay_alu instid0(VALU_DEP_2) | instskip(SKIP_1) | instid1(VALU_DEP_2)
	v_lshlrev_b32_e32 v146, v146, v135
	v_bfe_u32 v135, v135, 3, 4
	v_and_b32_e32 v146, 7, v146
	s_delay_alu instid0(VALU_DEP_2) | instskip(NEXT) | instid1(VALU_DEP_2)
	v_cmp_eq_u32_e32 vcc_lo, 0, v135
	v_dual_cndmask_b32 v135, v135, v145 :: v_dual_cndmask_b32 v144, v144, v146
	v_and_b32_e32 v145, 0x80000000, v147
	s_delay_alu instid0(VALU_DEP_2) | instskip(NEXT) | instid1(VALU_DEP_3)
	v_lshl_add_u32 v135, v135, 23, 0x3b800000
	v_lshlrev_b32_e32 v144, 20, v144
	s_delay_alu instid0(VALU_DEP_1)
	v_or3_b32 v135, v145, v135, v144
.LBB4_761:                              ;   in Loop: Header=BB4_143 Depth=2
	s_or_b32 exec_lo, exec_lo, s26
	s_delay_alu instid0(VALU_DEP_1) | instskip(SKIP_1) | instid1(VALU_DEP_1)
	v_dual_max_f32 v135, v135, v135 :: v_dual_max_f32 v134, v134, v134
	s_mov_b32 s11, 0
	v_max_f32_e32 v134, v134, v135
	s_branch .LBB4_763
.LBB4_762:                              ;   in Loop: Header=BB4_143 Depth=2
	s_mov_b32 s11, -1
                                        ; implicit-def: $vgpr134
.LBB4_763:                              ;   in Loop: Header=BB4_143 Depth=2
	s_delay_alu instid0(SALU_CYCLE_1)
	s_and_b32 vcc_lo, exec_lo, s11
	s_cbranch_vccz .LBB4_773
; %bb.764:                              ;   in Loop: Header=BB4_143 Depth=2
	s_mov_b32 s11, 0
	s_mov_b32 s27, exec_lo
                                        ; implicit-def: $sgpr26
	v_cmpx_lt_i16_e64 0x7f, v133
	s_xor_b32 s27, exec_lo, s27
	s_cbranch_execnz .LBB4_1413
; %bb.765:                              ;   in Loop: Header=BB4_143 Depth=2
	s_or_saveexec_b32 s27, s27
	v_mov_b32_e32 v134, s26
	s_xor_b32 exec_lo, exec_lo, s27
	s_cbranch_execnz .LBB4_1416
.LBB4_766:                              ;   in Loop: Header=BB4_143 Depth=2
	s_or_b32 exec_lo, exec_lo, s27
	s_and_saveexec_b32 s26, s11
	s_cbranch_execz .LBB4_768
.LBB4_767:                              ;   in Loop: Header=BB4_143 Depth=2
	v_and_b32_e32 v133, 0xffff, v133
	v_lshlrev_b32_e32 v145, 16, v15
	s_delay_alu instid0(VALU_DEP_2) | instskip(NEXT) | instid1(VALU_DEP_1)
	v_and_b32_e32 v134, 7, v133
	v_clz_i32_u32_e32 v135, v134
	s_delay_alu instid0(VALU_DEP_1) | instskip(NEXT) | instid1(VALU_DEP_1)
	v_min_u32_e32 v135, 32, v135
	v_subrev_nc_u32_e32 v144, 28, v135
	v_sub_nc_u32_e32 v135, 29, v135
	s_delay_alu instid0(VALU_DEP_2) | instskip(SKIP_1) | instid1(VALU_DEP_2)
	v_lshlrev_b32_e32 v144, v144, v133
	v_bfe_u32 v133, v133, 3, 4
	v_and_b32_e32 v144, 7, v144
	s_delay_alu instid0(VALU_DEP_2) | instskip(NEXT) | instid1(VALU_DEP_2)
	v_cmp_eq_u32_e32 vcc_lo, 0, v133
	v_dual_cndmask_b32 v133, v133, v135 :: v_dual_cndmask_b32 v134, v134, v144
	v_and_b32_e32 v135, 0x80000000, v145
	s_delay_alu instid0(VALU_DEP_2) | instskip(NEXT) | instid1(VALU_DEP_3)
	v_lshl_add_u32 v133, v133, 23, 0x3b800000
	v_lshlrev_b32_e32 v134, 20, v134
	s_delay_alu instid0(VALU_DEP_1)
	v_or3_b32 v134, v135, v133, v134
.LBB4_768:                              ;   in Loop: Header=BB4_143 Depth=2
	s_or_b32 exec_lo, exec_lo, s26
	s_mov_b32 s11, 0
	s_mov_b32 s27, exec_lo
                                        ; implicit-def: $sgpr26
	v_cmpx_lt_i16_e64 0x7f, v132
	s_xor_b32 s27, exec_lo, s27
	s_cbranch_execnz .LBB4_1417
; %bb.769:                              ;   in Loop: Header=BB4_143 Depth=2
	s_or_saveexec_b32 s27, s27
	v_mov_b32_e32 v133, s26
	s_xor_b32 exec_lo, exec_lo, s27
	s_cbranch_execnz .LBB4_1420
.LBB4_770:                              ;   in Loop: Header=BB4_143 Depth=2
	s_or_b32 exec_lo, exec_lo, s27
	s_and_saveexec_b32 s26, s11
	s_cbranch_execz .LBB4_772
.LBB4_771:                              ;   in Loop: Header=BB4_143 Depth=2
	v_and_b32_e32 v132, 0xffff, v132
	v_lshlrev_b32_e32 v145, 16, v11
	s_delay_alu instid0(VALU_DEP_2) | instskip(NEXT) | instid1(VALU_DEP_1)
	v_and_b32_e32 v133, 7, v132
	v_clz_i32_u32_e32 v135, v133
	s_delay_alu instid0(VALU_DEP_1) | instskip(NEXT) | instid1(VALU_DEP_1)
	v_min_u32_e32 v135, 32, v135
	v_subrev_nc_u32_e32 v144, 28, v135
	v_sub_nc_u32_e32 v135, 29, v135
	s_delay_alu instid0(VALU_DEP_2) | instskip(SKIP_1) | instid1(VALU_DEP_2)
	v_lshlrev_b32_e32 v144, v144, v132
	v_bfe_u32 v132, v132, 3, 4
	v_and_b32_e32 v144, 7, v144
	s_delay_alu instid0(VALU_DEP_2) | instskip(NEXT) | instid1(VALU_DEP_2)
	v_cmp_eq_u32_e32 vcc_lo, 0, v132
	v_dual_cndmask_b32 v132, v132, v135 :: v_dual_cndmask_b32 v133, v133, v144
	v_and_b32_e32 v135, 0x80000000, v145
	s_delay_alu instid0(VALU_DEP_2) | instskip(NEXT) | instid1(VALU_DEP_3)
	v_lshl_add_u32 v132, v132, 23, 0x3b800000
	v_lshlrev_b32_e32 v133, 20, v133
	s_delay_alu instid0(VALU_DEP_1)
	v_or3_b32 v133, v135, v132, v133
.LBB4_772:                              ;   in Loop: Header=BB4_143 Depth=2
	s_or_b32 exec_lo, exec_lo, s26
	s_delay_alu instid0(VALU_DEP_1) | instskip(NEXT) | instid1(VALU_DEP_1)
	v_dual_max_f32 v132, v133, v133 :: v_dual_max_f32 v133, v134, v134
	v_min_f32_e32 v134, v133, v132
.LBB4_773:                              ;   in Loop: Header=BB4_143 Depth=2
	s_delay_alu instid0(VALU_DEP_1) | instskip(NEXT) | instid1(VALU_DEP_1)
	v_and_b32_e32 v132, 0x7f800000, v134
	v_cmp_ne_u32_e32 vcc_lo, 0x7f800000, v132
	v_mov_b32_e32 v132, 0x80
	s_and_saveexec_b32 s26, vcc_lo
	s_cbranch_execz .LBB4_781
; %bb.774:                              ;   in Loop: Header=BB4_143 Depth=2
	v_mov_b32_e32 v132, 0
	s_mov_b32 s27, exec_lo
	v_cmpx_ne_u32_e32 0, v134
	s_cbranch_execz .LBB4_780
; %bb.775:                              ;   in Loop: Header=BB4_143 Depth=2
	v_bfe_u32 v132, v134, 23, 8
	v_and_b32_e32 v133, 0x7fffff, v134
	s_delay_alu instid0(VALU_DEP_2) | instskip(SKIP_1) | instid1(VALU_DEP_3)
	v_sub_nc_u32_e32 v135, 0x78, v132
	v_cmp_gt_u32_e32 vcc_lo, 0x79, v132
	v_or_b32_e32 v144, 0x800000, v133
	s_delay_alu instid0(VALU_DEP_3) | instskip(SKIP_2) | instid1(VALU_DEP_3)
	v_cndmask_b32_e32 v135, 0, v135, vcc_lo
	v_cmp_eq_u32_e32 vcc_lo, 0, v132
	v_add_nc_u32_e32 v132, 0xffffff89, v132
	v_cndmask_b32_e64 v135, v135, 0x77, vcc_lo
	v_cndmask_b32_e32 v133, v144, v133, vcc_lo
	s_delay_alu instid0(VALU_DEP_3) | instskip(NEXT) | instid1(VALU_DEP_3)
	v_cndmask_b32_e64 v132, v132, 0xffffff8a, vcc_lo
	v_lshl_add_u32 v144, 0x100000, v135, -1
	s_delay_alu instid0(VALU_DEP_3) | instskip(SKIP_1) | instid1(VALU_DEP_4)
	v_lshrrev_b32_e32 v145, v135, v133
	v_lshlrev_b32_e64 v147, v135, 0x80000
	v_add_nc_u32_e32 v135, v135, v132
	s_delay_alu instid0(VALU_DEP_4) | instskip(NEXT) | instid1(VALU_DEP_4)
	v_and_b32_e32 v133, v144, v133
	v_bfe_u32 v146, v145, 20, 1
	s_delay_alu instid0(VALU_DEP_2) | instskip(NEXT) | instid1(VALU_DEP_2)
	v_cmp_eq_u32_e64 s11, v133, v147
	v_add_nc_u32_e32 v144, -1, v146
	s_delay_alu instid0(VALU_DEP_1) | instskip(SKIP_2) | instid1(VALU_DEP_2)
	v_cndmask_b32_e64 v133, 0, v144, s11
	v_lshrrev_b32_e32 v144, 23, v145
	s_mov_b32 s11, exec_lo
	v_add_nc_u32_e32 v133, v133, v145
	s_delay_alu instid0(VALU_DEP_2) | instskip(NEXT) | instid1(VALU_DEP_2)
	v_xor_b32_e32 v144, 1, v144
	v_and_b32_e32 v132, 0xfffff, v133
	s_delay_alu instid0(VALU_DEP_1) | instskip(NEXT) | instid1(VALU_DEP_3)
	v_add_nc_u32_e32 v133, v132, v145
                                        ; implicit-def: $vgpr132
	v_cmpx_ne_u32_e64 v135, v144
	s_xor_b32 s11, exec_lo, s11
; %bb.776:                              ;   in Loop: Header=BB4_143 Depth=2
	s_delay_alu instid0(VALU_DEP_2) | instskip(SKIP_2) | instid1(VALU_DEP_2)
	v_cmp_lt_u32_e32 vcc_lo, 0xffffff, v133
	v_sub_nc_u32_e32 v132, v135, v144
	v_cndmask_b32_e64 v135, 0, 1, vcc_lo
	v_add_co_ci_u32_e32 v132, vcc_lo, 0, v132, vcc_lo
	s_delay_alu instid0(VALU_DEP_2)
	v_lshrrev_b32_e32 v133, v135, v133
; %bb.777:                              ;   in Loop: Header=BB4_143 Depth=2
	s_and_not1_saveexec_b32 s11, s11
; %bb.778:                              ;   in Loop: Header=BB4_143 Depth=2
	s_delay_alu instid0(VALU_DEP_1)
	v_bfe_u32 v132, v133, 23, 1
; %bb.779:                              ;   in Loop: Header=BB4_143 Depth=2
	s_or_b32 exec_lo, exec_lo, s11
	v_lshrrev_b32_e32 v133, 20, v133
	s_delay_alu instid0(VALU_DEP_2) | instskip(SKIP_2) | instid1(VALU_DEP_2)
	v_cmp_gt_i32_e32 vcc_lo, 16, v132
	v_lshrrev_b32_e32 v134, 24, v134
	v_min_i32_e32 v135, 15, v132
	v_dual_cndmask_b32 v133, 7, v133 :: v_dual_and_b32 v134, 0x80, v134
	s_delay_alu instid0(VALU_DEP_1) | instskip(SKIP_1) | instid1(VALU_DEP_2)
	v_or_b32_e32 v132, v132, v133
	v_and_b32_e32 v144, 7, v133
	v_cmp_ne_u32_e32 vcc_lo, 0, v132
	v_lshlrev_b32_e32 v135, 3, v135
	s_delay_alu instid0(VALU_DEP_1) | instskip(NEXT) | instid1(VALU_DEP_1)
	v_or3_b32 v133, v135, v134, v144
	v_cndmask_b32_e32 v132, 0, v133, vcc_lo
.LBB4_780:                              ;   in Loop: Header=BB4_143 Depth=2
	s_or_b32 exec_lo, exec_lo, s27
.LBB4_781:                              ;   in Loop: Header=BB4_143 Depth=2
	s_delay_alu instid0(SALU_CYCLE_1)
	s_or_b32 exec_lo, exec_lo, s26
	v_lshrrev_b32_e32 v134, 16, v15
	v_lshrrev_b32_e32 v133, 16, v11
	s_and_not1_b32 vcc_lo, exec_lo, s25
	s_cbranch_vccnz .LBB4_791
; %bb.782:                              ;   in Loop: Header=BB4_143 Depth=2
	s_delay_alu instid0(VALU_DEP_2) | instskip(SKIP_2) | instid1(VALU_DEP_1)
	v_and_b32_e32 v144, 0xff, v134
	s_mov_b32 s11, 0
	s_mov_b32 s27, exec_lo
                                        ; implicit-def: $sgpr26
	v_cmpx_lt_i16_e64 0x7f, v144
	s_xor_b32 s27, exec_lo, s27
	s_cbranch_execnz .LBB4_1421
; %bb.783:                              ;   in Loop: Header=BB4_143 Depth=2
	s_or_saveexec_b32 s27, s27
	v_mov_b32_e32 v135, s26
	s_xor_b32 exec_lo, exec_lo, s27
	s_cbranch_execnz .LBB4_1424
.LBB4_784:                              ;   in Loop: Header=BB4_143 Depth=2
	s_or_b32 exec_lo, exec_lo, s27
	s_and_saveexec_b32 s26, s11
	s_cbranch_execz .LBB4_786
.LBB4_785:                              ;   in Loop: Header=BB4_143 Depth=2
	v_bfe_u32 v135, v15, 16, 3
	v_bfe_u32 v146, v15, 19, 4
	v_lshlrev_b32_e32 v147, 24, v134
	s_delay_alu instid0(VALU_DEP_3) | instskip(NEXT) | instid1(VALU_DEP_3)
	v_clz_i32_u32_e32 v144, v135
	v_cmp_eq_u32_e32 vcc_lo, 0, v146
	s_delay_alu instid0(VALU_DEP_2) | instskip(NEXT) | instid1(VALU_DEP_1)
	v_min_u32_e32 v144, 32, v144
	v_subrev_nc_u32_e32 v145, 28, v144
	v_sub_nc_u32_e32 v144, 29, v144
	s_delay_alu instid0(VALU_DEP_1) | instskip(NEXT) | instid1(VALU_DEP_1)
	v_dual_cndmask_b32 v144, v146, v144 :: v_dual_lshlrev_b32 v145, v145, v134
	v_and_b32_e32 v145, 7, v145
	s_delay_alu instid0(VALU_DEP_2) | instskip(NEXT) | instid1(VALU_DEP_2)
	v_lshl_add_u32 v144, v144, 23, 0x3b800000
	v_cndmask_b32_e32 v135, v135, v145, vcc_lo
	v_and_b32_e32 v145, 0x80000000, v147
	s_delay_alu instid0(VALU_DEP_2) | instskip(NEXT) | instid1(VALU_DEP_1)
	v_lshlrev_b32_e32 v135, 20, v135
	v_or3_b32 v135, v145, v144, v135
.LBB4_786:                              ;   in Loop: Header=BB4_143 Depth=2
	s_or_b32 exec_lo, exec_lo, s26
	v_and_b32_e32 v145, 0xff, v133
	s_mov_b32 s11, 0
	s_mov_b32 s27, exec_lo
                                        ; implicit-def: $sgpr26
	s_delay_alu instid0(VALU_DEP_1)
	v_cmpx_lt_i16_e64 0x7f, v145
	s_xor_b32 s27, exec_lo, s27
	s_cbranch_execnz .LBB4_1425
; %bb.787:                              ;   in Loop: Header=BB4_143 Depth=2
	s_or_saveexec_b32 s27, s27
	v_mov_b32_e32 v144, s26
	s_xor_b32 exec_lo, exec_lo, s27
	s_cbranch_execnz .LBB4_1428
.LBB4_788:                              ;   in Loop: Header=BB4_143 Depth=2
	s_or_b32 exec_lo, exec_lo, s27
	s_and_saveexec_b32 s26, s11
	s_cbranch_execz .LBB4_790
.LBB4_789:                              ;   in Loop: Header=BB4_143 Depth=2
	v_bfe_u32 v144, v11, 16, 3
	v_bfe_u32 v147, v11, 19, 4
	v_lshlrev_b32_e32 v148, 24, v133
	s_delay_alu instid0(VALU_DEP_3) | instskip(NEXT) | instid1(VALU_DEP_3)
	v_clz_i32_u32_e32 v145, v144
	v_cmp_eq_u32_e32 vcc_lo, 0, v147
	s_delay_alu instid0(VALU_DEP_2) | instskip(NEXT) | instid1(VALU_DEP_1)
	v_min_u32_e32 v145, 32, v145
	v_subrev_nc_u32_e32 v146, 28, v145
	v_sub_nc_u32_e32 v145, 29, v145
	s_delay_alu instid0(VALU_DEP_2) | instskip(NEXT) | instid1(VALU_DEP_1)
	v_lshlrev_b32_e32 v146, v146, v133
	v_dual_cndmask_b32 v145, v147, v145 :: v_dual_and_b32 v146, 7, v146
	s_delay_alu instid0(VALU_DEP_1) | instskip(NEXT) | instid1(VALU_DEP_2)
	v_lshl_add_u32 v145, v145, 23, 0x3b800000
	v_cndmask_b32_e32 v144, v144, v146, vcc_lo
	v_and_b32_e32 v146, 0x80000000, v148
	s_delay_alu instid0(VALU_DEP_2) | instskip(NEXT) | instid1(VALU_DEP_1)
	v_lshlrev_b32_e32 v144, 20, v144
	v_or3_b32 v144, v146, v145, v144
.LBB4_790:                              ;   in Loop: Header=BB4_143 Depth=2
	s_or_b32 exec_lo, exec_lo, s26
	s_delay_alu instid0(VALU_DEP_1) | instskip(SKIP_1) | instid1(VALU_DEP_1)
	v_dual_max_f32 v144, v144, v144 :: v_dual_max_f32 v135, v135, v135
	s_mov_b32 s11, 0
	v_max_f32_e32 v135, v135, v144
	s_branch .LBB4_792
.LBB4_791:                              ;   in Loop: Header=BB4_143 Depth=2
	s_mov_b32 s11, -1
                                        ; implicit-def: $vgpr135
.LBB4_792:                              ;   in Loop: Header=BB4_143 Depth=2
	s_delay_alu instid0(SALU_CYCLE_1)
	s_and_b32 vcc_lo, exec_lo, s11
	s_cbranch_vccz .LBB4_802
; %bb.793:                              ;   in Loop: Header=BB4_143 Depth=2
	v_and_b32_e32 v144, 0xff, v134
	s_mov_b32 s11, 0
	s_mov_b32 s27, exec_lo
                                        ; implicit-def: $sgpr26
	s_delay_alu instid0(VALU_DEP_1)
	v_cmpx_lt_i16_e64 0x7f, v144
	s_xor_b32 s27, exec_lo, s27
	s_cbranch_execnz .LBB4_1429
; %bb.794:                              ;   in Loop: Header=BB4_143 Depth=2
	s_or_saveexec_b32 s27, s27
	v_mov_b32_e32 v135, s26
	s_xor_b32 exec_lo, exec_lo, s27
	s_cbranch_execnz .LBB4_1432
.LBB4_795:                              ;   in Loop: Header=BB4_143 Depth=2
	s_or_b32 exec_lo, exec_lo, s27
	s_and_saveexec_b32 s26, s11
	s_cbranch_execz .LBB4_797
.LBB4_796:                              ;   in Loop: Header=BB4_143 Depth=2
	v_bfe_u32 v135, v15, 16, 3
	v_bfe_u32 v146, v15, 19, 4
	s_delay_alu instid0(VALU_DEP_2) | instskip(NEXT) | instid1(VALU_DEP_2)
	v_clz_i32_u32_e32 v144, v135
	v_cmp_eq_u32_e32 vcc_lo, 0, v146
	s_delay_alu instid0(VALU_DEP_2) | instskip(NEXT) | instid1(VALU_DEP_1)
	v_min_u32_e32 v144, 32, v144
	v_subrev_nc_u32_e32 v145, 28, v144
	v_sub_nc_u32_e32 v144, 29, v144
	s_delay_alu instid0(VALU_DEP_1) | instskip(NEXT) | instid1(VALU_DEP_1)
	v_dual_cndmask_b32 v144, v146, v144 :: v_dual_lshlrev_b32 v145, v145, v134
	v_and_b32_e32 v145, 7, v145
	v_lshlrev_b32_e32 v134, 24, v134
	s_delay_alu instid0(VALU_DEP_3) | instskip(NEXT) | instid1(VALU_DEP_2)
	v_lshl_add_u32 v144, v144, 23, 0x3b800000
	v_dual_cndmask_b32 v135, v135, v145 :: v_dual_and_b32 v134, 0x80000000, v134
	s_delay_alu instid0(VALU_DEP_1) | instskip(NEXT) | instid1(VALU_DEP_1)
	v_lshlrev_b32_e32 v135, 20, v135
	v_or3_b32 v135, v134, v144, v135
.LBB4_797:                              ;   in Loop: Header=BB4_143 Depth=2
	s_or_b32 exec_lo, exec_lo, s26
	v_and_b32_e32 v144, 0xff, v133
	s_mov_b32 s11, 0
	s_mov_b32 s27, exec_lo
                                        ; implicit-def: $sgpr26
	s_delay_alu instid0(VALU_DEP_1)
	v_cmpx_lt_i16_e64 0x7f, v144
	s_xor_b32 s27, exec_lo, s27
	s_cbranch_execnz .LBB4_1433
; %bb.798:                              ;   in Loop: Header=BB4_143 Depth=2
	s_or_saveexec_b32 s27, s27
	v_mov_b32_e32 v134, s26
	s_xor_b32 exec_lo, exec_lo, s27
	s_cbranch_execnz .LBB4_1436
.LBB4_799:                              ;   in Loop: Header=BB4_143 Depth=2
	s_or_b32 exec_lo, exec_lo, s27
	s_and_saveexec_b32 s26, s11
	s_cbranch_execz .LBB4_801
.LBB4_800:                              ;   in Loop: Header=BB4_143 Depth=2
	v_bfe_u32 v134, v11, 16, 3
	v_bfe_u32 v146, v11, 19, 4
	s_delay_alu instid0(VALU_DEP_2) | instskip(NEXT) | instid1(VALU_DEP_2)
	v_clz_i32_u32_e32 v144, v134
	v_cmp_eq_u32_e32 vcc_lo, 0, v146
	s_delay_alu instid0(VALU_DEP_2) | instskip(NEXT) | instid1(VALU_DEP_1)
	v_min_u32_e32 v144, 32, v144
	v_subrev_nc_u32_e32 v145, 28, v144
	v_sub_nc_u32_e32 v144, 29, v144
	s_delay_alu instid0(VALU_DEP_1) | instskip(SKIP_1) | instid1(VALU_DEP_2)
	v_dual_cndmask_b32 v144, v146, v144 :: v_dual_lshlrev_b32 v145, v145, v133
	v_lshlrev_b32_e32 v133, 24, v133
	v_and_b32_e32 v145, 7, v145
	s_delay_alu instid0(VALU_DEP_3) | instskip(NEXT) | instid1(VALU_DEP_3)
	v_lshl_add_u32 v144, v144, 23, 0x3b800000
	v_and_b32_e32 v133, 0x80000000, v133
	s_delay_alu instid0(VALU_DEP_3) | instskip(NEXT) | instid1(VALU_DEP_1)
	v_cndmask_b32_e32 v134, v134, v145, vcc_lo
	v_lshlrev_b32_e32 v134, 20, v134
	s_delay_alu instid0(VALU_DEP_1)
	v_or3_b32 v134, v133, v144, v134
.LBB4_801:                              ;   in Loop: Header=BB4_143 Depth=2
	s_or_b32 exec_lo, exec_lo, s26
	s_delay_alu instid0(VALU_DEP_1) | instskip(NEXT) | instid1(VALU_DEP_1)
	v_dual_max_f32 v133, v134, v134 :: v_dual_max_f32 v134, v135, v135
	v_min_f32_e32 v135, v134, v133
.LBB4_802:                              ;   in Loop: Header=BB4_143 Depth=2
	s_delay_alu instid0(VALU_DEP_1) | instskip(NEXT) | instid1(VALU_DEP_1)
	v_and_b32_e32 v133, 0x7f800000, v135
	v_cmp_ne_u32_e32 vcc_lo, 0x7f800000, v133
	v_mov_b32_e32 v133, 0x80
	s_and_saveexec_b32 s26, vcc_lo
	s_cbranch_execz .LBB4_810
; %bb.803:                              ;   in Loop: Header=BB4_143 Depth=2
	v_mov_b32_e32 v133, 0
	s_mov_b32 s27, exec_lo
	v_cmpx_ne_u32_e32 0, v135
	s_cbranch_execz .LBB4_809
; %bb.804:                              ;   in Loop: Header=BB4_143 Depth=2
	v_bfe_u32 v133, v135, 23, 8
	v_and_b32_e32 v134, 0x7fffff, v135
	s_delay_alu instid0(VALU_DEP_2) | instskip(SKIP_1) | instid1(VALU_DEP_3)
	v_sub_nc_u32_e32 v144, 0x78, v133
	v_cmp_gt_u32_e32 vcc_lo, 0x79, v133
	v_or_b32_e32 v145, 0x800000, v134
	s_delay_alu instid0(VALU_DEP_3) | instskip(SKIP_2) | instid1(VALU_DEP_3)
	v_cndmask_b32_e32 v144, 0, v144, vcc_lo
	v_cmp_eq_u32_e32 vcc_lo, 0, v133
	v_add_nc_u32_e32 v133, 0xffffff89, v133
	v_cndmask_b32_e64 v144, v144, 0x77, vcc_lo
	v_cndmask_b32_e32 v134, v145, v134, vcc_lo
	s_delay_alu instid0(VALU_DEP_3) | instskip(NEXT) | instid1(VALU_DEP_3)
	v_cndmask_b32_e64 v133, v133, 0xffffff8a, vcc_lo
	v_lshl_add_u32 v145, 0x100000, v144, -1
	s_delay_alu instid0(VALU_DEP_3) | instskip(SKIP_1) | instid1(VALU_DEP_4)
	v_lshrrev_b32_e32 v146, v144, v134
	v_lshlrev_b32_e64 v148, v144, 0x80000
	v_add_nc_u32_e32 v144, v144, v133
	s_delay_alu instid0(VALU_DEP_4) | instskip(NEXT) | instid1(VALU_DEP_4)
	v_and_b32_e32 v134, v145, v134
	v_bfe_u32 v147, v146, 20, 1
	s_delay_alu instid0(VALU_DEP_2) | instskip(NEXT) | instid1(VALU_DEP_2)
	v_cmp_eq_u32_e64 s11, v134, v148
	v_add_nc_u32_e32 v145, -1, v147
	s_delay_alu instid0(VALU_DEP_1) | instskip(SKIP_2) | instid1(VALU_DEP_2)
	v_cndmask_b32_e64 v134, 0, v145, s11
	v_lshrrev_b32_e32 v145, 23, v146
	s_mov_b32 s11, exec_lo
	v_add_nc_u32_e32 v134, v134, v146
	s_delay_alu instid0(VALU_DEP_2) | instskip(NEXT) | instid1(VALU_DEP_2)
	v_xor_b32_e32 v145, 1, v145
	v_and_b32_e32 v133, 0xfffff, v134
	s_delay_alu instid0(VALU_DEP_1) | instskip(NEXT) | instid1(VALU_DEP_3)
	v_add_nc_u32_e32 v134, v133, v146
                                        ; implicit-def: $vgpr133
	v_cmpx_ne_u32_e64 v144, v145
	s_xor_b32 s11, exec_lo, s11
; %bb.805:                              ;   in Loop: Header=BB4_143 Depth=2
	s_delay_alu instid0(VALU_DEP_2) | instskip(SKIP_2) | instid1(VALU_DEP_2)
	v_cmp_lt_u32_e32 vcc_lo, 0xffffff, v134
	v_sub_nc_u32_e32 v133, v144, v145
	v_cndmask_b32_e64 v144, 0, 1, vcc_lo
	v_add_co_ci_u32_e32 v133, vcc_lo, 0, v133, vcc_lo
	s_delay_alu instid0(VALU_DEP_2)
	v_lshrrev_b32_e32 v134, v144, v134
; %bb.806:                              ;   in Loop: Header=BB4_143 Depth=2
	s_and_not1_saveexec_b32 s11, s11
; %bb.807:                              ;   in Loop: Header=BB4_143 Depth=2
	s_delay_alu instid0(VALU_DEP_1)
	v_bfe_u32 v133, v134, 23, 1
; %bb.808:                              ;   in Loop: Header=BB4_143 Depth=2
	s_or_b32 exec_lo, exec_lo, s11
	v_lshrrev_b32_e32 v134, 20, v134
	s_delay_alu instid0(VALU_DEP_2) | instskip(SKIP_2) | instid1(VALU_DEP_2)
	v_cmp_gt_i32_e32 vcc_lo, 16, v133
	v_lshrrev_b32_e32 v135, 24, v135
	v_min_i32_e32 v144, 15, v133
	v_dual_cndmask_b32 v134, 7, v134 :: v_dual_and_b32 v135, 0x80, v135
	s_delay_alu instid0(VALU_DEP_1) | instskip(SKIP_1) | instid1(VALU_DEP_2)
	v_or_b32_e32 v133, v133, v134
	v_and_b32_e32 v145, 7, v134
	v_cmp_ne_u32_e32 vcc_lo, 0, v133
	v_lshlrev_b32_e32 v144, 3, v144
	s_delay_alu instid0(VALU_DEP_1) | instskip(NEXT) | instid1(VALU_DEP_1)
	v_and_b32_e32 v144, 0xf8, v144
	v_or3_b32 v134, v144, v135, v145
	s_delay_alu instid0(VALU_DEP_1)
	v_cndmask_b32_e32 v133, 0, v134, vcc_lo
.LBB4_809:                              ;   in Loop: Header=BB4_143 Depth=2
	s_or_b32 exec_lo, exec_lo, s27
.LBB4_810:                              ;   in Loop: Header=BB4_143 Depth=2
	s_delay_alu instid0(SALU_CYCLE_1)
	s_or_b32 exec_lo, exec_lo, s26
	v_lshrrev_b32_e32 v135, 24, v15
	v_lshrrev_b32_e32 v134, 24, v11
	s_and_not1_b32 vcc_lo, exec_lo, s25
	s_cbranch_vccnz .LBB4_820
; %bb.811:                              ;   in Loop: Header=BB4_143 Depth=2
	s_mov_b32 s11, 0
	s_mov_b32 s27, exec_lo
                                        ; implicit-def: $sgpr26
	v_cmpx_lt_i16_e64 0x7f, v135
	s_xor_b32 s27, exec_lo, s27
	s_cbranch_execnz .LBB4_1437
; %bb.812:                              ;   in Loop: Header=BB4_143 Depth=2
	s_or_saveexec_b32 s27, s27
	v_mov_b32_e32 v144, s26
	s_xor_b32 exec_lo, exec_lo, s27
	s_cbranch_execnz .LBB4_1440
.LBB4_813:                              ;   in Loop: Header=BB4_143 Depth=2
	s_or_b32 exec_lo, exec_lo, s27
	s_and_saveexec_b32 s26, s11
	s_cbranch_execz .LBB4_815
.LBB4_814:                              ;   in Loop: Header=BB4_143 Depth=2
	v_bfe_u32 v144, v15, 24, 3
	v_bfe_u32 v147, v15, 27, 4
	s_delay_alu instid0(VALU_DEP_2) | instskip(NEXT) | instid1(VALU_DEP_2)
	v_clz_i32_u32_e32 v145, v144
	v_cmp_eq_u32_e32 vcc_lo, 0, v147
	s_delay_alu instid0(VALU_DEP_2) | instskip(NEXT) | instid1(VALU_DEP_1)
	v_min_u32_e32 v145, 32, v145
	v_subrev_nc_u32_e32 v146, 28, v145
	v_sub_nc_u32_e32 v145, 29, v145
	s_delay_alu instid0(VALU_DEP_1) | instskip(NEXT) | instid1(VALU_DEP_1)
	v_dual_cndmask_b32 v145, v147, v145 :: v_dual_lshlrev_b32 v146, v146, v135
	v_and_b32_e32 v146, 7, v146
	s_delay_alu instid0(VALU_DEP_2) | instskip(NEXT) | instid1(VALU_DEP_2)
	v_lshl_add_u32 v145, v145, 23, 0x3b800000
	v_cndmask_b32_e32 v144, v144, v146, vcc_lo
	v_and_b32_e32 v146, 0x80000000, v15
	s_delay_alu instid0(VALU_DEP_2) | instskip(NEXT) | instid1(VALU_DEP_1)
	v_lshlrev_b32_e32 v144, 20, v144
	v_or3_b32 v144, v146, v145, v144
.LBB4_815:                              ;   in Loop: Header=BB4_143 Depth=2
	s_or_b32 exec_lo, exec_lo, s26
	s_mov_b32 s11, 0
	s_mov_b32 s27, exec_lo
                                        ; implicit-def: $sgpr26
	v_cmpx_lt_i16_e64 0x7f, v134
	s_xor_b32 s27, exec_lo, s27
	s_cbranch_execnz .LBB4_1441
; %bb.816:                              ;   in Loop: Header=BB4_143 Depth=2
	s_or_saveexec_b32 s27, s27
	v_mov_b32_e32 v145, s26
	s_xor_b32 exec_lo, exec_lo, s27
	s_cbranch_execnz .LBB4_1444
.LBB4_817:                              ;   in Loop: Header=BB4_143 Depth=2
	s_or_b32 exec_lo, exec_lo, s27
	s_and_saveexec_b32 s26, s11
	s_cbranch_execz .LBB4_819
.LBB4_818:                              ;   in Loop: Header=BB4_143 Depth=2
	v_bfe_u32 v145, v11, 24, 3
	v_bfe_u32 v148, v11, 27, 4
	s_delay_alu instid0(VALU_DEP_2) | instskip(NEXT) | instid1(VALU_DEP_2)
	v_clz_i32_u32_e32 v146, v145
	v_cmp_eq_u32_e32 vcc_lo, 0, v148
	s_delay_alu instid0(VALU_DEP_2) | instskip(NEXT) | instid1(VALU_DEP_1)
	v_min_u32_e32 v146, 32, v146
	v_subrev_nc_u32_e32 v147, 28, v146
	v_sub_nc_u32_e32 v146, 29, v146
	s_delay_alu instid0(VALU_DEP_2) | instskip(NEXT) | instid1(VALU_DEP_1)
	v_lshlrev_b32_e32 v147, v147, v134
	v_dual_cndmask_b32 v146, v148, v146 :: v_dual_and_b32 v147, 7, v147
	s_delay_alu instid0(VALU_DEP_1) | instskip(NEXT) | instid1(VALU_DEP_2)
	v_lshl_add_u32 v146, v146, 23, 0x3b800000
	v_cndmask_b32_e32 v145, v145, v147, vcc_lo
	v_and_b32_e32 v147, 0x80000000, v11
	s_delay_alu instid0(VALU_DEP_2) | instskip(NEXT) | instid1(VALU_DEP_1)
	v_lshlrev_b32_e32 v145, 20, v145
	v_or3_b32 v145, v147, v146, v145
.LBB4_819:                              ;   in Loop: Header=BB4_143 Depth=2
	s_or_b32 exec_lo, exec_lo, s26
	s_delay_alu instid0(VALU_DEP_1) | instskip(SKIP_1) | instid1(VALU_DEP_1)
	v_dual_max_f32 v145, v145, v145 :: v_dual_max_f32 v144, v144, v144
	s_mov_b32 s11, 0
	v_max_f32_e32 v144, v144, v145
	s_branch .LBB4_821
.LBB4_820:                              ;   in Loop: Header=BB4_143 Depth=2
	s_mov_b32 s11, -1
                                        ; implicit-def: $vgpr144
.LBB4_821:                              ;   in Loop: Header=BB4_143 Depth=2
	s_delay_alu instid0(SALU_CYCLE_1)
	s_and_b32 vcc_lo, exec_lo, s11
	s_cbranch_vccz .LBB4_831
; %bb.822:                              ;   in Loop: Header=BB4_143 Depth=2
	s_mov_b32 s11, 0
	s_mov_b32 s27, exec_lo
                                        ; implicit-def: $sgpr26
	v_cmpx_lt_i16_e64 0x7f, v135
	s_xor_b32 s27, exec_lo, s27
	s_cbranch_execnz .LBB4_1445
; %bb.823:                              ;   in Loop: Header=BB4_143 Depth=2
	s_or_saveexec_b32 s27, s27
	v_mov_b32_e32 v144, s26
	s_xor_b32 exec_lo, exec_lo, s27
	s_cbranch_execnz .LBB4_1448
.LBB4_824:                              ;   in Loop: Header=BB4_143 Depth=2
	s_or_b32 exec_lo, exec_lo, s27
	s_and_saveexec_b32 s26, s11
	s_cbranch_execz .LBB4_826
.LBB4_825:                              ;   in Loop: Header=BB4_143 Depth=2
	v_bfe_u32 v144, v15, 24, 3
	s_delay_alu instid0(VALU_DEP_1) | instskip(NEXT) | instid1(VALU_DEP_1)
	v_clz_i32_u32_e32 v145, v144
	v_min_u32_e32 v145, 32, v145
	s_delay_alu instid0(VALU_DEP_1) | instskip(SKIP_1) | instid1(VALU_DEP_2)
	v_subrev_nc_u32_e32 v146, 28, v145
	v_sub_nc_u32_e32 v145, 29, v145
	v_lshlrev_b32_e32 v135, v146, v135
	v_bfe_u32 v146, v15, 27, 4
	v_and_b32_e32 v15, 0x80000000, v15
	s_delay_alu instid0(VALU_DEP_3) | instskip(NEXT) | instid1(VALU_DEP_3)
	v_and_b32_e32 v135, 7, v135
	v_cmp_eq_u32_e32 vcc_lo, 0, v146
	v_cndmask_b32_e32 v145, v146, v145, vcc_lo
	s_delay_alu instid0(VALU_DEP_3) | instskip(NEXT) | instid1(VALU_DEP_2)
	v_cndmask_b32_e32 v135, v144, v135, vcc_lo
	v_lshl_add_u32 v144, v145, 23, 0x3b800000
	s_delay_alu instid0(VALU_DEP_2) | instskip(NEXT) | instid1(VALU_DEP_1)
	v_lshlrev_b32_e32 v135, 20, v135
	v_or3_b32 v144, v15, v144, v135
.LBB4_826:                              ;   in Loop: Header=BB4_143 Depth=2
	s_or_b32 exec_lo, exec_lo, s26
	s_mov_b32 s11, 0
	s_mov_b32 s27, exec_lo
                                        ; implicit-def: $sgpr26
	v_cmpx_lt_i16_e64 0x7f, v134
	s_xor_b32 s27, exec_lo, s27
	s_cbranch_execnz .LBB4_1449
; %bb.827:                              ;   in Loop: Header=BB4_143 Depth=2
	s_or_saveexec_b32 s27, s27
	v_mov_b32_e32 v15, s26
	s_xor_b32 exec_lo, exec_lo, s27
	s_cbranch_execnz .LBB4_1452
.LBB4_828:                              ;   in Loop: Header=BB4_143 Depth=2
	s_or_b32 exec_lo, exec_lo, s27
	s_and_saveexec_b32 s26, s11
	s_cbranch_execz .LBB4_830
.LBB4_829:                              ;   in Loop: Header=BB4_143 Depth=2
	v_bfe_u32 v15, v11, 24, 3
	s_delay_alu instid0(VALU_DEP_1) | instskip(NEXT) | instid1(VALU_DEP_1)
	v_clz_i32_u32_e32 v135, v15
	v_min_u32_e32 v135, 32, v135
	s_delay_alu instid0(VALU_DEP_1) | instskip(SKIP_1) | instid1(VALU_DEP_2)
	v_subrev_nc_u32_e32 v145, 28, v135
	v_sub_nc_u32_e32 v135, 29, v135
	v_lshlrev_b32_e32 v134, v145, v134
	v_bfe_u32 v145, v11, 27, 4
	v_and_b32_e32 v11, 0x80000000, v11
	s_delay_alu instid0(VALU_DEP_2) | instskip(NEXT) | instid1(VALU_DEP_4)
	v_cmp_eq_u32_e32 vcc_lo, 0, v145
	v_dual_cndmask_b32 v135, v145, v135 :: v_dual_and_b32 v134, 7, v134
	s_delay_alu instid0(VALU_DEP_1) | instskip(NEXT) | instid1(VALU_DEP_2)
	v_cndmask_b32_e32 v15, v15, v134, vcc_lo
	v_lshl_add_u32 v134, v135, 23, 0x3b800000
	s_delay_alu instid0(VALU_DEP_2) | instskip(NEXT) | instid1(VALU_DEP_1)
	v_lshlrev_b32_e32 v15, 20, v15
	v_or3_b32 v15, v11, v134, v15
.LBB4_830:                              ;   in Loop: Header=BB4_143 Depth=2
	s_or_b32 exec_lo, exec_lo, s26
	s_delay_alu instid0(VALU_DEP_1) | instskip(SKIP_1) | instid1(VALU_DEP_1)
	v_max_f32_e32 v11, v15, v15
	v_max_f32_e32 v15, v144, v144
	v_min_f32_e32 v144, v15, v11
.LBB4_831:                              ;   in Loop: Header=BB4_143 Depth=2
	s_delay_alu instid0(VALU_DEP_1) | instskip(NEXT) | instid1(VALU_DEP_1)
	v_and_b32_e32 v11, 0x7f800000, v144
	v_cmp_ne_u32_e32 vcc_lo, 0x7f800000, v11
	v_mov_b32_e32 v11, 0x8000
	s_and_saveexec_b32 s26, vcc_lo
	s_cbranch_execz .LBB4_839
; %bb.832:                              ;   in Loop: Header=BB4_143 Depth=2
	v_mov_b32_e32 v11, 0
	s_mov_b32 s27, exec_lo
	v_cmpx_ne_u32_e32 0, v144
	s_cbranch_execz .LBB4_838
; %bb.833:                              ;   in Loop: Header=BB4_143 Depth=2
	v_bfe_u32 v11, v144, 23, 8
	s_delay_alu instid0(VALU_DEP_1) | instskip(SKIP_1) | instid1(VALU_DEP_2)
	v_sub_nc_u32_e32 v134, 0x78, v11
	v_cmp_gt_u32_e32 vcc_lo, 0x79, v11
	v_dual_cndmask_b32 v134, 0, v134 :: v_dual_and_b32 v15, 0x7fffff, v144
	s_delay_alu instid0(VALU_DEP_1) | instskip(SKIP_2) | instid1(VALU_DEP_4)
	v_or_b32_e32 v135, 0x800000, v15
	v_cmp_eq_u32_e32 vcc_lo, 0, v11
	v_add_nc_u32_e32 v11, 0xffffff89, v11
	v_cndmask_b32_e64 v134, v134, 0x77, vcc_lo
	s_delay_alu instid0(VALU_DEP_4) | instskip(NEXT) | instid1(VALU_DEP_3)
	v_cndmask_b32_e32 v15, v135, v15, vcc_lo
	v_cndmask_b32_e64 v11, v11, 0xffffff8a, vcc_lo
	s_delay_alu instid0(VALU_DEP_3) | instskip(NEXT) | instid1(VALU_DEP_3)
	v_lshl_add_u32 v135, 0x100000, v134, -1
	v_lshrrev_b32_e32 v145, v134, v15
	v_lshlrev_b32_e64 v147, v134, 0x80000
	s_delay_alu instid0(VALU_DEP_4) | instskip(NEXT) | instid1(VALU_DEP_4)
	v_add_nc_u32_e32 v134, v134, v11
	v_and_b32_e32 v15, v135, v15
	s_delay_alu instid0(VALU_DEP_4) | instskip(NEXT) | instid1(VALU_DEP_2)
	v_bfe_u32 v146, v145, 20, 1
	v_cmp_eq_u32_e64 s11, v15, v147
	s_delay_alu instid0(VALU_DEP_2) | instskip(NEXT) | instid1(VALU_DEP_1)
	v_add_nc_u32_e32 v135, -1, v146
	v_cndmask_b32_e64 v15, 0, v135, s11
	v_lshrrev_b32_e32 v135, 23, v145
	s_mov_b32 s11, exec_lo
	s_delay_alu instid0(VALU_DEP_2) | instskip(NEXT) | instid1(VALU_DEP_2)
	v_add_nc_u32_e32 v15, v15, v145
	v_xor_b32_e32 v135, 1, v135
	s_delay_alu instid0(VALU_DEP_2) | instskip(NEXT) | instid1(VALU_DEP_1)
	v_and_b32_e32 v11, 0xfffff, v15
	v_add_nc_u32_e32 v15, v11, v145
                                        ; implicit-def: $vgpr11
	s_delay_alu instid0(VALU_DEP_3)
	v_cmpx_ne_u32_e64 v134, v135
	s_xor_b32 s11, exec_lo, s11
; %bb.834:                              ;   in Loop: Header=BB4_143 Depth=2
	s_delay_alu instid0(VALU_DEP_2) | instskip(SKIP_2) | instid1(VALU_DEP_2)
	v_cmp_lt_u32_e32 vcc_lo, 0xffffff, v15
	v_sub_nc_u32_e32 v11, v134, v135
	v_cndmask_b32_e64 v134, 0, 1, vcc_lo
	v_add_co_ci_u32_e32 v11, vcc_lo, 0, v11, vcc_lo
	s_delay_alu instid0(VALU_DEP_2)
	v_lshrrev_b32_e32 v15, v134, v15
; %bb.835:                              ;   in Loop: Header=BB4_143 Depth=2
	s_and_not1_saveexec_b32 s11, s11
; %bb.836:                              ;   in Loop: Header=BB4_143 Depth=2
	s_delay_alu instid0(VALU_DEP_1)
	v_bfe_u32 v11, v15, 23, 1
; %bb.837:                              ;   in Loop: Header=BB4_143 Depth=2
	s_or_b32 exec_lo, exec_lo, s11
	v_lshrrev_b32_e32 v15, 20, v15
	s_delay_alu instid0(VALU_DEP_2) | instskip(SKIP_2) | instid1(VALU_DEP_2)
	v_cmp_gt_i32_e32 vcc_lo, 16, v11
	v_min_i32_e32 v134, 15, v11
	v_lshrrev_b32_e32 v135, 24, v144
	v_dual_cndmask_b32 v15, 7, v15 :: v_dual_lshlrev_b32 v134, 3, v134
	s_delay_alu instid0(VALU_DEP_2) | instskip(NEXT) | instid1(VALU_DEP_2)
	v_and_b32_e32 v135, 0x80, v135
	v_or_b32_e32 v11, v11, v15
	v_and_b32_e32 v144, 7, v15
	s_delay_alu instid0(VALU_DEP_2) | instskip(SKIP_1) | instid1(VALU_DEP_1)
	v_cmp_ne_u32_e32 vcc_lo, 0, v11
	v_and_b32_e32 v134, 0xf8, v134
	v_or3_b32 v134, v135, v134, v144
	s_delay_alu instid0(VALU_DEP_1) | instskip(NEXT) | instid1(VALU_DEP_1)
	v_lshlrev_b32_e32 v15, 8, v134
	v_cndmask_b32_e32 v11, 0, v15, vcc_lo
.LBB4_838:                              ;   in Loop: Header=BB4_143 Depth=2
	s_or_b32 exec_lo, exec_lo, s27
.LBB4_839:                              ;   in Loop: Header=BB4_143 Depth=2
	s_delay_alu instid0(SALU_CYCLE_1) | instskip(NEXT) | instid1(SALU_CYCLE_1)
	s_or_b32 exec_lo, exec_lo, s26
	s_and_not1_b32 vcc_lo, exec_lo, s25
	s_cbranch_vccnz .LBB4_849
; %bb.840:                              ;   in Loop: Header=BB4_143 Depth=2
	v_and_b32_e32 v134, 0xff, v16
	s_mov_b32 s11, 0
	s_mov_b32 s27, exec_lo
                                        ; implicit-def: $sgpr26
	s_delay_alu instid0(VALU_DEP_1)
	v_cmpx_lt_i16_e64 0x7f, v134
	s_xor_b32 s27, exec_lo, s27
	s_cbranch_execnz .LBB4_1453
; %bb.841:                              ;   in Loop: Header=BB4_143 Depth=2
	s_or_saveexec_b32 s27, s27
	v_mov_b32_e32 v15, s26
	s_xor_b32 exec_lo, exec_lo, s27
	s_cbranch_execnz .LBB4_1456
.LBB4_842:                              ;   in Loop: Header=BB4_143 Depth=2
	s_or_b32 exec_lo, exec_lo, s27
	s_and_saveexec_b32 s26, s11
	s_cbranch_execz .LBB4_844
.LBB4_843:                              ;   in Loop: Header=BB4_143 Depth=2
	v_bfe_u32 v144, v16, 3, 4
	v_lshlrev_b32_e32 v145, 24, v16
	s_delay_alu instid0(VALU_DEP_2) | instskip(SKIP_1) | instid1(VALU_DEP_1)
	v_cmp_eq_u32_e32 vcc_lo, 0, v144
	v_and_b32_e32 v15, 7, v16
	v_clz_i32_u32_e32 v134, v15
	s_delay_alu instid0(VALU_DEP_1) | instskip(NEXT) | instid1(VALU_DEP_1)
	v_min_u32_e32 v134, 32, v134
	v_subrev_nc_u32_e32 v135, 28, v134
	v_sub_nc_u32_e32 v134, 29, v134
	s_delay_alu instid0(VALU_DEP_1) | instskip(NEXT) | instid1(VALU_DEP_1)
	v_dual_cndmask_b32 v134, v144, v134 :: v_dual_lshlrev_b32 v135, v135, v16
	v_and_b32_e32 v135, 7, v135
	s_delay_alu instid0(VALU_DEP_2) | instskip(NEXT) | instid1(VALU_DEP_2)
	v_lshl_add_u32 v134, v134, 23, 0x3b800000
	v_cndmask_b32_e32 v15, v15, v135, vcc_lo
	v_and_b32_e32 v135, 0x80000000, v145
	s_delay_alu instid0(VALU_DEP_2) | instskip(NEXT) | instid1(VALU_DEP_1)
	v_lshlrev_b32_e32 v15, 20, v15
	v_or3_b32 v15, v135, v134, v15
.LBB4_844:                              ;   in Loop: Header=BB4_143 Depth=2
	s_or_b32 exec_lo, exec_lo, s26
	v_and_b32_e32 v135, 0xff, v12
	s_mov_b32 s11, 0
	s_mov_b32 s27, exec_lo
                                        ; implicit-def: $sgpr26
	s_delay_alu instid0(VALU_DEP_1)
	v_cmpx_lt_i16_e64 0x7f, v135
	s_xor_b32 s27, exec_lo, s27
	s_cbranch_execnz .LBB4_1457
; %bb.845:                              ;   in Loop: Header=BB4_143 Depth=2
	s_or_saveexec_b32 s27, s27
	v_mov_b32_e32 v134, s26
	s_xor_b32 exec_lo, exec_lo, s27
	s_cbranch_execnz .LBB4_1460
.LBB4_846:                              ;   in Loop: Header=BB4_143 Depth=2
	s_or_b32 exec_lo, exec_lo, s27
	s_and_saveexec_b32 s26, s11
	s_cbranch_execz .LBB4_848
.LBB4_847:                              ;   in Loop: Header=BB4_143 Depth=2
	v_bfe_u32 v145, v12, 3, 4
	v_lshlrev_b32_e32 v146, 24, v12
	s_delay_alu instid0(VALU_DEP_2) | instskip(SKIP_1) | instid1(VALU_DEP_1)
	v_cmp_eq_u32_e32 vcc_lo, 0, v145
	v_and_b32_e32 v134, 7, v12
	v_clz_i32_u32_e32 v135, v134
	s_delay_alu instid0(VALU_DEP_1) | instskip(NEXT) | instid1(VALU_DEP_1)
	v_min_u32_e32 v135, 32, v135
	v_subrev_nc_u32_e32 v144, 28, v135
	v_sub_nc_u32_e32 v135, 29, v135
	s_delay_alu instid0(VALU_DEP_1) | instskip(NEXT) | instid1(VALU_DEP_1)
	v_dual_cndmask_b32 v135, v145, v135 :: v_dual_lshlrev_b32 v144, v144, v12
	v_and_b32_e32 v144, 7, v144
	s_delay_alu instid0(VALU_DEP_2) | instskip(NEXT) | instid1(VALU_DEP_2)
	v_lshl_add_u32 v135, v135, 23, 0x3b800000
	v_cndmask_b32_e32 v134, v134, v144, vcc_lo
	v_and_b32_e32 v144, 0x80000000, v146
	s_delay_alu instid0(VALU_DEP_2) | instskip(NEXT) | instid1(VALU_DEP_1)
	v_lshlrev_b32_e32 v134, 20, v134
	v_or3_b32 v134, v144, v135, v134
.LBB4_848:                              ;   in Loop: Header=BB4_143 Depth=2
	s_or_b32 exec_lo, exec_lo, s26
	s_delay_alu instid0(VALU_DEP_1) | instskip(SKIP_1) | instid1(VALU_DEP_1)
	v_dual_max_f32 v134, v134, v134 :: v_dual_max_f32 v15, v15, v15
	s_mov_b32 s11, 0
	v_max_f32_e32 v134, v15, v134
	s_branch .LBB4_850
.LBB4_849:                              ;   in Loop: Header=BB4_143 Depth=2
	s_mov_b32 s11, -1
                                        ; implicit-def: $vgpr134
.LBB4_850:                              ;   in Loop: Header=BB4_143 Depth=2
	s_delay_alu instid0(SALU_CYCLE_1)
	s_and_b32 vcc_lo, exec_lo, s11
	s_cbranch_vccz .LBB4_860
; %bb.851:                              ;   in Loop: Header=BB4_143 Depth=2
	v_and_b32_e32 v134, 0xff, v16
	s_mov_b32 s11, 0
	s_mov_b32 s27, exec_lo
                                        ; implicit-def: $sgpr26
	s_delay_alu instid0(VALU_DEP_1)
	v_cmpx_lt_i16_e64 0x7f, v134
	s_xor_b32 s27, exec_lo, s27
	s_cbranch_execnz .LBB4_1461
; %bb.852:                              ;   in Loop: Header=BB4_143 Depth=2
	s_or_saveexec_b32 s27, s27
	v_mov_b32_e32 v15, s26
	s_xor_b32 exec_lo, exec_lo, s27
	s_cbranch_execnz .LBB4_1464
.LBB4_853:                              ;   in Loop: Header=BB4_143 Depth=2
	s_or_b32 exec_lo, exec_lo, s27
	s_and_saveexec_b32 s26, s11
	s_cbranch_execz .LBB4_855
.LBB4_854:                              ;   in Loop: Header=BB4_143 Depth=2
	v_bfe_u32 v144, v16, 3, 4
	v_lshlrev_b32_e32 v145, 24, v16
	s_delay_alu instid0(VALU_DEP_2) | instskip(SKIP_1) | instid1(VALU_DEP_1)
	v_cmp_eq_u32_e32 vcc_lo, 0, v144
	v_and_b32_e32 v15, 7, v16
	v_clz_i32_u32_e32 v134, v15
	s_delay_alu instid0(VALU_DEP_1) | instskip(NEXT) | instid1(VALU_DEP_1)
	v_min_u32_e32 v134, 32, v134
	v_subrev_nc_u32_e32 v135, 28, v134
	v_sub_nc_u32_e32 v134, 29, v134
	s_delay_alu instid0(VALU_DEP_1) | instskip(NEXT) | instid1(VALU_DEP_1)
	v_dual_cndmask_b32 v134, v144, v134 :: v_dual_lshlrev_b32 v135, v135, v16
	v_and_b32_e32 v135, 7, v135
	s_delay_alu instid0(VALU_DEP_2) | instskip(NEXT) | instid1(VALU_DEP_2)
	v_lshl_add_u32 v134, v134, 23, 0x3b800000
	v_cndmask_b32_e32 v15, v15, v135, vcc_lo
	v_and_b32_e32 v135, 0x80000000, v145
	s_delay_alu instid0(VALU_DEP_2) | instskip(NEXT) | instid1(VALU_DEP_1)
	v_lshlrev_b32_e32 v15, 20, v15
	v_or3_b32 v15, v135, v134, v15
.LBB4_855:                              ;   in Loop: Header=BB4_143 Depth=2
	s_or_b32 exec_lo, exec_lo, s26
	v_and_b32_e32 v135, 0xff, v12
	s_mov_b32 s11, 0
	s_mov_b32 s27, exec_lo
                                        ; implicit-def: $sgpr26
	s_delay_alu instid0(VALU_DEP_1)
	v_cmpx_lt_i16_e64 0x7f, v135
	s_xor_b32 s27, exec_lo, s27
	s_cbranch_execnz .LBB4_1465
; %bb.856:                              ;   in Loop: Header=BB4_143 Depth=2
	s_or_saveexec_b32 s27, s27
	v_mov_b32_e32 v134, s26
	s_xor_b32 exec_lo, exec_lo, s27
	s_cbranch_execnz .LBB4_1468
.LBB4_857:                              ;   in Loop: Header=BB4_143 Depth=2
	s_or_b32 exec_lo, exec_lo, s27
	s_and_saveexec_b32 s26, s11
	s_cbranch_execz .LBB4_859
.LBB4_858:                              ;   in Loop: Header=BB4_143 Depth=2
	v_bfe_u32 v145, v12, 3, 4
	v_lshlrev_b32_e32 v146, 24, v12
	s_delay_alu instid0(VALU_DEP_2) | instskip(SKIP_1) | instid1(VALU_DEP_1)
	v_cmp_eq_u32_e32 vcc_lo, 0, v145
	v_and_b32_e32 v134, 7, v12
	v_clz_i32_u32_e32 v135, v134
	s_delay_alu instid0(VALU_DEP_1) | instskip(NEXT) | instid1(VALU_DEP_1)
	v_min_u32_e32 v135, 32, v135
	v_subrev_nc_u32_e32 v144, 28, v135
	v_sub_nc_u32_e32 v135, 29, v135
	s_delay_alu instid0(VALU_DEP_1) | instskip(NEXT) | instid1(VALU_DEP_1)
	v_dual_cndmask_b32 v135, v145, v135 :: v_dual_lshlrev_b32 v144, v144, v12
	v_and_b32_e32 v144, 7, v144
	s_delay_alu instid0(VALU_DEP_2) | instskip(NEXT) | instid1(VALU_DEP_2)
	v_lshl_add_u32 v135, v135, 23, 0x3b800000
	v_cndmask_b32_e32 v134, v134, v144, vcc_lo
	v_and_b32_e32 v144, 0x80000000, v146
	s_delay_alu instid0(VALU_DEP_2) | instskip(NEXT) | instid1(VALU_DEP_1)
	v_lshlrev_b32_e32 v134, 20, v134
	v_or3_b32 v134, v144, v135, v134
.LBB4_859:                              ;   in Loop: Header=BB4_143 Depth=2
	s_or_b32 exec_lo, exec_lo, s26
	s_delay_alu instid0(VALU_DEP_1) | instskip(NEXT) | instid1(VALU_DEP_1)
	v_dual_max_f32 v134, v134, v134 :: v_dual_max_f32 v15, v15, v15
	v_min_f32_e32 v134, v15, v134
.LBB4_860:                              ;   in Loop: Header=BB4_143 Depth=2
	s_delay_alu instid0(VALU_DEP_1) | instskip(NEXT) | instid1(VALU_DEP_1)
	v_and_b32_e32 v15, 0x7f800000, v134
	v_cmp_ne_u32_e32 vcc_lo, 0x7f800000, v15
	v_mov_b32_e32 v15, 0x80
	s_and_saveexec_b32 s26, vcc_lo
	s_cbranch_execz .LBB4_868
; %bb.861:                              ;   in Loop: Header=BB4_143 Depth=2
	v_mov_b32_e32 v15, 0
	s_mov_b32 s27, exec_lo
	v_cmpx_ne_u32_e32 0, v134
	s_cbranch_execz .LBB4_867
; %bb.862:                              ;   in Loop: Header=BB4_143 Depth=2
	v_bfe_u32 v15, v134, 23, 8
	s_delay_alu instid0(VALU_DEP_1) | instskip(SKIP_1) | instid1(VALU_DEP_2)
	v_sub_nc_u32_e32 v144, 0x78, v15
	v_cmp_gt_u32_e32 vcc_lo, 0x79, v15
	v_dual_cndmask_b32 v144, 0, v144 :: v_dual_and_b32 v135, 0x7fffff, v134
	s_delay_alu instid0(VALU_DEP_1) | instskip(SKIP_2) | instid1(VALU_DEP_4)
	v_or_b32_e32 v145, 0x800000, v135
	v_cmp_eq_u32_e32 vcc_lo, 0, v15
	v_add_nc_u32_e32 v15, 0xffffff89, v15
	v_cndmask_b32_e64 v144, v144, 0x77, vcc_lo
	s_delay_alu instid0(VALU_DEP_4) | instskip(NEXT) | instid1(VALU_DEP_3)
	v_cndmask_b32_e32 v135, v145, v135, vcc_lo
	v_cndmask_b32_e64 v15, v15, 0xffffff8a, vcc_lo
	s_delay_alu instid0(VALU_DEP_3) | instskip(NEXT) | instid1(VALU_DEP_3)
	v_lshl_add_u32 v145, 0x100000, v144, -1
	v_lshrrev_b32_e32 v146, v144, v135
	v_lshlrev_b32_e64 v148, v144, 0x80000
	s_delay_alu instid0(VALU_DEP_4) | instskip(NEXT) | instid1(VALU_DEP_4)
	v_add_nc_u32_e32 v144, v144, v15
	v_and_b32_e32 v135, v145, v135
	s_delay_alu instid0(VALU_DEP_4) | instskip(NEXT) | instid1(VALU_DEP_2)
	v_bfe_u32 v147, v146, 20, 1
	v_cmp_eq_u32_e64 s11, v135, v148
	s_delay_alu instid0(VALU_DEP_2) | instskip(NEXT) | instid1(VALU_DEP_1)
	v_add_nc_u32_e32 v145, -1, v147
	v_cndmask_b32_e64 v135, 0, v145, s11
	v_lshrrev_b32_e32 v145, 23, v146
	s_mov_b32 s11, exec_lo
	s_delay_alu instid0(VALU_DEP_2) | instskip(NEXT) | instid1(VALU_DEP_2)
	v_add_nc_u32_e32 v135, v135, v146
	v_xor_b32_e32 v145, 1, v145
	s_delay_alu instid0(VALU_DEP_2) | instskip(NEXT) | instid1(VALU_DEP_1)
	v_and_b32_e32 v15, 0xfffff, v135
	v_add_nc_u32_e32 v135, v15, v146
                                        ; implicit-def: $vgpr15
	s_delay_alu instid0(VALU_DEP_3)
	v_cmpx_ne_u32_e64 v144, v145
	s_xor_b32 s11, exec_lo, s11
; %bb.863:                              ;   in Loop: Header=BB4_143 Depth=2
	s_delay_alu instid0(VALU_DEP_2) | instskip(SKIP_2) | instid1(VALU_DEP_2)
	v_cmp_lt_u32_e32 vcc_lo, 0xffffff, v135
	v_sub_nc_u32_e32 v15, v144, v145
	v_cndmask_b32_e64 v144, 0, 1, vcc_lo
	v_add_co_ci_u32_e32 v15, vcc_lo, 0, v15, vcc_lo
	s_delay_alu instid0(VALU_DEP_2)
	v_lshrrev_b32_e32 v135, v144, v135
; %bb.864:                              ;   in Loop: Header=BB4_143 Depth=2
	s_and_not1_saveexec_b32 s11, s11
; %bb.865:                              ;   in Loop: Header=BB4_143 Depth=2
	s_delay_alu instid0(VALU_DEP_1)
	v_bfe_u32 v15, v135, 23, 1
; %bb.866:                              ;   in Loop: Header=BB4_143 Depth=2
	s_or_b32 exec_lo, exec_lo, s11
	v_lshrrev_b32_e32 v135, 20, v135
	s_delay_alu instid0(VALU_DEP_2) | instskip(SKIP_2) | instid1(VALU_DEP_2)
	v_cmp_gt_i32_e32 vcc_lo, 16, v15
	v_lshrrev_b32_e32 v134, 24, v134
	v_min_i32_e32 v144, 15, v15
	v_dual_cndmask_b32 v135, 7, v135 :: v_dual_and_b32 v134, 0x80, v134
	s_delay_alu instid0(VALU_DEP_1) | instskip(SKIP_1) | instid1(VALU_DEP_2)
	v_or_b32_e32 v15, v15, v135
	v_and_b32_e32 v145, 7, v135
	v_cmp_ne_u32_e32 vcc_lo, 0, v15
	v_lshlrev_b32_e32 v144, 3, v144
	s_delay_alu instid0(VALU_DEP_1) | instskip(NEXT) | instid1(VALU_DEP_1)
	v_or3_b32 v134, v144, v134, v145
	v_cndmask_b32_e32 v15, 0, v134, vcc_lo
.LBB4_867:                              ;   in Loop: Header=BB4_143 Depth=2
	s_or_b32 exec_lo, exec_lo, s27
.LBB4_868:                              ;   in Loop: Header=BB4_143 Depth=2
	s_delay_alu instid0(SALU_CYCLE_1)
	s_or_b32 exec_lo, exec_lo, s26
	v_lshrrev_b16 v135, 8, v16
	v_lshrrev_b16 v134, 8, v12
	s_and_not1_b32 vcc_lo, exec_lo, s25
	s_cbranch_vccnz .LBB4_878
; %bb.869:                              ;   in Loop: Header=BB4_143 Depth=2
	s_mov_b32 s11, 0
	s_mov_b32 s27, exec_lo
                                        ; implicit-def: $sgpr26
	v_cmpx_lt_i16_e64 0x7f, v135
	s_xor_b32 s27, exec_lo, s27
	s_cbranch_execnz .LBB4_1469
; %bb.870:                              ;   in Loop: Header=BB4_143 Depth=2
	s_or_saveexec_b32 s27, s27
	v_mov_b32_e32 v144, s26
	s_xor_b32 exec_lo, exec_lo, s27
	s_cbranch_execnz .LBB4_1472
.LBB4_871:                              ;   in Loop: Header=BB4_143 Depth=2
	s_or_b32 exec_lo, exec_lo, s27
	s_and_saveexec_b32 s26, s11
	s_cbranch_execz .LBB4_873
.LBB4_872:                              ;   in Loop: Header=BB4_143 Depth=2
	v_and_b32_e32 v144, 0xffff, v135
	s_delay_alu instid0(VALU_DEP_1) | instskip(NEXT) | instid1(VALU_DEP_1)
	v_and_b32_e32 v145, 7, v144
	v_clz_i32_u32_e32 v146, v145
	s_delay_alu instid0(VALU_DEP_1) | instskip(NEXT) | instid1(VALU_DEP_1)
	v_min_u32_e32 v146, 32, v146
	v_subrev_nc_u32_e32 v147, 28, v146
	v_sub_nc_u32_e32 v146, 29, v146
	s_delay_alu instid0(VALU_DEP_2) | instskip(SKIP_1) | instid1(VALU_DEP_2)
	v_lshlrev_b32_e32 v147, v147, v144
	v_bfe_u32 v144, v144, 3, 4
	v_and_b32_e32 v147, 7, v147
	s_delay_alu instid0(VALU_DEP_2) | instskip(SKIP_1) | instid1(VALU_DEP_3)
	v_cmp_eq_u32_e32 vcc_lo, 0, v144
	v_cndmask_b32_e32 v144, v144, v146, vcc_lo
	v_dual_cndmask_b32 v145, v145, v147 :: v_dual_lshlrev_b32 v148, 16, v16
	s_delay_alu instid0(VALU_DEP_2) | instskip(NEXT) | instid1(VALU_DEP_2)
	v_lshl_add_u32 v144, v144, 23, 0x3b800000
	v_and_b32_e32 v146, 0x80000000, v148
	s_delay_alu instid0(VALU_DEP_3) | instskip(NEXT) | instid1(VALU_DEP_1)
	v_lshlrev_b32_e32 v145, 20, v145
	v_or3_b32 v144, v146, v144, v145
.LBB4_873:                              ;   in Loop: Header=BB4_143 Depth=2
	s_or_b32 exec_lo, exec_lo, s26
	s_mov_b32 s11, 0
	s_mov_b32 s27, exec_lo
                                        ; implicit-def: $sgpr26
	v_cmpx_lt_i16_e64 0x7f, v134
	s_xor_b32 s27, exec_lo, s27
	s_cbranch_execnz .LBB4_1473
; %bb.874:                              ;   in Loop: Header=BB4_143 Depth=2
	s_or_saveexec_b32 s27, s27
	v_mov_b32_e32 v145, s26
	s_xor_b32 exec_lo, exec_lo, s27
	s_cbranch_execnz .LBB4_1476
.LBB4_875:                              ;   in Loop: Header=BB4_143 Depth=2
	s_or_b32 exec_lo, exec_lo, s27
	s_and_saveexec_b32 s26, s11
	s_cbranch_execz .LBB4_877
.LBB4_876:                              ;   in Loop: Header=BB4_143 Depth=2
	v_and_b32_e32 v145, 0xffff, v134
	v_lshlrev_b32_e32 v149, 16, v12
	s_delay_alu instid0(VALU_DEP_2) | instskip(NEXT) | instid1(VALU_DEP_1)
	v_and_b32_e32 v146, 7, v145
	v_clz_i32_u32_e32 v147, v146
	s_delay_alu instid0(VALU_DEP_1) | instskip(NEXT) | instid1(VALU_DEP_1)
	v_min_u32_e32 v147, 32, v147
	v_subrev_nc_u32_e32 v148, 28, v147
	v_sub_nc_u32_e32 v147, 29, v147
	s_delay_alu instid0(VALU_DEP_2) | instskip(SKIP_1) | instid1(VALU_DEP_2)
	v_lshlrev_b32_e32 v148, v148, v145
	v_bfe_u32 v145, v145, 3, 4
	v_and_b32_e32 v148, 7, v148
	s_delay_alu instid0(VALU_DEP_2) | instskip(NEXT) | instid1(VALU_DEP_2)
	v_cmp_eq_u32_e32 vcc_lo, 0, v145
	v_dual_cndmask_b32 v145, v145, v147 :: v_dual_cndmask_b32 v146, v146, v148
	v_and_b32_e32 v147, 0x80000000, v149
	s_delay_alu instid0(VALU_DEP_2) | instskip(NEXT) | instid1(VALU_DEP_3)
	v_lshl_add_u32 v145, v145, 23, 0x3b800000
	v_lshlrev_b32_e32 v146, 20, v146
	s_delay_alu instid0(VALU_DEP_1)
	v_or3_b32 v145, v147, v145, v146
.LBB4_877:                              ;   in Loop: Header=BB4_143 Depth=2
	s_or_b32 exec_lo, exec_lo, s26
	s_delay_alu instid0(VALU_DEP_1) | instskip(SKIP_1) | instid1(VALU_DEP_1)
	v_dual_max_f32 v145, v145, v145 :: v_dual_max_f32 v144, v144, v144
	s_mov_b32 s11, 0
	v_max_f32_e32 v144, v144, v145
	s_branch .LBB4_879
.LBB4_878:                              ;   in Loop: Header=BB4_143 Depth=2
	s_mov_b32 s11, -1
                                        ; implicit-def: $vgpr144
.LBB4_879:                              ;   in Loop: Header=BB4_143 Depth=2
	s_delay_alu instid0(SALU_CYCLE_1)
	s_and_b32 vcc_lo, exec_lo, s11
	s_cbranch_vccz .LBB4_889
; %bb.880:                              ;   in Loop: Header=BB4_143 Depth=2
	s_mov_b32 s11, 0
	s_mov_b32 s27, exec_lo
                                        ; implicit-def: $sgpr26
	v_cmpx_lt_i16_e64 0x7f, v135
	s_xor_b32 s27, exec_lo, s27
	s_cbranch_execnz .LBB4_1477
; %bb.881:                              ;   in Loop: Header=BB4_143 Depth=2
	s_or_saveexec_b32 s27, s27
	v_mov_b32_e32 v144, s26
	s_xor_b32 exec_lo, exec_lo, s27
	s_cbranch_execnz .LBB4_1480
.LBB4_882:                              ;   in Loop: Header=BB4_143 Depth=2
	s_or_b32 exec_lo, exec_lo, s27
	s_and_saveexec_b32 s26, s11
	s_cbranch_execz .LBB4_884
.LBB4_883:                              ;   in Loop: Header=BB4_143 Depth=2
	v_and_b32_e32 v135, 0xffff, v135
	v_lshlrev_b32_e32 v147, 16, v16
	s_delay_alu instid0(VALU_DEP_2) | instskip(NEXT) | instid1(VALU_DEP_1)
	v_and_b32_e32 v144, 7, v135
	v_clz_i32_u32_e32 v145, v144
	s_delay_alu instid0(VALU_DEP_1) | instskip(NEXT) | instid1(VALU_DEP_1)
	v_min_u32_e32 v145, 32, v145
	v_subrev_nc_u32_e32 v146, 28, v145
	v_sub_nc_u32_e32 v145, 29, v145
	s_delay_alu instid0(VALU_DEP_2) | instskip(SKIP_1) | instid1(VALU_DEP_2)
	v_lshlrev_b32_e32 v146, v146, v135
	v_bfe_u32 v135, v135, 3, 4
	v_and_b32_e32 v146, 7, v146
	s_delay_alu instid0(VALU_DEP_2) | instskip(NEXT) | instid1(VALU_DEP_2)
	v_cmp_eq_u32_e32 vcc_lo, 0, v135
	v_dual_cndmask_b32 v135, v135, v145 :: v_dual_cndmask_b32 v144, v144, v146
	v_and_b32_e32 v145, 0x80000000, v147
	s_delay_alu instid0(VALU_DEP_2) | instskip(NEXT) | instid1(VALU_DEP_3)
	v_lshl_add_u32 v135, v135, 23, 0x3b800000
	v_lshlrev_b32_e32 v144, 20, v144
	s_delay_alu instid0(VALU_DEP_1)
	v_or3_b32 v144, v145, v135, v144
.LBB4_884:                              ;   in Loop: Header=BB4_143 Depth=2
	s_or_b32 exec_lo, exec_lo, s26
	s_mov_b32 s11, 0
	s_mov_b32 s27, exec_lo
                                        ; implicit-def: $sgpr26
	v_cmpx_lt_i16_e64 0x7f, v134
	s_xor_b32 s27, exec_lo, s27
	s_cbranch_execnz .LBB4_1481
; %bb.885:                              ;   in Loop: Header=BB4_143 Depth=2
	s_or_saveexec_b32 s27, s27
	v_mov_b32_e32 v135, s26
	s_xor_b32 exec_lo, exec_lo, s27
	s_cbranch_execnz .LBB4_1484
.LBB4_886:                              ;   in Loop: Header=BB4_143 Depth=2
	s_or_b32 exec_lo, exec_lo, s27
	s_and_saveexec_b32 s26, s11
	s_cbranch_execz .LBB4_888
.LBB4_887:                              ;   in Loop: Header=BB4_143 Depth=2
	v_and_b32_e32 v134, 0xffff, v134
	v_lshlrev_b32_e32 v147, 16, v12
	s_delay_alu instid0(VALU_DEP_2) | instskip(NEXT) | instid1(VALU_DEP_1)
	v_and_b32_e32 v135, 7, v134
	v_clz_i32_u32_e32 v145, v135
	s_delay_alu instid0(VALU_DEP_1) | instskip(NEXT) | instid1(VALU_DEP_1)
	v_min_u32_e32 v145, 32, v145
	v_subrev_nc_u32_e32 v146, 28, v145
	v_sub_nc_u32_e32 v145, 29, v145
	s_delay_alu instid0(VALU_DEP_2) | instskip(SKIP_1) | instid1(VALU_DEP_2)
	v_lshlrev_b32_e32 v146, v146, v134
	v_bfe_u32 v134, v134, 3, 4
	v_and_b32_e32 v146, 7, v146
	s_delay_alu instid0(VALU_DEP_2) | instskip(NEXT) | instid1(VALU_DEP_2)
	v_cmp_eq_u32_e32 vcc_lo, 0, v134
	v_dual_cndmask_b32 v134, v134, v145 :: v_dual_cndmask_b32 v135, v135, v146
	v_and_b32_e32 v145, 0x80000000, v147
	s_delay_alu instid0(VALU_DEP_2) | instskip(NEXT) | instid1(VALU_DEP_3)
	v_lshl_add_u32 v134, v134, 23, 0x3b800000
	v_lshlrev_b32_e32 v135, 20, v135
	s_delay_alu instid0(VALU_DEP_1)
	v_or3_b32 v135, v145, v134, v135
.LBB4_888:                              ;   in Loop: Header=BB4_143 Depth=2
	s_or_b32 exec_lo, exec_lo, s26
	s_delay_alu instid0(VALU_DEP_1) | instskip(NEXT) | instid1(VALU_DEP_1)
	v_dual_max_f32 v134, v135, v135 :: v_dual_max_f32 v135, v144, v144
	v_min_f32_e32 v144, v135, v134
.LBB4_889:                              ;   in Loop: Header=BB4_143 Depth=2
	s_delay_alu instid0(VALU_DEP_1) | instskip(NEXT) | instid1(VALU_DEP_1)
	v_and_b32_e32 v134, 0x7f800000, v144
	v_cmp_ne_u32_e32 vcc_lo, 0x7f800000, v134
	v_mov_b32_e32 v134, 0x80
	s_and_saveexec_b32 s26, vcc_lo
	s_cbranch_execz .LBB4_897
; %bb.890:                              ;   in Loop: Header=BB4_143 Depth=2
	v_mov_b32_e32 v134, 0
	s_mov_b32 s27, exec_lo
	v_cmpx_ne_u32_e32 0, v144
	s_cbranch_execz .LBB4_896
; %bb.891:                              ;   in Loop: Header=BB4_143 Depth=2
	v_bfe_u32 v134, v144, 23, 8
	v_and_b32_e32 v135, 0x7fffff, v144
	s_delay_alu instid0(VALU_DEP_2) | instskip(SKIP_1) | instid1(VALU_DEP_3)
	v_sub_nc_u32_e32 v145, 0x78, v134
	v_cmp_gt_u32_e32 vcc_lo, 0x79, v134
	v_or_b32_e32 v146, 0x800000, v135
	s_delay_alu instid0(VALU_DEP_3) | instskip(SKIP_2) | instid1(VALU_DEP_3)
	v_cndmask_b32_e32 v145, 0, v145, vcc_lo
	v_cmp_eq_u32_e32 vcc_lo, 0, v134
	v_add_nc_u32_e32 v134, 0xffffff89, v134
	v_cndmask_b32_e64 v145, v145, 0x77, vcc_lo
	v_cndmask_b32_e32 v135, v146, v135, vcc_lo
	s_delay_alu instid0(VALU_DEP_3) | instskip(NEXT) | instid1(VALU_DEP_3)
	v_cndmask_b32_e64 v134, v134, 0xffffff8a, vcc_lo
	v_lshl_add_u32 v146, 0x100000, v145, -1
	s_delay_alu instid0(VALU_DEP_3) | instskip(SKIP_1) | instid1(VALU_DEP_4)
	v_lshrrev_b32_e32 v147, v145, v135
	v_lshlrev_b32_e64 v149, v145, 0x80000
	v_add_nc_u32_e32 v145, v145, v134
	s_delay_alu instid0(VALU_DEP_4) | instskip(NEXT) | instid1(VALU_DEP_4)
	v_and_b32_e32 v135, v146, v135
	v_bfe_u32 v148, v147, 20, 1
	s_delay_alu instid0(VALU_DEP_2) | instskip(NEXT) | instid1(VALU_DEP_2)
	v_cmp_eq_u32_e64 s11, v135, v149
	v_add_nc_u32_e32 v146, -1, v148
	s_delay_alu instid0(VALU_DEP_1) | instskip(SKIP_2) | instid1(VALU_DEP_2)
	v_cndmask_b32_e64 v135, 0, v146, s11
	v_lshrrev_b32_e32 v146, 23, v147
	s_mov_b32 s11, exec_lo
	v_add_nc_u32_e32 v135, v135, v147
	s_delay_alu instid0(VALU_DEP_2) | instskip(NEXT) | instid1(VALU_DEP_2)
	v_xor_b32_e32 v146, 1, v146
	v_and_b32_e32 v134, 0xfffff, v135
	s_delay_alu instid0(VALU_DEP_1) | instskip(NEXT) | instid1(VALU_DEP_3)
	v_add_nc_u32_e32 v135, v134, v147
                                        ; implicit-def: $vgpr134
	v_cmpx_ne_u32_e64 v145, v146
	s_xor_b32 s11, exec_lo, s11
; %bb.892:                              ;   in Loop: Header=BB4_143 Depth=2
	s_delay_alu instid0(VALU_DEP_2) | instskip(SKIP_2) | instid1(VALU_DEP_2)
	v_cmp_lt_u32_e32 vcc_lo, 0xffffff, v135
	v_sub_nc_u32_e32 v134, v145, v146
	v_cndmask_b32_e64 v145, 0, 1, vcc_lo
	v_add_co_ci_u32_e32 v134, vcc_lo, 0, v134, vcc_lo
	s_delay_alu instid0(VALU_DEP_2)
	v_lshrrev_b32_e32 v135, v145, v135
; %bb.893:                              ;   in Loop: Header=BB4_143 Depth=2
	s_and_not1_saveexec_b32 s11, s11
; %bb.894:                              ;   in Loop: Header=BB4_143 Depth=2
	s_delay_alu instid0(VALU_DEP_1)
	v_bfe_u32 v134, v135, 23, 1
; %bb.895:                              ;   in Loop: Header=BB4_143 Depth=2
	s_or_b32 exec_lo, exec_lo, s11
	v_lshrrev_b32_e32 v135, 20, v135
	s_delay_alu instid0(VALU_DEP_2) | instskip(SKIP_2) | instid1(VALU_DEP_2)
	v_cmp_gt_i32_e32 vcc_lo, 16, v134
	v_lshrrev_b32_e32 v144, 24, v144
	v_min_i32_e32 v145, 15, v134
	v_dual_cndmask_b32 v135, 7, v135 :: v_dual_and_b32 v144, 0x80, v144
	s_delay_alu instid0(VALU_DEP_1) | instskip(SKIP_1) | instid1(VALU_DEP_2)
	v_or_b32_e32 v134, v134, v135
	v_and_b32_e32 v146, 7, v135
	v_cmp_ne_u32_e32 vcc_lo, 0, v134
	v_lshlrev_b32_e32 v145, 3, v145
	s_delay_alu instid0(VALU_DEP_1) | instskip(NEXT) | instid1(VALU_DEP_1)
	v_or3_b32 v135, v145, v144, v146
	v_cndmask_b32_e32 v134, 0, v135, vcc_lo
.LBB4_896:                              ;   in Loop: Header=BB4_143 Depth=2
	s_or_b32 exec_lo, exec_lo, s27
.LBB4_897:                              ;   in Loop: Header=BB4_143 Depth=2
	s_delay_alu instid0(SALU_CYCLE_1)
	s_or_b32 exec_lo, exec_lo, s26
	v_lshrrev_b32_e32 v144, 16, v16
	v_lshrrev_b32_e32 v135, 16, v12
	s_and_not1_b32 vcc_lo, exec_lo, s25
	s_cbranch_vccnz .LBB4_907
; %bb.898:                              ;   in Loop: Header=BB4_143 Depth=2
	s_delay_alu instid0(VALU_DEP_2) | instskip(SKIP_2) | instid1(VALU_DEP_1)
	v_and_b32_e32 v146, 0xff, v144
	s_mov_b32 s11, 0
	s_mov_b32 s27, exec_lo
                                        ; implicit-def: $sgpr26
	v_cmpx_lt_i16_e64 0x7f, v146
	s_xor_b32 s27, exec_lo, s27
	s_cbranch_execnz .LBB4_1485
; %bb.899:                              ;   in Loop: Header=BB4_143 Depth=2
	s_or_saveexec_b32 s27, s27
	v_mov_b32_e32 v145, s26
	s_xor_b32 exec_lo, exec_lo, s27
	s_cbranch_execnz .LBB4_1488
.LBB4_900:                              ;   in Loop: Header=BB4_143 Depth=2
	s_or_b32 exec_lo, exec_lo, s27
	s_and_saveexec_b32 s26, s11
	s_cbranch_execz .LBB4_902
.LBB4_901:                              ;   in Loop: Header=BB4_143 Depth=2
	v_bfe_u32 v145, v16, 16, 3
	v_bfe_u32 v148, v16, 19, 4
	v_lshlrev_b32_e32 v149, 24, v144
	s_delay_alu instid0(VALU_DEP_3) | instskip(NEXT) | instid1(VALU_DEP_3)
	v_clz_i32_u32_e32 v146, v145
	v_cmp_eq_u32_e32 vcc_lo, 0, v148
	s_delay_alu instid0(VALU_DEP_2) | instskip(NEXT) | instid1(VALU_DEP_1)
	v_min_u32_e32 v146, 32, v146
	v_subrev_nc_u32_e32 v147, 28, v146
	v_sub_nc_u32_e32 v146, 29, v146
	s_delay_alu instid0(VALU_DEP_1) | instskip(NEXT) | instid1(VALU_DEP_1)
	v_dual_cndmask_b32 v146, v148, v146 :: v_dual_lshlrev_b32 v147, v147, v144
	v_and_b32_e32 v147, 7, v147
	s_delay_alu instid0(VALU_DEP_2) | instskip(NEXT) | instid1(VALU_DEP_2)
	v_lshl_add_u32 v146, v146, 23, 0x3b800000
	v_cndmask_b32_e32 v145, v145, v147, vcc_lo
	v_and_b32_e32 v147, 0x80000000, v149
	s_delay_alu instid0(VALU_DEP_2) | instskip(NEXT) | instid1(VALU_DEP_1)
	v_lshlrev_b32_e32 v145, 20, v145
	v_or3_b32 v145, v147, v146, v145
.LBB4_902:                              ;   in Loop: Header=BB4_143 Depth=2
	s_or_b32 exec_lo, exec_lo, s26
	v_and_b32_e32 v147, 0xff, v135
	s_mov_b32 s11, 0
	s_mov_b32 s27, exec_lo
                                        ; implicit-def: $sgpr26
	s_delay_alu instid0(VALU_DEP_1)
	v_cmpx_lt_i16_e64 0x7f, v147
	s_xor_b32 s27, exec_lo, s27
	s_cbranch_execnz .LBB4_1489
; %bb.903:                              ;   in Loop: Header=BB4_143 Depth=2
	s_or_saveexec_b32 s27, s27
	v_mov_b32_e32 v146, s26
	s_xor_b32 exec_lo, exec_lo, s27
	s_cbranch_execnz .LBB4_1492
.LBB4_904:                              ;   in Loop: Header=BB4_143 Depth=2
	s_or_b32 exec_lo, exec_lo, s27
	s_and_saveexec_b32 s26, s11
	s_cbranch_execz .LBB4_906
.LBB4_905:                              ;   in Loop: Header=BB4_143 Depth=2
	v_bfe_u32 v146, v12, 16, 3
	v_bfe_u32 v149, v12, 19, 4
	v_lshlrev_b32_e32 v150, 24, v135
	s_delay_alu instid0(VALU_DEP_3) | instskip(NEXT) | instid1(VALU_DEP_3)
	v_clz_i32_u32_e32 v147, v146
	v_cmp_eq_u32_e32 vcc_lo, 0, v149
	s_delay_alu instid0(VALU_DEP_2) | instskip(NEXT) | instid1(VALU_DEP_1)
	v_min_u32_e32 v147, 32, v147
	v_subrev_nc_u32_e32 v148, 28, v147
	v_sub_nc_u32_e32 v147, 29, v147
	s_delay_alu instid0(VALU_DEP_2) | instskip(NEXT) | instid1(VALU_DEP_1)
	v_lshlrev_b32_e32 v148, v148, v135
	v_dual_cndmask_b32 v147, v149, v147 :: v_dual_and_b32 v148, 7, v148
	s_delay_alu instid0(VALU_DEP_1) | instskip(NEXT) | instid1(VALU_DEP_2)
	v_lshl_add_u32 v147, v147, 23, 0x3b800000
	v_cndmask_b32_e32 v146, v146, v148, vcc_lo
	v_and_b32_e32 v148, 0x80000000, v150
	s_delay_alu instid0(VALU_DEP_2) | instskip(NEXT) | instid1(VALU_DEP_1)
	v_lshlrev_b32_e32 v146, 20, v146
	v_or3_b32 v146, v148, v147, v146
.LBB4_906:                              ;   in Loop: Header=BB4_143 Depth=2
	s_or_b32 exec_lo, exec_lo, s26
	s_delay_alu instid0(VALU_DEP_1) | instskip(SKIP_1) | instid1(VALU_DEP_1)
	v_dual_max_f32 v146, v146, v146 :: v_dual_max_f32 v145, v145, v145
	s_mov_b32 s11, 0
	v_max_f32_e32 v145, v145, v146
	s_branch .LBB4_908
.LBB4_907:                              ;   in Loop: Header=BB4_143 Depth=2
	s_mov_b32 s11, -1
                                        ; implicit-def: $vgpr145
.LBB4_908:                              ;   in Loop: Header=BB4_143 Depth=2
	s_delay_alu instid0(SALU_CYCLE_1)
	s_and_b32 vcc_lo, exec_lo, s11
	s_cbranch_vccz .LBB4_918
; %bb.909:                              ;   in Loop: Header=BB4_143 Depth=2
	v_and_b32_e32 v146, 0xff, v144
	s_mov_b32 s11, 0
	s_mov_b32 s27, exec_lo
                                        ; implicit-def: $sgpr26
	s_delay_alu instid0(VALU_DEP_1)
	v_cmpx_lt_i16_e64 0x7f, v146
	s_xor_b32 s27, exec_lo, s27
	s_cbranch_execnz .LBB4_1493
; %bb.910:                              ;   in Loop: Header=BB4_143 Depth=2
	s_or_saveexec_b32 s27, s27
	v_mov_b32_e32 v145, s26
	s_xor_b32 exec_lo, exec_lo, s27
	s_cbranch_execnz .LBB4_1496
.LBB4_911:                              ;   in Loop: Header=BB4_143 Depth=2
	s_or_b32 exec_lo, exec_lo, s27
	s_and_saveexec_b32 s26, s11
	s_cbranch_execz .LBB4_913
.LBB4_912:                              ;   in Loop: Header=BB4_143 Depth=2
	v_bfe_u32 v145, v16, 16, 3
	v_bfe_u32 v148, v16, 19, 4
	s_delay_alu instid0(VALU_DEP_2) | instskip(NEXT) | instid1(VALU_DEP_2)
	v_clz_i32_u32_e32 v146, v145
	v_cmp_eq_u32_e32 vcc_lo, 0, v148
	s_delay_alu instid0(VALU_DEP_2) | instskip(NEXT) | instid1(VALU_DEP_1)
	v_min_u32_e32 v146, 32, v146
	v_subrev_nc_u32_e32 v147, 28, v146
	v_sub_nc_u32_e32 v146, 29, v146
	s_delay_alu instid0(VALU_DEP_1) | instskip(NEXT) | instid1(VALU_DEP_1)
	v_dual_cndmask_b32 v146, v148, v146 :: v_dual_lshlrev_b32 v147, v147, v144
	v_and_b32_e32 v147, 7, v147
	v_lshlrev_b32_e32 v144, 24, v144
	s_delay_alu instid0(VALU_DEP_3) | instskip(NEXT) | instid1(VALU_DEP_2)
	v_lshl_add_u32 v146, v146, 23, 0x3b800000
	v_dual_cndmask_b32 v145, v145, v147 :: v_dual_and_b32 v144, 0x80000000, v144
	s_delay_alu instid0(VALU_DEP_1) | instskip(NEXT) | instid1(VALU_DEP_1)
	v_lshlrev_b32_e32 v145, 20, v145
	v_or3_b32 v145, v144, v146, v145
.LBB4_913:                              ;   in Loop: Header=BB4_143 Depth=2
	s_or_b32 exec_lo, exec_lo, s26
	v_and_b32_e32 v146, 0xff, v135
	s_mov_b32 s11, 0
	s_mov_b32 s27, exec_lo
                                        ; implicit-def: $sgpr26
	s_delay_alu instid0(VALU_DEP_1)
	v_cmpx_lt_i16_e64 0x7f, v146
	s_xor_b32 s27, exec_lo, s27
	s_cbranch_execnz .LBB4_1497
; %bb.914:                              ;   in Loop: Header=BB4_143 Depth=2
	s_or_saveexec_b32 s27, s27
	v_mov_b32_e32 v144, s26
	s_xor_b32 exec_lo, exec_lo, s27
	s_cbranch_execnz .LBB4_1500
.LBB4_915:                              ;   in Loop: Header=BB4_143 Depth=2
	s_or_b32 exec_lo, exec_lo, s27
	s_and_saveexec_b32 s26, s11
	s_cbranch_execz .LBB4_917
.LBB4_916:                              ;   in Loop: Header=BB4_143 Depth=2
	v_bfe_u32 v144, v12, 16, 3
	v_bfe_u32 v148, v12, 19, 4
	s_delay_alu instid0(VALU_DEP_2) | instskip(NEXT) | instid1(VALU_DEP_2)
	v_clz_i32_u32_e32 v146, v144
	v_cmp_eq_u32_e32 vcc_lo, 0, v148
	s_delay_alu instid0(VALU_DEP_2) | instskip(NEXT) | instid1(VALU_DEP_1)
	v_min_u32_e32 v146, 32, v146
	v_subrev_nc_u32_e32 v147, 28, v146
	v_sub_nc_u32_e32 v146, 29, v146
	s_delay_alu instid0(VALU_DEP_1) | instskip(SKIP_1) | instid1(VALU_DEP_2)
	v_dual_cndmask_b32 v146, v148, v146 :: v_dual_lshlrev_b32 v147, v147, v135
	v_lshlrev_b32_e32 v135, 24, v135
	v_and_b32_e32 v147, 7, v147
	s_delay_alu instid0(VALU_DEP_3) | instskip(NEXT) | instid1(VALU_DEP_3)
	v_lshl_add_u32 v146, v146, 23, 0x3b800000
	v_and_b32_e32 v135, 0x80000000, v135
	s_delay_alu instid0(VALU_DEP_3) | instskip(NEXT) | instid1(VALU_DEP_1)
	v_cndmask_b32_e32 v144, v144, v147, vcc_lo
	v_lshlrev_b32_e32 v144, 20, v144
	s_delay_alu instid0(VALU_DEP_1)
	v_or3_b32 v144, v135, v146, v144
.LBB4_917:                              ;   in Loop: Header=BB4_143 Depth=2
	s_or_b32 exec_lo, exec_lo, s26
	s_delay_alu instid0(VALU_DEP_1) | instskip(NEXT) | instid1(VALU_DEP_1)
	v_dual_max_f32 v135, v144, v144 :: v_dual_max_f32 v144, v145, v145
	v_min_f32_e32 v145, v144, v135
.LBB4_918:                              ;   in Loop: Header=BB4_143 Depth=2
	s_delay_alu instid0(VALU_DEP_1) | instskip(NEXT) | instid1(VALU_DEP_1)
	v_and_b32_e32 v135, 0x7f800000, v145
	v_cmp_ne_u32_e32 vcc_lo, 0x7f800000, v135
	v_mov_b32_e32 v135, 0x80
	s_and_saveexec_b32 s26, vcc_lo
	s_cbranch_execz .LBB4_926
; %bb.919:                              ;   in Loop: Header=BB4_143 Depth=2
	v_mov_b32_e32 v135, 0
	s_mov_b32 s27, exec_lo
	v_cmpx_ne_u32_e32 0, v145
	s_cbranch_execz .LBB4_925
; %bb.920:                              ;   in Loop: Header=BB4_143 Depth=2
	v_bfe_u32 v135, v145, 23, 8
	v_and_b32_e32 v144, 0x7fffff, v145
	s_delay_alu instid0(VALU_DEP_2) | instskip(SKIP_1) | instid1(VALU_DEP_3)
	v_sub_nc_u32_e32 v146, 0x78, v135
	v_cmp_gt_u32_e32 vcc_lo, 0x79, v135
	v_or_b32_e32 v147, 0x800000, v144
	s_delay_alu instid0(VALU_DEP_3) | instskip(SKIP_2) | instid1(VALU_DEP_3)
	v_cndmask_b32_e32 v146, 0, v146, vcc_lo
	v_cmp_eq_u32_e32 vcc_lo, 0, v135
	v_add_nc_u32_e32 v135, 0xffffff89, v135
	v_cndmask_b32_e64 v146, v146, 0x77, vcc_lo
	v_cndmask_b32_e32 v144, v147, v144, vcc_lo
	s_delay_alu instid0(VALU_DEP_3) | instskip(NEXT) | instid1(VALU_DEP_3)
	v_cndmask_b32_e64 v135, v135, 0xffffff8a, vcc_lo
	v_lshl_add_u32 v147, 0x100000, v146, -1
	s_delay_alu instid0(VALU_DEP_3) | instskip(SKIP_1) | instid1(VALU_DEP_4)
	v_lshrrev_b32_e32 v148, v146, v144
	v_lshlrev_b32_e64 v150, v146, 0x80000
	v_add_nc_u32_e32 v146, v146, v135
	s_delay_alu instid0(VALU_DEP_4) | instskip(NEXT) | instid1(VALU_DEP_4)
	v_and_b32_e32 v144, v147, v144
	v_bfe_u32 v149, v148, 20, 1
	s_delay_alu instid0(VALU_DEP_2) | instskip(NEXT) | instid1(VALU_DEP_2)
	v_cmp_eq_u32_e64 s11, v144, v150
	v_add_nc_u32_e32 v147, -1, v149
	s_delay_alu instid0(VALU_DEP_1) | instskip(SKIP_2) | instid1(VALU_DEP_2)
	v_cndmask_b32_e64 v144, 0, v147, s11
	v_lshrrev_b32_e32 v147, 23, v148
	s_mov_b32 s11, exec_lo
	v_add_nc_u32_e32 v144, v144, v148
	s_delay_alu instid0(VALU_DEP_2) | instskip(NEXT) | instid1(VALU_DEP_2)
	v_xor_b32_e32 v147, 1, v147
	v_and_b32_e32 v135, 0xfffff, v144
	s_delay_alu instid0(VALU_DEP_1) | instskip(NEXT) | instid1(VALU_DEP_3)
	v_add_nc_u32_e32 v144, v135, v148
                                        ; implicit-def: $vgpr135
	v_cmpx_ne_u32_e64 v146, v147
	s_xor_b32 s11, exec_lo, s11
; %bb.921:                              ;   in Loop: Header=BB4_143 Depth=2
	s_delay_alu instid0(VALU_DEP_2) | instskip(SKIP_2) | instid1(VALU_DEP_2)
	v_cmp_lt_u32_e32 vcc_lo, 0xffffff, v144
	v_sub_nc_u32_e32 v135, v146, v147
	v_cndmask_b32_e64 v146, 0, 1, vcc_lo
	v_add_co_ci_u32_e32 v135, vcc_lo, 0, v135, vcc_lo
	s_delay_alu instid0(VALU_DEP_2)
	v_lshrrev_b32_e32 v144, v146, v144
; %bb.922:                              ;   in Loop: Header=BB4_143 Depth=2
	s_and_not1_saveexec_b32 s11, s11
; %bb.923:                              ;   in Loop: Header=BB4_143 Depth=2
	s_delay_alu instid0(VALU_DEP_1)
	v_bfe_u32 v135, v144, 23, 1
; %bb.924:                              ;   in Loop: Header=BB4_143 Depth=2
	s_or_b32 exec_lo, exec_lo, s11
	v_lshrrev_b32_e32 v144, 20, v144
	s_delay_alu instid0(VALU_DEP_2) | instskip(SKIP_2) | instid1(VALU_DEP_2)
	v_cmp_gt_i32_e32 vcc_lo, 16, v135
	v_lshrrev_b32_e32 v145, 24, v145
	v_min_i32_e32 v146, 15, v135
	v_dual_cndmask_b32 v144, 7, v144 :: v_dual_and_b32 v145, 0x80, v145
	s_delay_alu instid0(VALU_DEP_1) | instskip(SKIP_1) | instid1(VALU_DEP_2)
	v_or_b32_e32 v135, v135, v144
	v_and_b32_e32 v147, 7, v144
	v_cmp_ne_u32_e32 vcc_lo, 0, v135
	v_lshlrev_b32_e32 v146, 3, v146
	s_delay_alu instid0(VALU_DEP_1) | instskip(NEXT) | instid1(VALU_DEP_1)
	v_or3_b32 v144, v146, v145, v147
	v_cndmask_b32_e32 v135, 0, v144, vcc_lo
.LBB4_925:                              ;   in Loop: Header=BB4_143 Depth=2
	s_or_b32 exec_lo, exec_lo, s27
.LBB4_926:                              ;   in Loop: Header=BB4_143 Depth=2
	s_delay_alu instid0(SALU_CYCLE_1)
	s_or_b32 exec_lo, exec_lo, s26
	v_lshrrev_b32_e32 v145, 24, v16
	v_lshrrev_b32_e32 v144, 24, v12
	s_and_not1_b32 vcc_lo, exec_lo, s25
	s_cbranch_vccnz .LBB4_936
; %bb.927:                              ;   in Loop: Header=BB4_143 Depth=2
	s_mov_b32 s11, 0
	s_mov_b32 s27, exec_lo
                                        ; implicit-def: $sgpr26
	v_cmpx_lt_i16_e64 0x7f, v145
	s_xor_b32 s27, exec_lo, s27
	s_cbranch_execnz .LBB4_1501
; %bb.928:                              ;   in Loop: Header=BB4_143 Depth=2
	s_or_saveexec_b32 s27, s27
	v_mov_b32_e32 v146, s26
	s_xor_b32 exec_lo, exec_lo, s27
	s_cbranch_execnz .LBB4_1504
.LBB4_929:                              ;   in Loop: Header=BB4_143 Depth=2
	s_or_b32 exec_lo, exec_lo, s27
	s_and_saveexec_b32 s26, s11
	s_cbranch_execz .LBB4_931
.LBB4_930:                              ;   in Loop: Header=BB4_143 Depth=2
	v_bfe_u32 v146, v16, 24, 3
	v_bfe_u32 v149, v16, 27, 4
	s_delay_alu instid0(VALU_DEP_2) | instskip(NEXT) | instid1(VALU_DEP_2)
	v_clz_i32_u32_e32 v147, v146
	v_cmp_eq_u32_e32 vcc_lo, 0, v149
	s_delay_alu instid0(VALU_DEP_2) | instskip(NEXT) | instid1(VALU_DEP_1)
	v_min_u32_e32 v147, 32, v147
	v_subrev_nc_u32_e32 v148, 28, v147
	v_sub_nc_u32_e32 v147, 29, v147
	s_delay_alu instid0(VALU_DEP_1) | instskip(NEXT) | instid1(VALU_DEP_1)
	v_dual_cndmask_b32 v147, v149, v147 :: v_dual_lshlrev_b32 v148, v148, v145
	v_and_b32_e32 v148, 7, v148
	s_delay_alu instid0(VALU_DEP_2) | instskip(NEXT) | instid1(VALU_DEP_2)
	v_lshl_add_u32 v147, v147, 23, 0x3b800000
	v_cndmask_b32_e32 v146, v146, v148, vcc_lo
	v_and_b32_e32 v148, 0x80000000, v16
	s_delay_alu instid0(VALU_DEP_2) | instskip(NEXT) | instid1(VALU_DEP_1)
	v_lshlrev_b32_e32 v146, 20, v146
	v_or3_b32 v146, v148, v147, v146
.LBB4_931:                              ;   in Loop: Header=BB4_143 Depth=2
	s_or_b32 exec_lo, exec_lo, s26
	s_mov_b32 s11, 0
	s_mov_b32 s27, exec_lo
                                        ; implicit-def: $sgpr26
	v_cmpx_lt_i16_e64 0x7f, v144
	s_xor_b32 s27, exec_lo, s27
	s_cbranch_execnz .LBB4_1505
; %bb.932:                              ;   in Loop: Header=BB4_143 Depth=2
	s_or_saveexec_b32 s27, s27
	v_mov_b32_e32 v147, s26
	s_xor_b32 exec_lo, exec_lo, s27
	s_cbranch_execnz .LBB4_1508
.LBB4_933:                              ;   in Loop: Header=BB4_143 Depth=2
	s_or_b32 exec_lo, exec_lo, s27
	s_and_saveexec_b32 s26, s11
	s_cbranch_execz .LBB4_935
.LBB4_934:                              ;   in Loop: Header=BB4_143 Depth=2
	v_bfe_u32 v147, v12, 24, 3
	v_bfe_u32 v150, v12, 27, 4
	s_delay_alu instid0(VALU_DEP_2) | instskip(NEXT) | instid1(VALU_DEP_2)
	v_clz_i32_u32_e32 v148, v147
	v_cmp_eq_u32_e32 vcc_lo, 0, v150
	s_delay_alu instid0(VALU_DEP_2) | instskip(NEXT) | instid1(VALU_DEP_1)
	v_min_u32_e32 v148, 32, v148
	v_subrev_nc_u32_e32 v149, 28, v148
	v_sub_nc_u32_e32 v148, 29, v148
	s_delay_alu instid0(VALU_DEP_2) | instskip(NEXT) | instid1(VALU_DEP_1)
	v_lshlrev_b32_e32 v149, v149, v144
	v_dual_cndmask_b32 v148, v150, v148 :: v_dual_and_b32 v149, 7, v149
	s_delay_alu instid0(VALU_DEP_1) | instskip(NEXT) | instid1(VALU_DEP_2)
	v_lshl_add_u32 v148, v148, 23, 0x3b800000
	v_cndmask_b32_e32 v147, v147, v149, vcc_lo
	v_and_b32_e32 v149, 0x80000000, v12
	s_delay_alu instid0(VALU_DEP_2) | instskip(NEXT) | instid1(VALU_DEP_1)
	v_lshlrev_b32_e32 v147, 20, v147
	v_or3_b32 v147, v149, v148, v147
.LBB4_935:                              ;   in Loop: Header=BB4_143 Depth=2
	s_or_b32 exec_lo, exec_lo, s26
	s_delay_alu instid0(VALU_DEP_1) | instskip(SKIP_1) | instid1(VALU_DEP_1)
	v_dual_max_f32 v147, v147, v147 :: v_dual_max_f32 v146, v146, v146
	s_mov_b32 s11, 0
	v_max_f32_e32 v146, v146, v147
	s_branch .LBB4_937
.LBB4_936:                              ;   in Loop: Header=BB4_143 Depth=2
	s_mov_b32 s11, -1
                                        ; implicit-def: $vgpr146
.LBB4_937:                              ;   in Loop: Header=BB4_143 Depth=2
	s_delay_alu instid0(SALU_CYCLE_1)
	s_and_b32 vcc_lo, exec_lo, s11
	s_cbranch_vccz .LBB4_947
; %bb.938:                              ;   in Loop: Header=BB4_143 Depth=2
	s_mov_b32 s11, 0
	s_mov_b32 s27, exec_lo
                                        ; implicit-def: $sgpr26
	v_cmpx_lt_i16_e64 0x7f, v145
	s_xor_b32 s27, exec_lo, s27
	s_cbranch_execnz .LBB4_1509
; %bb.939:                              ;   in Loop: Header=BB4_143 Depth=2
	s_or_saveexec_b32 s27, s27
	v_mov_b32_e32 v146, s26
	s_xor_b32 exec_lo, exec_lo, s27
	s_cbranch_execnz .LBB4_1512
.LBB4_940:                              ;   in Loop: Header=BB4_143 Depth=2
	s_or_b32 exec_lo, exec_lo, s27
	s_and_saveexec_b32 s26, s11
	s_cbranch_execz .LBB4_942
.LBB4_941:                              ;   in Loop: Header=BB4_143 Depth=2
	v_bfe_u32 v146, v16, 24, 3
	s_delay_alu instid0(VALU_DEP_1) | instskip(NEXT) | instid1(VALU_DEP_1)
	v_clz_i32_u32_e32 v147, v146
	v_min_u32_e32 v147, 32, v147
	s_delay_alu instid0(VALU_DEP_1) | instskip(SKIP_1) | instid1(VALU_DEP_2)
	v_subrev_nc_u32_e32 v148, 28, v147
	v_sub_nc_u32_e32 v147, 29, v147
	v_lshlrev_b32_e32 v145, v148, v145
	v_bfe_u32 v148, v16, 27, 4
	v_and_b32_e32 v16, 0x80000000, v16
	s_delay_alu instid0(VALU_DEP_3) | instskip(NEXT) | instid1(VALU_DEP_3)
	v_and_b32_e32 v145, 7, v145
	v_cmp_eq_u32_e32 vcc_lo, 0, v148
	v_cndmask_b32_e32 v147, v148, v147, vcc_lo
	s_delay_alu instid0(VALU_DEP_3) | instskip(NEXT) | instid1(VALU_DEP_2)
	v_cndmask_b32_e32 v145, v146, v145, vcc_lo
	v_lshl_add_u32 v146, v147, 23, 0x3b800000
	s_delay_alu instid0(VALU_DEP_2) | instskip(NEXT) | instid1(VALU_DEP_1)
	v_lshlrev_b32_e32 v145, 20, v145
	v_or3_b32 v146, v16, v146, v145
.LBB4_942:                              ;   in Loop: Header=BB4_143 Depth=2
	s_or_b32 exec_lo, exec_lo, s26
	s_mov_b32 s11, 0
	s_mov_b32 s27, exec_lo
                                        ; implicit-def: $sgpr26
	v_cmpx_lt_i16_e64 0x7f, v144
	s_xor_b32 s27, exec_lo, s27
	s_cbranch_execnz .LBB4_1513
; %bb.943:                              ;   in Loop: Header=BB4_143 Depth=2
	s_or_saveexec_b32 s27, s27
	v_mov_b32_e32 v16, s26
	s_xor_b32 exec_lo, exec_lo, s27
	s_cbranch_execnz .LBB4_1516
.LBB4_944:                              ;   in Loop: Header=BB4_143 Depth=2
	s_or_b32 exec_lo, exec_lo, s27
	s_and_saveexec_b32 s26, s11
	s_cbranch_execz .LBB4_946
.LBB4_945:                              ;   in Loop: Header=BB4_143 Depth=2
	v_bfe_u32 v16, v12, 24, 3
	s_delay_alu instid0(VALU_DEP_1) | instskip(NEXT) | instid1(VALU_DEP_1)
	v_clz_i32_u32_e32 v145, v16
	v_min_u32_e32 v145, 32, v145
	s_delay_alu instid0(VALU_DEP_1) | instskip(SKIP_1) | instid1(VALU_DEP_2)
	v_subrev_nc_u32_e32 v147, 28, v145
	v_sub_nc_u32_e32 v145, 29, v145
	v_lshlrev_b32_e32 v144, v147, v144
	v_bfe_u32 v147, v12, 27, 4
	v_and_b32_e32 v12, 0x80000000, v12
	s_delay_alu instid0(VALU_DEP_2) | instskip(NEXT) | instid1(VALU_DEP_4)
	v_cmp_eq_u32_e32 vcc_lo, 0, v147
	v_dual_cndmask_b32 v145, v147, v145 :: v_dual_and_b32 v144, 7, v144
	s_delay_alu instid0(VALU_DEP_1) | instskip(NEXT) | instid1(VALU_DEP_2)
	v_cndmask_b32_e32 v16, v16, v144, vcc_lo
	v_lshl_add_u32 v144, v145, 23, 0x3b800000
	s_delay_alu instid0(VALU_DEP_2) | instskip(NEXT) | instid1(VALU_DEP_1)
	v_lshlrev_b32_e32 v16, 20, v16
	v_or3_b32 v16, v12, v144, v16
.LBB4_946:                              ;   in Loop: Header=BB4_143 Depth=2
	s_or_b32 exec_lo, exec_lo, s26
	s_delay_alu instid0(VALU_DEP_1) | instskip(SKIP_1) | instid1(VALU_DEP_1)
	v_max_f32_e32 v12, v16, v16
	v_max_f32_e32 v16, v146, v146
	v_min_f32_e32 v146, v16, v12
.LBB4_947:                              ;   in Loop: Header=BB4_143 Depth=2
	s_delay_alu instid0(VALU_DEP_1) | instskip(NEXT) | instid1(VALU_DEP_1)
	v_and_b32_e32 v12, 0x7f800000, v146
	v_cmp_ne_u32_e32 vcc_lo, 0x7f800000, v12
	v_mov_b32_e32 v12, 0x80
	s_and_saveexec_b32 s26, vcc_lo
	s_cbranch_execz .LBB4_955
; %bb.948:                              ;   in Loop: Header=BB4_143 Depth=2
	v_mov_b32_e32 v12, 0
	s_mov_b32 s27, exec_lo
	v_cmpx_ne_u32_e32 0, v146
	s_cbranch_execz .LBB4_954
; %bb.949:                              ;   in Loop: Header=BB4_143 Depth=2
	v_bfe_u32 v12, v146, 23, 8
	v_and_b32_e32 v16, 0x7fffff, v146
	s_delay_alu instid0(VALU_DEP_2) | instskip(SKIP_1) | instid1(VALU_DEP_3)
	v_sub_nc_u32_e32 v144, 0x78, v12
	v_cmp_gt_u32_e32 vcc_lo, 0x79, v12
	v_or_b32_e32 v145, 0x800000, v16
	s_delay_alu instid0(VALU_DEP_3) | instskip(SKIP_2) | instid1(VALU_DEP_3)
	v_cndmask_b32_e32 v144, 0, v144, vcc_lo
	v_cmp_eq_u32_e32 vcc_lo, 0, v12
	v_add_nc_u32_e32 v12, 0xffffff89, v12
	v_cndmask_b32_e64 v144, v144, 0x77, vcc_lo
	v_cndmask_b32_e32 v16, v145, v16, vcc_lo
	s_delay_alu instid0(VALU_DEP_3) | instskip(NEXT) | instid1(VALU_DEP_3)
	v_cndmask_b32_e64 v12, v12, 0xffffff8a, vcc_lo
	v_lshl_add_u32 v145, 0x100000, v144, -1
	s_delay_alu instid0(VALU_DEP_3) | instskip(SKIP_1) | instid1(VALU_DEP_4)
	v_lshrrev_b32_e32 v147, v144, v16
	v_lshlrev_b32_e64 v149, v144, 0x80000
	v_add_nc_u32_e32 v144, v144, v12
	s_delay_alu instid0(VALU_DEP_4) | instskip(NEXT) | instid1(VALU_DEP_4)
	v_and_b32_e32 v16, v145, v16
	v_bfe_u32 v148, v147, 20, 1
	s_delay_alu instid0(VALU_DEP_2) | instskip(NEXT) | instid1(VALU_DEP_2)
	v_cmp_eq_u32_e64 s11, v16, v149
	v_add_nc_u32_e32 v145, -1, v148
	s_delay_alu instid0(VALU_DEP_1) | instskip(SKIP_2) | instid1(VALU_DEP_2)
	v_cndmask_b32_e64 v16, 0, v145, s11
	v_lshrrev_b32_e32 v145, 23, v147
	s_mov_b32 s11, exec_lo
	v_add_nc_u32_e32 v16, v16, v147
	s_delay_alu instid0(VALU_DEP_2) | instskip(NEXT) | instid1(VALU_DEP_2)
	v_xor_b32_e32 v145, 1, v145
	v_and_b32_e32 v12, 0xfffff, v16
	s_delay_alu instid0(VALU_DEP_1) | instskip(NEXT) | instid1(VALU_DEP_3)
	v_add_nc_u32_e32 v16, v12, v147
                                        ; implicit-def: $vgpr12
	v_cmpx_ne_u32_e64 v144, v145
	s_xor_b32 s11, exec_lo, s11
; %bb.950:                              ;   in Loop: Header=BB4_143 Depth=2
	s_delay_alu instid0(VALU_DEP_2) | instskip(SKIP_2) | instid1(VALU_DEP_2)
	v_cmp_lt_u32_e32 vcc_lo, 0xffffff, v16
	v_sub_nc_u32_e32 v12, v144, v145
	v_cndmask_b32_e64 v144, 0, 1, vcc_lo
	v_add_co_ci_u32_e32 v12, vcc_lo, 0, v12, vcc_lo
	s_delay_alu instid0(VALU_DEP_2)
	v_lshrrev_b32_e32 v16, v144, v16
; %bb.951:                              ;   in Loop: Header=BB4_143 Depth=2
	s_and_not1_saveexec_b32 s11, s11
; %bb.952:                              ;   in Loop: Header=BB4_143 Depth=2
	s_delay_alu instid0(VALU_DEP_1)
	v_bfe_u32 v12, v16, 23, 1
; %bb.953:                              ;   in Loop: Header=BB4_143 Depth=2
	s_or_b32 exec_lo, exec_lo, s11
	v_lshrrev_b32_e32 v16, 20, v16
	s_delay_alu instid0(VALU_DEP_2) | instskip(SKIP_2) | instid1(VALU_DEP_4)
	v_cmp_gt_i32_e32 vcc_lo, 16, v12
	v_lshrrev_b32_e32 v144, 24, v146
	v_min_i32_e32 v145, 15, v12
	v_cndmask_b32_e32 v16, 7, v16, vcc_lo
	s_delay_alu instid0(VALU_DEP_3) | instskip(NEXT) | instid1(VALU_DEP_3)
	v_and_b32_e32 v144, 0x80, v144
	v_lshlrev_b32_e32 v145, 3, v145
	s_delay_alu instid0(VALU_DEP_3) | instskip(SKIP_1) | instid1(VALU_DEP_2)
	v_and_b32_e32 v146, 7, v16
	v_or_b32_e32 v12, v12, v16
	v_or3_b32 v16, v145, v144, v146
	s_delay_alu instid0(VALU_DEP_2) | instskip(NEXT) | instid1(VALU_DEP_2)
	v_cmp_ne_u32_e32 vcc_lo, 0, v12
	v_cndmask_b32_e32 v12, 0, v16, vcc_lo
.LBB4_954:                              ;   in Loop: Header=BB4_143 Depth=2
	s_or_b32 exec_lo, exec_lo, s27
.LBB4_955:                              ;   in Loop: Header=BB4_143 Depth=2
	s_delay_alu instid0(SALU_CYCLE_1) | instskip(NEXT) | instid1(SALU_CYCLE_1)
	s_or_b32 exec_lo, exec_lo, s26
	s_and_not1_b32 vcc_lo, exec_lo, s25
	s_cbranch_vccnz .LBB4_965
; %bb.956:                              ;   in Loop: Header=BB4_143 Depth=2
	v_and_b32_e32 v144, 0xff, v17
	s_mov_b32 s11, 0
	s_mov_b32 s27, exec_lo
                                        ; implicit-def: $sgpr26
	s_delay_alu instid0(VALU_DEP_1)
	v_cmpx_lt_i16_e64 0x7f, v144
	s_xor_b32 s27, exec_lo, s27
	s_cbranch_execnz .LBB4_1517
; %bb.957:                              ;   in Loop: Header=BB4_143 Depth=2
	s_or_saveexec_b32 s27, s27
	v_mov_b32_e32 v16, s26
	s_xor_b32 exec_lo, exec_lo, s27
	s_cbranch_execnz .LBB4_1520
.LBB4_958:                              ;   in Loop: Header=BB4_143 Depth=2
	s_or_b32 exec_lo, exec_lo, s27
	s_and_saveexec_b32 s26, s11
	s_cbranch_execz .LBB4_960
.LBB4_959:                              ;   in Loop: Header=BB4_143 Depth=2
	v_and_b32_e32 v16, 7, v17
	v_bfe_u32 v146, v17, 3, 4
	v_lshlrev_b32_e32 v147, 24, v17
	s_delay_alu instid0(VALU_DEP_3) | instskip(NEXT) | instid1(VALU_DEP_3)
	v_clz_i32_u32_e32 v144, v16
	v_cmp_eq_u32_e32 vcc_lo, 0, v146
	s_delay_alu instid0(VALU_DEP_2) | instskip(NEXT) | instid1(VALU_DEP_1)
	v_min_u32_e32 v144, 32, v144
	v_subrev_nc_u32_e32 v145, 28, v144
	v_sub_nc_u32_e32 v144, 29, v144
	s_delay_alu instid0(VALU_DEP_1) | instskip(NEXT) | instid1(VALU_DEP_1)
	v_dual_cndmask_b32 v144, v146, v144 :: v_dual_lshlrev_b32 v145, v145, v17
	v_and_b32_e32 v145, 7, v145
	s_delay_alu instid0(VALU_DEP_2) | instskip(NEXT) | instid1(VALU_DEP_2)
	v_lshl_add_u32 v144, v144, 23, 0x3b800000
	v_dual_cndmask_b32 v16, v16, v145 :: v_dual_and_b32 v145, 0x80000000, v147
	s_delay_alu instid0(VALU_DEP_1) | instskip(NEXT) | instid1(VALU_DEP_1)
	v_lshlrev_b32_e32 v16, 20, v16
	v_or3_b32 v16, v145, v144, v16
.LBB4_960:                              ;   in Loop: Header=BB4_143 Depth=2
	s_or_b32 exec_lo, exec_lo, s26
	v_and_b32_e32 v145, 0xff, v13
	s_mov_b32 s11, 0
	s_mov_b32 s27, exec_lo
                                        ; implicit-def: $sgpr26
	s_delay_alu instid0(VALU_DEP_1)
	v_cmpx_lt_i16_e64 0x7f, v145
	s_xor_b32 s27, exec_lo, s27
	s_cbranch_execnz .LBB4_1521
; %bb.961:                              ;   in Loop: Header=BB4_143 Depth=2
	s_or_saveexec_b32 s27, s27
	v_mov_b32_e32 v144, s26
	s_xor_b32 exec_lo, exec_lo, s27
	s_cbranch_execnz .LBB4_1524
.LBB4_962:                              ;   in Loop: Header=BB4_143 Depth=2
	s_or_b32 exec_lo, exec_lo, s27
	s_and_saveexec_b32 s26, s11
	s_cbranch_execz .LBB4_964
.LBB4_963:                              ;   in Loop: Header=BB4_143 Depth=2
	v_and_b32_e32 v144, 7, v13
	v_bfe_u32 v147, v13, 3, 4
	v_lshlrev_b32_e32 v148, 24, v13
	s_delay_alu instid0(VALU_DEP_3) | instskip(NEXT) | instid1(VALU_DEP_3)
	v_clz_i32_u32_e32 v145, v144
	v_cmp_eq_u32_e32 vcc_lo, 0, v147
	s_delay_alu instid0(VALU_DEP_2) | instskip(NEXT) | instid1(VALU_DEP_1)
	v_min_u32_e32 v145, 32, v145
	v_subrev_nc_u32_e32 v146, 28, v145
	v_sub_nc_u32_e32 v145, 29, v145
	s_delay_alu instid0(VALU_DEP_2) | instskip(NEXT) | instid1(VALU_DEP_1)
	v_lshlrev_b32_e32 v146, v146, v13
	v_dual_cndmask_b32 v145, v147, v145 :: v_dual_and_b32 v146, 7, v146
	s_delay_alu instid0(VALU_DEP_1) | instskip(NEXT) | instid1(VALU_DEP_2)
	v_lshl_add_u32 v145, v145, 23, 0x3b800000
	v_cndmask_b32_e32 v144, v144, v146, vcc_lo
	v_and_b32_e32 v146, 0x80000000, v148
	s_delay_alu instid0(VALU_DEP_2) | instskip(NEXT) | instid1(VALU_DEP_1)
	v_lshlrev_b32_e32 v144, 20, v144
	v_or3_b32 v144, v146, v145, v144
.LBB4_964:                              ;   in Loop: Header=BB4_143 Depth=2
	s_or_b32 exec_lo, exec_lo, s26
	s_delay_alu instid0(VALU_DEP_1) | instskip(SKIP_2) | instid1(VALU_DEP_1)
	v_max_f32_e32 v144, v144, v144
	v_max_f32_e32 v16, v16, v16
	s_mov_b32 s11, 0
	v_max_f32_e32 v144, v16, v144
	s_branch .LBB4_966
.LBB4_965:                              ;   in Loop: Header=BB4_143 Depth=2
	s_mov_b32 s11, -1
                                        ; implicit-def: $vgpr144
.LBB4_966:                              ;   in Loop: Header=BB4_143 Depth=2
	s_delay_alu instid0(SALU_CYCLE_1)
	s_and_b32 vcc_lo, exec_lo, s11
	s_cbranch_vccz .LBB4_976
; %bb.967:                              ;   in Loop: Header=BB4_143 Depth=2
	v_and_b32_e32 v144, 0xff, v17
	s_mov_b32 s11, 0
	s_mov_b32 s27, exec_lo
                                        ; implicit-def: $sgpr26
	s_delay_alu instid0(VALU_DEP_1)
	v_cmpx_lt_i16_e64 0x7f, v144
	s_xor_b32 s27, exec_lo, s27
	s_cbranch_execnz .LBB4_1525
; %bb.968:                              ;   in Loop: Header=BB4_143 Depth=2
	s_or_saveexec_b32 s27, s27
	v_mov_b32_e32 v16, s26
	s_xor_b32 exec_lo, exec_lo, s27
	s_cbranch_execnz .LBB4_1528
.LBB4_969:                              ;   in Loop: Header=BB4_143 Depth=2
	s_or_b32 exec_lo, exec_lo, s27
	s_and_saveexec_b32 s26, s11
	s_cbranch_execz .LBB4_971
.LBB4_970:                              ;   in Loop: Header=BB4_143 Depth=2
	v_and_b32_e32 v16, 7, v17
	v_bfe_u32 v146, v17, 3, 4
	v_lshlrev_b32_e32 v147, 24, v17
	s_delay_alu instid0(VALU_DEP_3) | instskip(NEXT) | instid1(VALU_DEP_3)
	v_clz_i32_u32_e32 v144, v16
	v_cmp_eq_u32_e32 vcc_lo, 0, v146
	s_delay_alu instid0(VALU_DEP_2) | instskip(NEXT) | instid1(VALU_DEP_1)
	v_min_u32_e32 v144, 32, v144
	v_subrev_nc_u32_e32 v145, 28, v144
	v_sub_nc_u32_e32 v144, 29, v144
	s_delay_alu instid0(VALU_DEP_1) | instskip(NEXT) | instid1(VALU_DEP_1)
	v_dual_cndmask_b32 v144, v146, v144 :: v_dual_lshlrev_b32 v145, v145, v17
	v_and_b32_e32 v145, 7, v145
	s_delay_alu instid0(VALU_DEP_2) | instskip(NEXT) | instid1(VALU_DEP_2)
	v_lshl_add_u32 v144, v144, 23, 0x3b800000
	v_dual_cndmask_b32 v16, v16, v145 :: v_dual_and_b32 v145, 0x80000000, v147
	s_delay_alu instid0(VALU_DEP_1) | instskip(NEXT) | instid1(VALU_DEP_1)
	v_lshlrev_b32_e32 v16, 20, v16
	v_or3_b32 v16, v145, v144, v16
.LBB4_971:                              ;   in Loop: Header=BB4_143 Depth=2
	s_or_b32 exec_lo, exec_lo, s26
	v_and_b32_e32 v145, 0xff, v13
	s_mov_b32 s11, 0
	s_mov_b32 s27, exec_lo
                                        ; implicit-def: $sgpr26
	s_delay_alu instid0(VALU_DEP_1)
	v_cmpx_lt_i16_e64 0x7f, v145
	s_xor_b32 s27, exec_lo, s27
	s_cbranch_execnz .LBB4_1529
; %bb.972:                              ;   in Loop: Header=BB4_143 Depth=2
	s_or_saveexec_b32 s27, s27
	v_mov_b32_e32 v144, s26
	s_xor_b32 exec_lo, exec_lo, s27
	s_cbranch_execnz .LBB4_1532
.LBB4_973:                              ;   in Loop: Header=BB4_143 Depth=2
	s_or_b32 exec_lo, exec_lo, s27
	s_and_saveexec_b32 s26, s11
	s_cbranch_execz .LBB4_975
.LBB4_974:                              ;   in Loop: Header=BB4_143 Depth=2
	v_and_b32_e32 v144, 7, v13
	v_bfe_u32 v147, v13, 3, 4
	v_lshlrev_b32_e32 v148, 24, v13
	s_delay_alu instid0(VALU_DEP_3) | instskip(NEXT) | instid1(VALU_DEP_3)
	v_clz_i32_u32_e32 v145, v144
	v_cmp_eq_u32_e32 vcc_lo, 0, v147
	s_delay_alu instid0(VALU_DEP_2) | instskip(NEXT) | instid1(VALU_DEP_1)
	v_min_u32_e32 v145, 32, v145
	v_subrev_nc_u32_e32 v146, 28, v145
	v_sub_nc_u32_e32 v145, 29, v145
	s_delay_alu instid0(VALU_DEP_2) | instskip(NEXT) | instid1(VALU_DEP_1)
	v_lshlrev_b32_e32 v146, v146, v13
	v_dual_cndmask_b32 v145, v147, v145 :: v_dual_and_b32 v146, 7, v146
	s_delay_alu instid0(VALU_DEP_1) | instskip(NEXT) | instid1(VALU_DEP_2)
	v_lshl_add_u32 v145, v145, 23, 0x3b800000
	v_cndmask_b32_e32 v144, v144, v146, vcc_lo
	v_and_b32_e32 v146, 0x80000000, v148
	s_delay_alu instid0(VALU_DEP_2) | instskip(NEXT) | instid1(VALU_DEP_1)
	v_lshlrev_b32_e32 v144, 20, v144
	v_or3_b32 v144, v146, v145, v144
.LBB4_975:                              ;   in Loop: Header=BB4_143 Depth=2
	s_or_b32 exec_lo, exec_lo, s26
	s_delay_alu instid0(VALU_DEP_1) | instskip(SKIP_1) | instid1(VALU_DEP_1)
	v_max_f32_e32 v144, v144, v144
	v_max_f32_e32 v16, v16, v16
	v_min_f32_e32 v144, v16, v144
.LBB4_976:                              ;   in Loop: Header=BB4_143 Depth=2
	s_delay_alu instid0(VALU_DEP_1) | instskip(NEXT) | instid1(VALU_DEP_1)
	v_and_b32_e32 v16, 0x7f800000, v144
	v_cmp_ne_u32_e32 vcc_lo, 0x7f800000, v16
	v_mov_b32_e32 v16, 0x80
	s_and_saveexec_b32 s26, vcc_lo
	s_cbranch_execz .LBB4_984
; %bb.977:                              ;   in Loop: Header=BB4_143 Depth=2
	v_mov_b32_e32 v16, 0
	s_mov_b32 s27, exec_lo
	v_cmpx_ne_u32_e32 0, v144
	s_cbranch_execz .LBB4_983
; %bb.978:                              ;   in Loop: Header=BB4_143 Depth=2
	v_bfe_u32 v16, v144, 23, 8
	s_delay_alu instid0(VALU_DEP_1) | instskip(SKIP_1) | instid1(VALU_DEP_2)
	v_sub_nc_u32_e32 v146, 0x78, v16
	v_cmp_gt_u32_e32 vcc_lo, 0x79, v16
	v_dual_cndmask_b32 v146, 0, v146 :: v_dual_and_b32 v145, 0x7fffff, v144
	s_delay_alu instid0(VALU_DEP_1) | instskip(SKIP_2) | instid1(VALU_DEP_4)
	v_or_b32_e32 v147, 0x800000, v145
	v_cmp_eq_u32_e32 vcc_lo, 0, v16
	v_add_nc_u32_e32 v16, 0xffffff89, v16
	v_cndmask_b32_e64 v146, v146, 0x77, vcc_lo
	s_delay_alu instid0(VALU_DEP_4) | instskip(NEXT) | instid1(VALU_DEP_3)
	v_cndmask_b32_e32 v145, v147, v145, vcc_lo
	v_cndmask_b32_e64 v16, v16, 0xffffff8a, vcc_lo
	s_delay_alu instid0(VALU_DEP_3) | instskip(NEXT) | instid1(VALU_DEP_3)
	v_lshl_add_u32 v147, 0x100000, v146, -1
	v_lshrrev_b32_e32 v148, v146, v145
	v_lshlrev_b32_e64 v150, v146, 0x80000
	s_delay_alu instid0(VALU_DEP_4) | instskip(NEXT) | instid1(VALU_DEP_4)
	v_add_nc_u32_e32 v146, v146, v16
	v_and_b32_e32 v145, v147, v145
	s_delay_alu instid0(VALU_DEP_4) | instskip(NEXT) | instid1(VALU_DEP_2)
	v_bfe_u32 v149, v148, 20, 1
	v_cmp_eq_u32_e64 s11, v145, v150
	s_delay_alu instid0(VALU_DEP_2) | instskip(NEXT) | instid1(VALU_DEP_1)
	v_add_nc_u32_e32 v147, -1, v149
	v_cndmask_b32_e64 v145, 0, v147, s11
	v_lshrrev_b32_e32 v147, 23, v148
	s_mov_b32 s11, exec_lo
	s_delay_alu instid0(VALU_DEP_2) | instskip(NEXT) | instid1(VALU_DEP_2)
	v_add_nc_u32_e32 v145, v145, v148
	v_xor_b32_e32 v147, 1, v147
	s_delay_alu instid0(VALU_DEP_2) | instskip(NEXT) | instid1(VALU_DEP_1)
	v_and_b32_e32 v16, 0xfffff, v145
	v_add_nc_u32_e32 v145, v16, v148
                                        ; implicit-def: $vgpr16
	s_delay_alu instid0(VALU_DEP_3)
	v_cmpx_ne_u32_e64 v146, v147
	s_xor_b32 s11, exec_lo, s11
; %bb.979:                              ;   in Loop: Header=BB4_143 Depth=2
	s_delay_alu instid0(VALU_DEP_2) | instskip(SKIP_2) | instid1(VALU_DEP_2)
	v_cmp_lt_u32_e32 vcc_lo, 0xffffff, v145
	v_sub_nc_u32_e32 v16, v146, v147
	v_cndmask_b32_e64 v146, 0, 1, vcc_lo
	v_add_co_ci_u32_e32 v16, vcc_lo, 0, v16, vcc_lo
	s_delay_alu instid0(VALU_DEP_2)
	v_lshrrev_b32_e32 v145, v146, v145
; %bb.980:                              ;   in Loop: Header=BB4_143 Depth=2
	s_and_not1_saveexec_b32 s11, s11
; %bb.981:                              ;   in Loop: Header=BB4_143 Depth=2
	s_delay_alu instid0(VALU_DEP_1)
	v_bfe_u32 v16, v145, 23, 1
; %bb.982:                              ;   in Loop: Header=BB4_143 Depth=2
	s_or_b32 exec_lo, exec_lo, s11
	v_lshrrev_b32_e32 v145, 20, v145
	s_delay_alu instid0(VALU_DEP_2) | instskip(SKIP_2) | instid1(VALU_DEP_2)
	v_cmp_gt_i32_e32 vcc_lo, 16, v16
	v_lshrrev_b32_e32 v144, 24, v144
	v_min_i32_e32 v146, 15, v16
	v_dual_cndmask_b32 v145, 7, v145 :: v_dual_and_b32 v144, 0x80, v144
	s_delay_alu instid0(VALU_DEP_2) | instskip(NEXT) | instid1(VALU_DEP_2)
	v_lshlrev_b32_e32 v146, 3, v146
	v_or_b32_e32 v16, v16, v145
	s_delay_alu instid0(VALU_DEP_1) | instskip(SKIP_1) | instid1(VALU_DEP_1)
	v_cmp_ne_u32_e32 vcc_lo, 0, v16
	v_and_b32_e32 v147, 7, v145
	v_or3_b32 v144, v146, v144, v147
	s_delay_alu instid0(VALU_DEP_1)
	v_cndmask_b32_e32 v16, 0, v144, vcc_lo
.LBB4_983:                              ;   in Loop: Header=BB4_143 Depth=2
	s_or_b32 exec_lo, exec_lo, s27
.LBB4_984:                              ;   in Loop: Header=BB4_143 Depth=2
	s_delay_alu instid0(SALU_CYCLE_1)
	s_or_b32 exec_lo, exec_lo, s26
	v_lshrrev_b16 v145, 8, v17
	v_lshrrev_b16 v144, 8, v13
	s_and_not1_b32 vcc_lo, exec_lo, s25
	s_cbranch_vccnz .LBB4_994
; %bb.985:                              ;   in Loop: Header=BB4_143 Depth=2
	s_mov_b32 s11, 0
	s_mov_b32 s27, exec_lo
                                        ; implicit-def: $sgpr26
	v_cmpx_lt_i16_e64 0x7f, v145
	s_xor_b32 s27, exec_lo, s27
	s_cbranch_execnz .LBB4_1533
; %bb.986:                              ;   in Loop: Header=BB4_143 Depth=2
	s_or_saveexec_b32 s27, s27
	v_mov_b32_e32 v146, s26
	s_xor_b32 exec_lo, exec_lo, s27
	s_cbranch_execnz .LBB4_1536
.LBB4_987:                              ;   in Loop: Header=BB4_143 Depth=2
	s_or_b32 exec_lo, exec_lo, s27
	s_and_saveexec_b32 s26, s11
	s_cbranch_execz .LBB4_989
.LBB4_988:                              ;   in Loop: Header=BB4_143 Depth=2
	v_and_b32_e32 v146, 0xffff, v145
	v_lshlrev_b32_e32 v150, 16, v17
	s_delay_alu instid0(VALU_DEP_2) | instskip(NEXT) | instid1(VALU_DEP_1)
	v_and_b32_e32 v147, 7, v146
	v_clz_i32_u32_e32 v148, v147
	s_delay_alu instid0(VALU_DEP_1) | instskip(NEXT) | instid1(VALU_DEP_1)
	v_min_u32_e32 v148, 32, v148
	v_subrev_nc_u32_e32 v149, 28, v148
	v_sub_nc_u32_e32 v148, 29, v148
	s_delay_alu instid0(VALU_DEP_2) | instskip(SKIP_1) | instid1(VALU_DEP_2)
	v_lshlrev_b32_e32 v149, v149, v146
	v_bfe_u32 v146, v146, 3, 4
	v_and_b32_e32 v149, 7, v149
	s_delay_alu instid0(VALU_DEP_2) | instskip(NEXT) | instid1(VALU_DEP_2)
	v_cmp_eq_u32_e32 vcc_lo, 0, v146
	v_dual_cndmask_b32 v146, v146, v148 :: v_dual_cndmask_b32 v147, v147, v149
	v_and_b32_e32 v148, 0x80000000, v150
	s_delay_alu instid0(VALU_DEP_2) | instskip(NEXT) | instid1(VALU_DEP_3)
	v_lshl_add_u32 v146, v146, 23, 0x3b800000
	v_lshlrev_b32_e32 v147, 20, v147
	s_delay_alu instid0(VALU_DEP_1)
	v_or3_b32 v146, v148, v146, v147
.LBB4_989:                              ;   in Loop: Header=BB4_143 Depth=2
	s_or_b32 exec_lo, exec_lo, s26
	s_mov_b32 s11, 0
	s_mov_b32 s27, exec_lo
                                        ; implicit-def: $sgpr26
	v_cmpx_lt_i16_e64 0x7f, v144
	s_xor_b32 s27, exec_lo, s27
	s_cbranch_execnz .LBB4_1537
; %bb.990:                              ;   in Loop: Header=BB4_143 Depth=2
	s_or_saveexec_b32 s27, s27
	v_mov_b32_e32 v147, s26
	s_xor_b32 exec_lo, exec_lo, s27
	s_cbranch_execnz .LBB4_1540
.LBB4_991:                              ;   in Loop: Header=BB4_143 Depth=2
	s_or_b32 exec_lo, exec_lo, s27
	s_and_saveexec_b32 s26, s11
	s_cbranch_execz .LBB4_993
.LBB4_992:                              ;   in Loop: Header=BB4_143 Depth=2
	v_and_b32_e32 v147, 0xffff, v144
	v_lshlrev_b32_e32 v151, 16, v13
	s_delay_alu instid0(VALU_DEP_2) | instskip(NEXT) | instid1(VALU_DEP_1)
	v_and_b32_e32 v148, 7, v147
	v_clz_i32_u32_e32 v149, v148
	s_delay_alu instid0(VALU_DEP_1) | instskip(NEXT) | instid1(VALU_DEP_1)
	v_min_u32_e32 v149, 32, v149
	v_subrev_nc_u32_e32 v150, 28, v149
	v_sub_nc_u32_e32 v149, 29, v149
	s_delay_alu instid0(VALU_DEP_2) | instskip(SKIP_1) | instid1(VALU_DEP_2)
	v_lshlrev_b32_e32 v150, v150, v147
	v_bfe_u32 v147, v147, 3, 4
	v_and_b32_e32 v150, 7, v150
	s_delay_alu instid0(VALU_DEP_2) | instskip(NEXT) | instid1(VALU_DEP_2)
	v_cmp_eq_u32_e32 vcc_lo, 0, v147
	v_dual_cndmask_b32 v147, v147, v149 :: v_dual_cndmask_b32 v148, v148, v150
	v_and_b32_e32 v149, 0x80000000, v151
	s_delay_alu instid0(VALU_DEP_2) | instskip(NEXT) | instid1(VALU_DEP_3)
	v_lshl_add_u32 v147, v147, 23, 0x3b800000
	v_lshlrev_b32_e32 v148, 20, v148
	s_delay_alu instid0(VALU_DEP_1)
	v_or3_b32 v147, v149, v147, v148
.LBB4_993:                              ;   in Loop: Header=BB4_143 Depth=2
	s_or_b32 exec_lo, exec_lo, s26
	s_delay_alu instid0(VALU_DEP_1) | instskip(SKIP_1) | instid1(VALU_DEP_1)
	v_dual_max_f32 v147, v147, v147 :: v_dual_max_f32 v146, v146, v146
	s_mov_b32 s11, 0
	v_max_f32_e32 v146, v146, v147
	s_branch .LBB4_995
.LBB4_994:                              ;   in Loop: Header=BB4_143 Depth=2
	s_mov_b32 s11, -1
                                        ; implicit-def: $vgpr146
.LBB4_995:                              ;   in Loop: Header=BB4_143 Depth=2
	s_delay_alu instid0(SALU_CYCLE_1)
	s_and_b32 vcc_lo, exec_lo, s11
	s_cbranch_vccz .LBB4_1005
; %bb.996:                              ;   in Loop: Header=BB4_143 Depth=2
	s_mov_b32 s11, 0
	s_mov_b32 s27, exec_lo
                                        ; implicit-def: $sgpr26
	v_cmpx_lt_i16_e64 0x7f, v145
	s_xor_b32 s27, exec_lo, s27
	s_cbranch_execnz .LBB4_1541
; %bb.997:                              ;   in Loop: Header=BB4_143 Depth=2
	s_or_saveexec_b32 s27, s27
	v_mov_b32_e32 v146, s26
	s_xor_b32 exec_lo, exec_lo, s27
	s_cbranch_execnz .LBB4_1544
.LBB4_998:                              ;   in Loop: Header=BB4_143 Depth=2
	s_or_b32 exec_lo, exec_lo, s27
	s_and_saveexec_b32 s26, s11
	s_cbranch_execz .LBB4_1000
.LBB4_999:                              ;   in Loop: Header=BB4_143 Depth=2
	v_and_b32_e32 v145, 0xffff, v145
	v_lshlrev_b32_e32 v149, 16, v17
	s_delay_alu instid0(VALU_DEP_2) | instskip(NEXT) | instid1(VALU_DEP_1)
	v_and_b32_e32 v146, 7, v145
	v_clz_i32_u32_e32 v147, v146
	s_delay_alu instid0(VALU_DEP_1) | instskip(NEXT) | instid1(VALU_DEP_1)
	v_min_u32_e32 v147, 32, v147
	v_subrev_nc_u32_e32 v148, 28, v147
	v_sub_nc_u32_e32 v147, 29, v147
	s_delay_alu instid0(VALU_DEP_2) | instskip(SKIP_1) | instid1(VALU_DEP_2)
	v_lshlrev_b32_e32 v148, v148, v145
	v_bfe_u32 v145, v145, 3, 4
	v_and_b32_e32 v148, 7, v148
	s_delay_alu instid0(VALU_DEP_2) | instskip(NEXT) | instid1(VALU_DEP_2)
	v_cmp_eq_u32_e32 vcc_lo, 0, v145
	v_dual_cndmask_b32 v145, v145, v147 :: v_dual_cndmask_b32 v146, v146, v148
	v_and_b32_e32 v147, 0x80000000, v149
	s_delay_alu instid0(VALU_DEP_2) | instskip(NEXT) | instid1(VALU_DEP_3)
	v_lshl_add_u32 v145, v145, 23, 0x3b800000
	v_lshlrev_b32_e32 v146, 20, v146
	s_delay_alu instid0(VALU_DEP_1)
	v_or3_b32 v146, v147, v145, v146
.LBB4_1000:                             ;   in Loop: Header=BB4_143 Depth=2
	s_or_b32 exec_lo, exec_lo, s26
	s_mov_b32 s11, 0
	s_mov_b32 s27, exec_lo
                                        ; implicit-def: $sgpr26
	v_cmpx_lt_i16_e64 0x7f, v144
	s_xor_b32 s27, exec_lo, s27
	s_cbranch_execnz .LBB4_1545
; %bb.1001:                             ;   in Loop: Header=BB4_143 Depth=2
	s_or_saveexec_b32 s27, s27
	v_mov_b32_e32 v145, s26
	s_xor_b32 exec_lo, exec_lo, s27
	s_cbranch_execnz .LBB4_1548
.LBB4_1002:                             ;   in Loop: Header=BB4_143 Depth=2
	s_or_b32 exec_lo, exec_lo, s27
	s_and_saveexec_b32 s26, s11
	s_cbranch_execz .LBB4_1004
.LBB4_1003:                             ;   in Loop: Header=BB4_143 Depth=2
	v_and_b32_e32 v144, 0xffff, v144
	v_lshlrev_b32_e32 v149, 16, v13
	s_delay_alu instid0(VALU_DEP_2) | instskip(NEXT) | instid1(VALU_DEP_1)
	v_and_b32_e32 v145, 7, v144
	v_clz_i32_u32_e32 v147, v145
	s_delay_alu instid0(VALU_DEP_1) | instskip(NEXT) | instid1(VALU_DEP_1)
	v_min_u32_e32 v147, 32, v147
	v_subrev_nc_u32_e32 v148, 28, v147
	v_sub_nc_u32_e32 v147, 29, v147
	s_delay_alu instid0(VALU_DEP_2) | instskip(SKIP_1) | instid1(VALU_DEP_2)
	v_lshlrev_b32_e32 v148, v148, v144
	v_bfe_u32 v144, v144, 3, 4
	v_and_b32_e32 v148, 7, v148
	s_delay_alu instid0(VALU_DEP_2) | instskip(NEXT) | instid1(VALU_DEP_2)
	v_cmp_eq_u32_e32 vcc_lo, 0, v144
	v_dual_cndmask_b32 v144, v144, v147 :: v_dual_cndmask_b32 v145, v145, v148
	v_and_b32_e32 v147, 0x80000000, v149
	s_delay_alu instid0(VALU_DEP_2) | instskip(NEXT) | instid1(VALU_DEP_3)
	v_lshl_add_u32 v144, v144, 23, 0x3b800000
	v_lshlrev_b32_e32 v145, 20, v145
	s_delay_alu instid0(VALU_DEP_1)
	v_or3_b32 v145, v147, v144, v145
.LBB4_1004:                             ;   in Loop: Header=BB4_143 Depth=2
	s_or_b32 exec_lo, exec_lo, s26
	s_delay_alu instid0(VALU_DEP_1) | instskip(NEXT) | instid1(VALU_DEP_1)
	v_dual_max_f32 v144, v145, v145 :: v_dual_max_f32 v145, v146, v146
	v_min_f32_e32 v146, v145, v144
.LBB4_1005:                             ;   in Loop: Header=BB4_143 Depth=2
	s_delay_alu instid0(VALU_DEP_1) | instskip(NEXT) | instid1(VALU_DEP_1)
	v_and_b32_e32 v144, 0x7f800000, v146
	v_cmp_ne_u32_e32 vcc_lo, 0x7f800000, v144
	v_mov_b32_e32 v144, 0x80
	s_and_saveexec_b32 s26, vcc_lo
	s_cbranch_execz .LBB4_1013
; %bb.1006:                             ;   in Loop: Header=BB4_143 Depth=2
	v_mov_b32_e32 v144, 0
	s_mov_b32 s27, exec_lo
	v_cmpx_ne_u32_e32 0, v146
	s_cbranch_execz .LBB4_1012
; %bb.1007:                             ;   in Loop: Header=BB4_143 Depth=2
	v_bfe_u32 v144, v146, 23, 8
	v_and_b32_e32 v145, 0x7fffff, v146
	s_delay_alu instid0(VALU_DEP_2) | instskip(SKIP_1) | instid1(VALU_DEP_3)
	v_sub_nc_u32_e32 v147, 0x78, v144
	v_cmp_gt_u32_e32 vcc_lo, 0x79, v144
	v_or_b32_e32 v148, 0x800000, v145
	s_delay_alu instid0(VALU_DEP_3) | instskip(SKIP_2) | instid1(VALU_DEP_3)
	v_cndmask_b32_e32 v147, 0, v147, vcc_lo
	v_cmp_eq_u32_e32 vcc_lo, 0, v144
	v_add_nc_u32_e32 v144, 0xffffff89, v144
	v_cndmask_b32_e64 v147, v147, 0x77, vcc_lo
	v_cndmask_b32_e32 v145, v148, v145, vcc_lo
	s_delay_alu instid0(VALU_DEP_3) | instskip(NEXT) | instid1(VALU_DEP_3)
	v_cndmask_b32_e64 v144, v144, 0xffffff8a, vcc_lo
	v_lshl_add_u32 v148, 0x100000, v147, -1
	s_delay_alu instid0(VALU_DEP_3) | instskip(SKIP_1) | instid1(VALU_DEP_4)
	v_lshrrev_b32_e32 v149, v147, v145
	v_lshlrev_b32_e64 v151, v147, 0x80000
	v_add_nc_u32_e32 v147, v147, v144
	s_delay_alu instid0(VALU_DEP_4) | instskip(NEXT) | instid1(VALU_DEP_4)
	v_and_b32_e32 v145, v148, v145
	v_bfe_u32 v150, v149, 20, 1
	s_delay_alu instid0(VALU_DEP_2) | instskip(NEXT) | instid1(VALU_DEP_2)
	v_cmp_eq_u32_e64 s11, v145, v151
	v_add_nc_u32_e32 v148, -1, v150
	s_delay_alu instid0(VALU_DEP_1) | instskip(SKIP_2) | instid1(VALU_DEP_2)
	v_cndmask_b32_e64 v145, 0, v148, s11
	v_lshrrev_b32_e32 v148, 23, v149
	s_mov_b32 s11, exec_lo
	v_add_nc_u32_e32 v145, v145, v149
	s_delay_alu instid0(VALU_DEP_2) | instskip(NEXT) | instid1(VALU_DEP_2)
	v_xor_b32_e32 v148, 1, v148
	v_and_b32_e32 v144, 0xfffff, v145
	s_delay_alu instid0(VALU_DEP_1) | instskip(NEXT) | instid1(VALU_DEP_3)
	v_add_nc_u32_e32 v145, v144, v149
                                        ; implicit-def: $vgpr144
	v_cmpx_ne_u32_e64 v147, v148
	s_xor_b32 s11, exec_lo, s11
; %bb.1008:                             ;   in Loop: Header=BB4_143 Depth=2
	s_delay_alu instid0(VALU_DEP_2) | instskip(SKIP_2) | instid1(VALU_DEP_2)
	v_cmp_lt_u32_e32 vcc_lo, 0xffffff, v145
	v_sub_nc_u32_e32 v144, v147, v148
	v_cndmask_b32_e64 v147, 0, 1, vcc_lo
	v_add_co_ci_u32_e32 v144, vcc_lo, 0, v144, vcc_lo
	s_delay_alu instid0(VALU_DEP_2)
	v_lshrrev_b32_e32 v145, v147, v145
; %bb.1009:                             ;   in Loop: Header=BB4_143 Depth=2
	s_and_not1_saveexec_b32 s11, s11
; %bb.1010:                             ;   in Loop: Header=BB4_143 Depth=2
	s_delay_alu instid0(VALU_DEP_1)
	v_bfe_u32 v144, v145, 23, 1
; %bb.1011:                             ;   in Loop: Header=BB4_143 Depth=2
	s_or_b32 exec_lo, exec_lo, s11
	v_lshrrev_b32_e32 v145, 20, v145
	s_delay_alu instid0(VALU_DEP_2) | instskip(SKIP_2) | instid1(VALU_DEP_2)
	v_cmp_gt_i32_e32 vcc_lo, 16, v144
	v_lshrrev_b32_e32 v146, 24, v146
	v_min_i32_e32 v147, 15, v144
	v_dual_cndmask_b32 v145, 7, v145 :: v_dual_and_b32 v146, 0x80, v146
	s_delay_alu instid0(VALU_DEP_1) | instskip(SKIP_1) | instid1(VALU_DEP_2)
	v_or_b32_e32 v144, v144, v145
	v_and_b32_e32 v148, 7, v145
	v_cmp_ne_u32_e32 vcc_lo, 0, v144
	v_lshlrev_b32_e32 v147, 3, v147
	s_delay_alu instid0(VALU_DEP_1) | instskip(NEXT) | instid1(VALU_DEP_1)
	v_or3_b32 v145, v147, v146, v148
	v_cndmask_b32_e32 v144, 0, v145, vcc_lo
.LBB4_1012:                             ;   in Loop: Header=BB4_143 Depth=2
	s_or_b32 exec_lo, exec_lo, s27
.LBB4_1013:                             ;   in Loop: Header=BB4_143 Depth=2
	s_delay_alu instid0(SALU_CYCLE_1)
	s_or_b32 exec_lo, exec_lo, s26
	v_lshrrev_b32_e32 v146, 16, v17
	v_lshrrev_b32_e32 v145, 16, v13
	s_and_not1_b32 vcc_lo, exec_lo, s25
	s_cbranch_vccnz .LBB4_1023
; %bb.1014:                             ;   in Loop: Header=BB4_143 Depth=2
	s_delay_alu instid0(VALU_DEP_2) | instskip(SKIP_2) | instid1(VALU_DEP_1)
	v_and_b32_e32 v148, 0xff, v146
	s_mov_b32 s11, 0
	s_mov_b32 s27, exec_lo
                                        ; implicit-def: $sgpr26
	v_cmpx_lt_i16_e64 0x7f, v148
	s_xor_b32 s27, exec_lo, s27
	s_cbranch_execnz .LBB4_1549
; %bb.1015:                             ;   in Loop: Header=BB4_143 Depth=2
	s_or_saveexec_b32 s27, s27
	v_mov_b32_e32 v147, s26
	s_xor_b32 exec_lo, exec_lo, s27
	s_cbranch_execnz .LBB4_1552
.LBB4_1016:                             ;   in Loop: Header=BB4_143 Depth=2
	s_or_b32 exec_lo, exec_lo, s27
	s_and_saveexec_b32 s26, s11
	s_cbranch_execz .LBB4_1018
.LBB4_1017:                             ;   in Loop: Header=BB4_143 Depth=2
	v_bfe_u32 v147, v17, 16, 3
	v_bfe_u32 v150, v17, 19, 4
	v_lshlrev_b32_e32 v151, 24, v146
	s_delay_alu instid0(VALU_DEP_3) | instskip(NEXT) | instid1(VALU_DEP_3)
	v_clz_i32_u32_e32 v148, v147
	v_cmp_eq_u32_e32 vcc_lo, 0, v150
	s_delay_alu instid0(VALU_DEP_2) | instskip(NEXT) | instid1(VALU_DEP_1)
	v_min_u32_e32 v148, 32, v148
	v_subrev_nc_u32_e32 v149, 28, v148
	v_sub_nc_u32_e32 v148, 29, v148
	s_delay_alu instid0(VALU_DEP_1) | instskip(NEXT) | instid1(VALU_DEP_1)
	v_dual_cndmask_b32 v148, v150, v148 :: v_dual_lshlrev_b32 v149, v149, v146
	v_and_b32_e32 v149, 7, v149
	s_delay_alu instid0(VALU_DEP_2) | instskip(NEXT) | instid1(VALU_DEP_2)
	v_lshl_add_u32 v148, v148, 23, 0x3b800000
	v_cndmask_b32_e32 v147, v147, v149, vcc_lo
	v_and_b32_e32 v149, 0x80000000, v151
	s_delay_alu instid0(VALU_DEP_2) | instskip(NEXT) | instid1(VALU_DEP_1)
	v_lshlrev_b32_e32 v147, 20, v147
	v_or3_b32 v147, v149, v148, v147
.LBB4_1018:                             ;   in Loop: Header=BB4_143 Depth=2
	s_or_b32 exec_lo, exec_lo, s26
	v_and_b32_e32 v149, 0xff, v145
	s_mov_b32 s11, 0
	s_mov_b32 s27, exec_lo
                                        ; implicit-def: $sgpr26
	s_delay_alu instid0(VALU_DEP_1)
	v_cmpx_lt_i16_e64 0x7f, v149
	s_xor_b32 s27, exec_lo, s27
	s_cbranch_execnz .LBB4_1553
; %bb.1019:                             ;   in Loop: Header=BB4_143 Depth=2
	s_or_saveexec_b32 s27, s27
	v_mov_b32_e32 v148, s26
	s_xor_b32 exec_lo, exec_lo, s27
	s_cbranch_execnz .LBB4_1556
.LBB4_1020:                             ;   in Loop: Header=BB4_143 Depth=2
	s_or_b32 exec_lo, exec_lo, s27
	s_and_saveexec_b32 s26, s11
	s_cbranch_execz .LBB4_1022
.LBB4_1021:                             ;   in Loop: Header=BB4_143 Depth=2
	v_bfe_u32 v148, v13, 16, 3
	v_bfe_u32 v151, v13, 19, 4
	v_lshlrev_b32_e32 v160, 24, v145
	s_delay_alu instid0(VALU_DEP_3) | instskip(NEXT) | instid1(VALU_DEP_3)
	v_clz_i32_u32_e32 v149, v148
	v_cmp_eq_u32_e32 vcc_lo, 0, v151
	s_delay_alu instid0(VALU_DEP_2) | instskip(NEXT) | instid1(VALU_DEP_1)
	v_min_u32_e32 v149, 32, v149
	v_subrev_nc_u32_e32 v150, 28, v149
	v_sub_nc_u32_e32 v149, 29, v149
	s_delay_alu instid0(VALU_DEP_2) | instskip(NEXT) | instid1(VALU_DEP_1)
	v_lshlrev_b32_e32 v150, v150, v145
	v_dual_cndmask_b32 v149, v151, v149 :: v_dual_and_b32 v150, 7, v150
	s_delay_alu instid0(VALU_DEP_1) | instskip(NEXT) | instid1(VALU_DEP_2)
	v_lshl_add_u32 v149, v149, 23, 0x3b800000
	v_cndmask_b32_e32 v148, v148, v150, vcc_lo
	v_and_b32_e32 v150, 0x80000000, v160
	s_delay_alu instid0(VALU_DEP_2) | instskip(NEXT) | instid1(VALU_DEP_1)
	v_lshlrev_b32_e32 v148, 20, v148
	v_or3_b32 v148, v150, v149, v148
.LBB4_1022:                             ;   in Loop: Header=BB4_143 Depth=2
	s_or_b32 exec_lo, exec_lo, s26
	s_delay_alu instid0(VALU_DEP_1) | instskip(SKIP_1) | instid1(VALU_DEP_1)
	v_dual_max_f32 v148, v148, v148 :: v_dual_max_f32 v147, v147, v147
	s_mov_b32 s11, 0
	v_max_f32_e32 v147, v147, v148
	s_branch .LBB4_1024
.LBB4_1023:                             ;   in Loop: Header=BB4_143 Depth=2
	s_mov_b32 s11, -1
                                        ; implicit-def: $vgpr147
.LBB4_1024:                             ;   in Loop: Header=BB4_143 Depth=2
	s_delay_alu instid0(SALU_CYCLE_1)
	s_and_b32 vcc_lo, exec_lo, s11
	s_cbranch_vccz .LBB4_1034
; %bb.1025:                             ;   in Loop: Header=BB4_143 Depth=2
	v_and_b32_e32 v148, 0xff, v146
	s_mov_b32 s11, 0
	s_mov_b32 s27, exec_lo
                                        ; implicit-def: $sgpr26
	s_delay_alu instid0(VALU_DEP_1)
	v_cmpx_lt_i16_e64 0x7f, v148
	s_xor_b32 s27, exec_lo, s27
	s_cbranch_execnz .LBB4_1557
; %bb.1026:                             ;   in Loop: Header=BB4_143 Depth=2
	s_or_saveexec_b32 s27, s27
	v_mov_b32_e32 v147, s26
	s_xor_b32 exec_lo, exec_lo, s27
	s_cbranch_execnz .LBB4_1560
.LBB4_1027:                             ;   in Loop: Header=BB4_143 Depth=2
	s_or_b32 exec_lo, exec_lo, s27
	s_and_saveexec_b32 s26, s11
	s_cbranch_execz .LBB4_1029
.LBB4_1028:                             ;   in Loop: Header=BB4_143 Depth=2
	v_bfe_u32 v147, v17, 16, 3
	v_bfe_u32 v150, v17, 19, 4
	s_delay_alu instid0(VALU_DEP_2) | instskip(NEXT) | instid1(VALU_DEP_2)
	v_clz_i32_u32_e32 v148, v147
	v_cmp_eq_u32_e32 vcc_lo, 0, v150
	s_delay_alu instid0(VALU_DEP_2) | instskip(NEXT) | instid1(VALU_DEP_1)
	v_min_u32_e32 v148, 32, v148
	v_subrev_nc_u32_e32 v149, 28, v148
	v_sub_nc_u32_e32 v148, 29, v148
	s_delay_alu instid0(VALU_DEP_1) | instskip(NEXT) | instid1(VALU_DEP_1)
	v_dual_cndmask_b32 v148, v150, v148 :: v_dual_lshlrev_b32 v149, v149, v146
	v_and_b32_e32 v149, 7, v149
	v_lshlrev_b32_e32 v146, 24, v146
	s_delay_alu instid0(VALU_DEP_3) | instskip(NEXT) | instid1(VALU_DEP_2)
	v_lshl_add_u32 v148, v148, 23, 0x3b800000
	v_dual_cndmask_b32 v147, v147, v149 :: v_dual_and_b32 v146, 0x80000000, v146
	s_delay_alu instid0(VALU_DEP_1) | instskip(NEXT) | instid1(VALU_DEP_1)
	v_lshlrev_b32_e32 v147, 20, v147
	v_or3_b32 v147, v146, v148, v147
.LBB4_1029:                             ;   in Loop: Header=BB4_143 Depth=2
	s_or_b32 exec_lo, exec_lo, s26
	v_and_b32_e32 v148, 0xff, v145
	s_mov_b32 s11, 0
	s_mov_b32 s27, exec_lo
                                        ; implicit-def: $sgpr26
	s_delay_alu instid0(VALU_DEP_1)
	v_cmpx_lt_i16_e64 0x7f, v148
	s_xor_b32 s27, exec_lo, s27
	s_cbranch_execnz .LBB4_1561
; %bb.1030:                             ;   in Loop: Header=BB4_143 Depth=2
	s_or_saveexec_b32 s27, s27
	v_mov_b32_e32 v146, s26
	s_xor_b32 exec_lo, exec_lo, s27
	s_cbranch_execnz .LBB4_1564
.LBB4_1031:                             ;   in Loop: Header=BB4_143 Depth=2
	s_or_b32 exec_lo, exec_lo, s27
	s_and_saveexec_b32 s26, s11
	s_cbranch_execz .LBB4_1033
.LBB4_1032:                             ;   in Loop: Header=BB4_143 Depth=2
	v_bfe_u32 v146, v13, 16, 3
	v_bfe_u32 v150, v13, 19, 4
	s_delay_alu instid0(VALU_DEP_2) | instskip(NEXT) | instid1(VALU_DEP_2)
	v_clz_i32_u32_e32 v148, v146
	v_cmp_eq_u32_e32 vcc_lo, 0, v150
	s_delay_alu instid0(VALU_DEP_2) | instskip(NEXT) | instid1(VALU_DEP_1)
	v_min_u32_e32 v148, 32, v148
	v_subrev_nc_u32_e32 v149, 28, v148
	v_sub_nc_u32_e32 v148, 29, v148
	s_delay_alu instid0(VALU_DEP_1) | instskip(SKIP_1) | instid1(VALU_DEP_2)
	v_dual_cndmask_b32 v148, v150, v148 :: v_dual_lshlrev_b32 v149, v149, v145
	v_lshlrev_b32_e32 v145, 24, v145
	v_and_b32_e32 v149, 7, v149
	s_delay_alu instid0(VALU_DEP_3) | instskip(NEXT) | instid1(VALU_DEP_3)
	v_lshl_add_u32 v148, v148, 23, 0x3b800000
	v_and_b32_e32 v145, 0x80000000, v145
	s_delay_alu instid0(VALU_DEP_3) | instskip(NEXT) | instid1(VALU_DEP_1)
	v_cndmask_b32_e32 v146, v146, v149, vcc_lo
	v_lshlrev_b32_e32 v146, 20, v146
	s_delay_alu instid0(VALU_DEP_1)
	v_or3_b32 v146, v145, v148, v146
.LBB4_1033:                             ;   in Loop: Header=BB4_143 Depth=2
	s_or_b32 exec_lo, exec_lo, s26
	s_delay_alu instid0(VALU_DEP_1) | instskip(NEXT) | instid1(VALU_DEP_1)
	v_dual_max_f32 v145, v146, v146 :: v_dual_max_f32 v146, v147, v147
	v_min_f32_e32 v147, v146, v145
.LBB4_1034:                             ;   in Loop: Header=BB4_143 Depth=2
	s_delay_alu instid0(VALU_DEP_1) | instskip(NEXT) | instid1(VALU_DEP_1)
	v_and_b32_e32 v145, 0x7f800000, v147
	v_cmp_ne_u32_e32 vcc_lo, 0x7f800000, v145
	v_mov_b32_e32 v145, 0x80
	s_and_saveexec_b32 s26, vcc_lo
	s_cbranch_execz .LBB4_1042
; %bb.1035:                             ;   in Loop: Header=BB4_143 Depth=2
	v_mov_b32_e32 v145, 0
	s_mov_b32 s27, exec_lo
	v_cmpx_ne_u32_e32 0, v147
	s_cbranch_execz .LBB4_1041
; %bb.1036:                             ;   in Loop: Header=BB4_143 Depth=2
	v_bfe_u32 v145, v147, 23, 8
	v_and_b32_e32 v146, 0x7fffff, v147
	s_delay_alu instid0(VALU_DEP_2) | instskip(SKIP_1) | instid1(VALU_DEP_3)
	v_sub_nc_u32_e32 v148, 0x78, v145
	v_cmp_gt_u32_e32 vcc_lo, 0x79, v145
	v_or_b32_e32 v149, 0x800000, v146
	s_delay_alu instid0(VALU_DEP_3) | instskip(SKIP_2) | instid1(VALU_DEP_3)
	v_cndmask_b32_e32 v148, 0, v148, vcc_lo
	v_cmp_eq_u32_e32 vcc_lo, 0, v145
	v_add_nc_u32_e32 v145, 0xffffff89, v145
	v_cndmask_b32_e64 v148, v148, 0x77, vcc_lo
	v_cndmask_b32_e32 v146, v149, v146, vcc_lo
	s_delay_alu instid0(VALU_DEP_3) | instskip(NEXT) | instid1(VALU_DEP_3)
	v_cndmask_b32_e64 v145, v145, 0xffffff8a, vcc_lo
	v_lshl_add_u32 v149, 0x100000, v148, -1
	s_delay_alu instid0(VALU_DEP_3) | instskip(SKIP_1) | instid1(VALU_DEP_4)
	v_lshrrev_b32_e32 v150, v148, v146
	v_lshlrev_b32_e64 v160, v148, 0x80000
	v_add_nc_u32_e32 v148, v148, v145
	s_delay_alu instid0(VALU_DEP_4) | instskip(NEXT) | instid1(VALU_DEP_4)
	v_and_b32_e32 v146, v149, v146
	v_bfe_u32 v151, v150, 20, 1
	s_delay_alu instid0(VALU_DEP_2) | instskip(NEXT) | instid1(VALU_DEP_2)
	v_cmp_eq_u32_e64 s11, v146, v160
	v_add_nc_u32_e32 v149, -1, v151
	s_delay_alu instid0(VALU_DEP_1) | instskip(SKIP_2) | instid1(VALU_DEP_2)
	v_cndmask_b32_e64 v146, 0, v149, s11
	v_lshrrev_b32_e32 v149, 23, v150
	s_mov_b32 s11, exec_lo
	v_add_nc_u32_e32 v146, v146, v150
	s_delay_alu instid0(VALU_DEP_2) | instskip(NEXT) | instid1(VALU_DEP_2)
	v_xor_b32_e32 v149, 1, v149
	v_and_b32_e32 v145, 0xfffff, v146
	s_delay_alu instid0(VALU_DEP_1) | instskip(NEXT) | instid1(VALU_DEP_3)
	v_add_nc_u32_e32 v146, v145, v150
                                        ; implicit-def: $vgpr145
	v_cmpx_ne_u32_e64 v148, v149
	s_xor_b32 s11, exec_lo, s11
; %bb.1037:                             ;   in Loop: Header=BB4_143 Depth=2
	s_delay_alu instid0(VALU_DEP_2) | instskip(SKIP_2) | instid1(VALU_DEP_2)
	v_cmp_lt_u32_e32 vcc_lo, 0xffffff, v146
	v_sub_nc_u32_e32 v145, v148, v149
	v_cndmask_b32_e64 v148, 0, 1, vcc_lo
	v_add_co_ci_u32_e32 v145, vcc_lo, 0, v145, vcc_lo
	s_delay_alu instid0(VALU_DEP_2)
	v_lshrrev_b32_e32 v146, v148, v146
; %bb.1038:                             ;   in Loop: Header=BB4_143 Depth=2
	s_and_not1_saveexec_b32 s11, s11
; %bb.1039:                             ;   in Loop: Header=BB4_143 Depth=2
	s_delay_alu instid0(VALU_DEP_1)
	v_bfe_u32 v145, v146, 23, 1
; %bb.1040:                             ;   in Loop: Header=BB4_143 Depth=2
	s_or_b32 exec_lo, exec_lo, s11
	v_lshrrev_b32_e32 v146, 20, v146
	s_delay_alu instid0(VALU_DEP_2) | instskip(SKIP_2) | instid1(VALU_DEP_2)
	v_cmp_gt_i32_e32 vcc_lo, 16, v145
	v_lshrrev_b32_e32 v147, 24, v147
	v_min_i32_e32 v148, 15, v145
	v_dual_cndmask_b32 v146, 7, v146 :: v_dual_and_b32 v147, 0x80, v147
	s_delay_alu instid0(VALU_DEP_1) | instskip(SKIP_1) | instid1(VALU_DEP_2)
	v_or_b32_e32 v145, v145, v146
	v_and_b32_e32 v149, 7, v146
	v_cmp_ne_u32_e32 vcc_lo, 0, v145
	v_lshlrev_b32_e32 v148, 3, v148
	s_delay_alu instid0(VALU_DEP_1) | instskip(NEXT) | instid1(VALU_DEP_1)
	v_and_b32_e32 v148, 0xf8, v148
	v_or3_b32 v146, v148, v147, v149
	s_delay_alu instid0(VALU_DEP_1)
	v_cndmask_b32_e32 v145, 0, v146, vcc_lo
.LBB4_1041:                             ;   in Loop: Header=BB4_143 Depth=2
	s_or_b32 exec_lo, exec_lo, s27
.LBB4_1042:                             ;   in Loop: Header=BB4_143 Depth=2
	s_delay_alu instid0(SALU_CYCLE_1)
	s_or_b32 exec_lo, exec_lo, s26
	v_lshrrev_b32_e32 v147, 24, v17
	v_lshrrev_b32_e32 v146, 24, v13
	s_and_not1_b32 vcc_lo, exec_lo, s25
	s_cbranch_vccnz .LBB4_1052
; %bb.1043:                             ;   in Loop: Header=BB4_143 Depth=2
	s_mov_b32 s11, 0
	s_mov_b32 s27, exec_lo
                                        ; implicit-def: $sgpr26
	v_cmpx_lt_i16_e64 0x7f, v147
	s_xor_b32 s27, exec_lo, s27
	s_cbranch_execnz .LBB4_1565
; %bb.1044:                             ;   in Loop: Header=BB4_143 Depth=2
	s_or_saveexec_b32 s27, s27
	v_mov_b32_e32 v148, s26
	s_xor_b32 exec_lo, exec_lo, s27
	s_cbranch_execnz .LBB4_1568
.LBB4_1045:                             ;   in Loop: Header=BB4_143 Depth=2
	s_or_b32 exec_lo, exec_lo, s27
	s_and_saveexec_b32 s26, s11
	s_cbranch_execz .LBB4_1047
.LBB4_1046:                             ;   in Loop: Header=BB4_143 Depth=2
	v_bfe_u32 v148, v17, 24, 3
	v_bfe_u32 v151, v17, 27, 4
	s_delay_alu instid0(VALU_DEP_2) | instskip(NEXT) | instid1(VALU_DEP_2)
	v_clz_i32_u32_e32 v149, v148
	v_cmp_eq_u32_e32 vcc_lo, 0, v151
	s_delay_alu instid0(VALU_DEP_2) | instskip(NEXT) | instid1(VALU_DEP_1)
	v_min_u32_e32 v149, 32, v149
	v_subrev_nc_u32_e32 v150, 28, v149
	v_sub_nc_u32_e32 v149, 29, v149
	s_delay_alu instid0(VALU_DEP_1) | instskip(NEXT) | instid1(VALU_DEP_1)
	v_dual_cndmask_b32 v149, v151, v149 :: v_dual_lshlrev_b32 v150, v150, v147
	v_and_b32_e32 v150, 7, v150
	s_delay_alu instid0(VALU_DEP_2) | instskip(NEXT) | instid1(VALU_DEP_2)
	v_lshl_add_u32 v149, v149, 23, 0x3b800000
	v_cndmask_b32_e32 v148, v148, v150, vcc_lo
	v_and_b32_e32 v150, 0x80000000, v17
	s_delay_alu instid0(VALU_DEP_2) | instskip(NEXT) | instid1(VALU_DEP_1)
	v_lshlrev_b32_e32 v148, 20, v148
	v_or3_b32 v148, v150, v149, v148
.LBB4_1047:                             ;   in Loop: Header=BB4_143 Depth=2
	s_or_b32 exec_lo, exec_lo, s26
	s_mov_b32 s11, 0
	s_mov_b32 s27, exec_lo
                                        ; implicit-def: $sgpr26
	v_cmpx_lt_i16_e64 0x7f, v146
	s_xor_b32 s27, exec_lo, s27
	s_cbranch_execnz .LBB4_1569
; %bb.1048:                             ;   in Loop: Header=BB4_143 Depth=2
	s_or_saveexec_b32 s27, s27
	v_mov_b32_e32 v149, s26
	s_xor_b32 exec_lo, exec_lo, s27
	s_cbranch_execnz .LBB4_1572
.LBB4_1049:                             ;   in Loop: Header=BB4_143 Depth=2
	s_or_b32 exec_lo, exec_lo, s27
	s_and_saveexec_b32 s26, s11
	s_cbranch_execz .LBB4_1051
.LBB4_1050:                             ;   in Loop: Header=BB4_143 Depth=2
	v_bfe_u32 v149, v13, 24, 3
	v_bfe_u32 v160, v13, 27, 4
	s_delay_alu instid0(VALU_DEP_2) | instskip(NEXT) | instid1(VALU_DEP_2)
	v_clz_i32_u32_e32 v150, v149
	v_cmp_eq_u32_e32 vcc_lo, 0, v160
	s_delay_alu instid0(VALU_DEP_2) | instskip(NEXT) | instid1(VALU_DEP_1)
	v_min_u32_e32 v150, 32, v150
	v_subrev_nc_u32_e32 v151, 28, v150
	v_sub_nc_u32_e32 v150, 29, v150
	s_delay_alu instid0(VALU_DEP_2) | instskip(NEXT) | instid1(VALU_DEP_1)
	v_lshlrev_b32_e32 v151, v151, v146
	v_dual_cndmask_b32 v150, v160, v150 :: v_dual_and_b32 v151, 7, v151
	s_delay_alu instid0(VALU_DEP_1) | instskip(NEXT) | instid1(VALU_DEP_2)
	v_lshl_add_u32 v150, v150, 23, 0x3b800000
	v_cndmask_b32_e32 v149, v149, v151, vcc_lo
	v_and_b32_e32 v151, 0x80000000, v13
	s_delay_alu instid0(VALU_DEP_2) | instskip(NEXT) | instid1(VALU_DEP_1)
	v_lshlrev_b32_e32 v149, 20, v149
	v_or3_b32 v149, v151, v150, v149
.LBB4_1051:                             ;   in Loop: Header=BB4_143 Depth=2
	s_or_b32 exec_lo, exec_lo, s26
	s_delay_alu instid0(VALU_DEP_1) | instskip(SKIP_1) | instid1(VALU_DEP_1)
	v_dual_max_f32 v149, v149, v149 :: v_dual_max_f32 v148, v148, v148
	s_mov_b32 s11, 0
	v_max_f32_e32 v148, v148, v149
	s_branch .LBB4_1053
.LBB4_1052:                             ;   in Loop: Header=BB4_143 Depth=2
	s_mov_b32 s11, -1
                                        ; implicit-def: $vgpr148
.LBB4_1053:                             ;   in Loop: Header=BB4_143 Depth=2
	s_delay_alu instid0(SALU_CYCLE_1)
	s_and_b32 vcc_lo, exec_lo, s11
	s_cbranch_vccz .LBB4_1063
; %bb.1054:                             ;   in Loop: Header=BB4_143 Depth=2
	s_mov_b32 s11, 0
	s_mov_b32 s27, exec_lo
                                        ; implicit-def: $sgpr26
	v_cmpx_lt_i16_e64 0x7f, v147
	s_xor_b32 s27, exec_lo, s27
	s_cbranch_execnz .LBB4_1573
; %bb.1055:                             ;   in Loop: Header=BB4_143 Depth=2
	s_or_saveexec_b32 s27, s27
	v_mov_b32_e32 v148, s26
	s_xor_b32 exec_lo, exec_lo, s27
	s_cbranch_execnz .LBB4_1576
.LBB4_1056:                             ;   in Loop: Header=BB4_143 Depth=2
	s_or_b32 exec_lo, exec_lo, s27
	s_and_saveexec_b32 s26, s11
	s_cbranch_execz .LBB4_1058
.LBB4_1057:                             ;   in Loop: Header=BB4_143 Depth=2
	v_bfe_u32 v148, v17, 24, 3
	s_delay_alu instid0(VALU_DEP_1) | instskip(NEXT) | instid1(VALU_DEP_1)
	v_clz_i32_u32_e32 v149, v148
	v_min_u32_e32 v149, 32, v149
	s_delay_alu instid0(VALU_DEP_1) | instskip(SKIP_1) | instid1(VALU_DEP_2)
	v_subrev_nc_u32_e32 v150, 28, v149
	v_sub_nc_u32_e32 v149, 29, v149
	v_lshlrev_b32_e32 v147, v150, v147
	v_bfe_u32 v150, v17, 27, 4
	v_and_b32_e32 v17, 0x80000000, v17
	s_delay_alu instid0(VALU_DEP_3) | instskip(NEXT) | instid1(VALU_DEP_3)
	v_and_b32_e32 v147, 7, v147
	v_cmp_eq_u32_e32 vcc_lo, 0, v150
	v_cndmask_b32_e32 v149, v150, v149, vcc_lo
	s_delay_alu instid0(VALU_DEP_3) | instskip(NEXT) | instid1(VALU_DEP_2)
	v_cndmask_b32_e32 v147, v148, v147, vcc_lo
	v_lshl_add_u32 v148, v149, 23, 0x3b800000
	s_delay_alu instid0(VALU_DEP_2) | instskip(NEXT) | instid1(VALU_DEP_1)
	v_lshlrev_b32_e32 v147, 20, v147
	v_or3_b32 v148, v17, v148, v147
.LBB4_1058:                             ;   in Loop: Header=BB4_143 Depth=2
	s_or_b32 exec_lo, exec_lo, s26
	s_mov_b32 s11, 0
	s_mov_b32 s27, exec_lo
                                        ; implicit-def: $sgpr26
	v_cmpx_lt_i16_e64 0x7f, v146
	s_xor_b32 s27, exec_lo, s27
	s_cbranch_execnz .LBB4_1577
; %bb.1059:                             ;   in Loop: Header=BB4_143 Depth=2
	s_or_saveexec_b32 s27, s27
	v_mov_b32_e32 v17, s26
	s_xor_b32 exec_lo, exec_lo, s27
	s_cbranch_execnz .LBB4_1580
.LBB4_1060:                             ;   in Loop: Header=BB4_143 Depth=2
	s_or_b32 exec_lo, exec_lo, s27
	s_and_saveexec_b32 s26, s11
	s_cbranch_execz .LBB4_1062
.LBB4_1061:                             ;   in Loop: Header=BB4_143 Depth=2
	v_bfe_u32 v17, v13, 24, 3
	s_delay_alu instid0(VALU_DEP_1) | instskip(NEXT) | instid1(VALU_DEP_1)
	v_clz_i32_u32_e32 v147, v17
	v_min_u32_e32 v147, 32, v147
	s_delay_alu instid0(VALU_DEP_1) | instskip(SKIP_1) | instid1(VALU_DEP_2)
	v_subrev_nc_u32_e32 v149, 28, v147
	v_sub_nc_u32_e32 v147, 29, v147
	v_lshlrev_b32_e32 v146, v149, v146
	v_bfe_u32 v149, v13, 27, 4
	v_and_b32_e32 v13, 0x80000000, v13
	s_delay_alu instid0(VALU_DEP_2) | instskip(NEXT) | instid1(VALU_DEP_4)
	v_cmp_eq_u32_e32 vcc_lo, 0, v149
	v_dual_cndmask_b32 v147, v149, v147 :: v_dual_and_b32 v146, 7, v146
	s_delay_alu instid0(VALU_DEP_1) | instskip(NEXT) | instid1(VALU_DEP_2)
	v_cndmask_b32_e32 v17, v17, v146, vcc_lo
	v_lshl_add_u32 v146, v147, 23, 0x3b800000
	s_delay_alu instid0(VALU_DEP_2) | instskip(NEXT) | instid1(VALU_DEP_1)
	v_lshlrev_b32_e32 v17, 20, v17
	v_or3_b32 v17, v13, v146, v17
.LBB4_1062:                             ;   in Loop: Header=BB4_143 Depth=2
	s_or_b32 exec_lo, exec_lo, s26
	s_delay_alu instid0(VALU_DEP_1) | instskip(SKIP_1) | instid1(VALU_DEP_1)
	v_max_f32_e32 v13, v17, v17
	v_max_f32_e32 v17, v148, v148
	v_min_f32_e32 v148, v17, v13
.LBB4_1063:                             ;   in Loop: Header=BB4_143 Depth=2
	s_delay_alu instid0(VALU_DEP_1) | instskip(NEXT) | instid1(VALU_DEP_1)
	v_and_b32_e32 v13, 0x7f800000, v148
	v_cmp_ne_u32_e32 vcc_lo, 0x7f800000, v13
	v_mov_b32_e32 v13, 0x8000
	s_and_saveexec_b32 s26, vcc_lo
	s_cbranch_execz .LBB4_142
; %bb.1064:                             ;   in Loop: Header=BB4_143 Depth=2
	v_mov_b32_e32 v13, 0
	s_mov_b32 s27, exec_lo
	v_cmpx_ne_u32_e32 0, v148
	s_cbranch_execz .LBB4_141
; %bb.1065:                             ;   in Loop: Header=BB4_143 Depth=2
	v_bfe_u32 v13, v148, 23, 8
	s_delay_alu instid0(VALU_DEP_1) | instskip(SKIP_1) | instid1(VALU_DEP_2)
	v_sub_nc_u32_e32 v146, 0x78, v13
	v_cmp_gt_u32_e32 vcc_lo, 0x79, v13
	v_dual_cndmask_b32 v146, 0, v146 :: v_dual_and_b32 v17, 0x7fffff, v148
	s_delay_alu instid0(VALU_DEP_1) | instskip(SKIP_2) | instid1(VALU_DEP_4)
	v_or_b32_e32 v147, 0x800000, v17
	v_cmp_eq_u32_e32 vcc_lo, 0, v13
	v_add_nc_u32_e32 v13, 0xffffff89, v13
	v_cndmask_b32_e64 v146, v146, 0x77, vcc_lo
	s_delay_alu instid0(VALU_DEP_4) | instskip(NEXT) | instid1(VALU_DEP_3)
	v_cndmask_b32_e32 v17, v147, v17, vcc_lo
	v_cndmask_b32_e64 v13, v13, 0xffffff8a, vcc_lo
	s_delay_alu instid0(VALU_DEP_3) | instskip(NEXT) | instid1(VALU_DEP_3)
	v_lshl_add_u32 v147, 0x100000, v146, -1
	v_lshrrev_b32_e32 v149, v146, v17
	v_lshlrev_b32_e64 v151, v146, 0x80000
	s_delay_alu instid0(VALU_DEP_4) | instskip(NEXT) | instid1(VALU_DEP_4)
	v_add_nc_u32_e32 v146, v146, v13
	v_and_b32_e32 v17, v147, v17
	s_delay_alu instid0(VALU_DEP_4) | instskip(NEXT) | instid1(VALU_DEP_2)
	v_bfe_u32 v150, v149, 20, 1
	v_cmp_eq_u32_e64 s11, v17, v151
	s_delay_alu instid0(VALU_DEP_2) | instskip(NEXT) | instid1(VALU_DEP_1)
	v_add_nc_u32_e32 v147, -1, v150
	v_cndmask_b32_e64 v17, 0, v147, s11
	v_lshrrev_b32_e32 v147, 23, v149
	s_mov_b32 s11, exec_lo
	s_delay_alu instid0(VALU_DEP_2) | instskip(NEXT) | instid1(VALU_DEP_2)
	v_add_nc_u32_e32 v17, v17, v149
	v_xor_b32_e32 v147, 1, v147
	s_delay_alu instid0(VALU_DEP_2) | instskip(NEXT) | instid1(VALU_DEP_1)
	v_and_b32_e32 v13, 0xfffff, v17
	v_add_nc_u32_e32 v17, v13, v149
                                        ; implicit-def: $vgpr13
	s_delay_alu instid0(VALU_DEP_3)
	v_cmpx_ne_u32_e64 v146, v147
	s_xor_b32 s11, exec_lo, s11
; %bb.1066:                             ;   in Loop: Header=BB4_143 Depth=2
	s_delay_alu instid0(VALU_DEP_2) | instskip(SKIP_2) | instid1(VALU_DEP_2)
	v_cmp_lt_u32_e32 vcc_lo, 0xffffff, v17
	v_sub_nc_u32_e32 v13, v146, v147
	v_cndmask_b32_e64 v146, 0, 1, vcc_lo
	v_add_co_ci_u32_e32 v13, vcc_lo, 0, v13, vcc_lo
	s_delay_alu instid0(VALU_DEP_2)
	v_lshrrev_b32_e32 v17, v146, v17
; %bb.1067:                             ;   in Loop: Header=BB4_143 Depth=2
	s_and_not1_saveexec_b32 s11, s11
	s_cbranch_execz .LBB4_140
; %bb.1068:                             ;   in Loop: Header=BB4_143 Depth=2
	s_delay_alu instid0(VALU_DEP_1)
	v_bfe_u32 v13, v17, 23, 1
	s_branch .LBB4_140
.LBB4_1069:                             ;   in Loop: Header=BB4_143 Depth=2
	s_mov_b32 s11, -1
	s_mov_b32 s28, exec_lo
                                        ; implicit-def: $sgpr26
	v_cmpx_eq_u16_e32 0x80, v114
; %bb.1070:                             ;   in Loop: Header=BB4_143 Depth=2
	s_mov_b32 s26, 0x7f800001
	s_xor_b32 s11, exec_lo, -1
; %bb.1071:                             ;   in Loop: Header=BB4_143 Depth=2
	s_or_b32 exec_lo, exec_lo, s28
	s_delay_alu instid0(SALU_CYCLE_1)
	s_and_b32 s11, s11, exec_lo
                                        ; implicit-def: $vgpr114
	s_or_saveexec_b32 s27, s27
	v_mov_b32_e32 v113, s26
	s_xor_b32 exec_lo, exec_lo, s27
	s_cbranch_execz .LBB4_146
.LBB4_1072:                             ;   in Loop: Header=BB4_143 Depth=2
	v_cmp_ne_u16_e32 vcc_lo, 0, v114
	v_mov_b32_e32 v113, 0
	s_and_not1_b32 s11, s11, exec_lo
	s_and_b32 s26, vcc_lo, exec_lo
	s_delay_alu instid0(SALU_CYCLE_1)
	s_or_b32 s11, s11, s26
	s_or_b32 exec_lo, exec_lo, s27
	s_and_saveexec_b32 s26, s11
	s_cbranch_execnz .LBB4_147
	s_branch .LBB4_148
.LBB4_1073:                             ;   in Loop: Header=BB4_143 Depth=2
	s_mov_b32 s11, -1
	s_mov_b32 s28, exec_lo
                                        ; implicit-def: $sgpr26
	v_cmpx_eq_u16_e32 0x80, v115
; %bb.1074:                             ;   in Loop: Header=BB4_143 Depth=2
	s_mov_b32 s26, 0x7f800001
	s_xor_b32 s11, exec_lo, -1
; %bb.1075:                             ;   in Loop: Header=BB4_143 Depth=2
	s_or_b32 exec_lo, exec_lo, s28
	s_delay_alu instid0(SALU_CYCLE_1)
	s_and_b32 s11, s11, exec_lo
                                        ; implicit-def: $vgpr115
	s_or_saveexec_b32 s27, s27
	v_mov_b32_e32 v114, s26
	s_xor_b32 exec_lo, exec_lo, s27
	s_cbranch_execz .LBB4_150
.LBB4_1076:                             ;   in Loop: Header=BB4_143 Depth=2
	v_cmp_ne_u16_e32 vcc_lo, 0, v115
	v_mov_b32_e32 v114, 0
	s_and_not1_b32 s11, s11, exec_lo
	s_and_b32 s26, vcc_lo, exec_lo
	s_delay_alu instid0(SALU_CYCLE_1)
	s_or_b32 s11, s11, s26
	s_or_b32 exec_lo, exec_lo, s27
	s_and_saveexec_b32 s26, s11
	s_cbranch_execnz .LBB4_151
	s_branch .LBB4_152
.LBB4_1077:                             ;   in Loop: Header=BB4_143 Depth=2
	s_mov_b32 s11, -1
	s_mov_b32 s28, exec_lo
                                        ; implicit-def: $sgpr26
	v_cmpx_eq_u16_e32 0x80, v114
; %bb.1078:                             ;   in Loop: Header=BB4_143 Depth=2
	s_mov_b32 s26, 0x7f800001
	s_xor_b32 s11, exec_lo, -1
; %bb.1079:                             ;   in Loop: Header=BB4_143 Depth=2
	s_or_b32 exec_lo, exec_lo, s28
	s_delay_alu instid0(SALU_CYCLE_1)
	s_and_b32 s11, s11, exec_lo
                                        ; implicit-def: $vgpr114
	s_or_saveexec_b32 s27, s27
	v_mov_b32_e32 v113, s26
	s_xor_b32 exec_lo, exec_lo, s27
	s_cbranch_execz .LBB4_157
.LBB4_1080:                             ;   in Loop: Header=BB4_143 Depth=2
	v_cmp_ne_u16_e32 vcc_lo, 0, v114
	v_mov_b32_e32 v113, 0
	s_and_not1_b32 s11, s11, exec_lo
	s_and_b32 s26, vcc_lo, exec_lo
	s_delay_alu instid0(SALU_CYCLE_1)
	s_or_b32 s11, s11, s26
	s_or_b32 exec_lo, exec_lo, s27
	s_and_saveexec_b32 s26, s11
	s_cbranch_execnz .LBB4_158
	s_branch .LBB4_159
.LBB4_1081:                             ;   in Loop: Header=BB4_143 Depth=2
	s_mov_b32 s11, -1
	s_mov_b32 s28, exec_lo
                                        ; implicit-def: $sgpr26
	v_cmpx_eq_u16_e32 0x80, v115
; %bb.1082:                             ;   in Loop: Header=BB4_143 Depth=2
	s_mov_b32 s26, 0x7f800001
	s_xor_b32 s11, exec_lo, -1
; %bb.1083:                             ;   in Loop: Header=BB4_143 Depth=2
	s_or_b32 exec_lo, exec_lo, s28
	s_delay_alu instid0(SALU_CYCLE_1)
	s_and_b32 s11, s11, exec_lo
                                        ; implicit-def: $vgpr115
	s_or_saveexec_b32 s27, s27
	v_mov_b32_e32 v114, s26
	s_xor_b32 exec_lo, exec_lo, s27
	s_cbranch_execz .LBB4_161
.LBB4_1084:                             ;   in Loop: Header=BB4_143 Depth=2
	v_cmp_ne_u16_e32 vcc_lo, 0, v115
	v_mov_b32_e32 v114, 0
	s_and_not1_b32 s11, s11, exec_lo
	s_and_b32 s26, vcc_lo, exec_lo
	s_delay_alu instid0(SALU_CYCLE_1)
	s_or_b32 s11, s11, s26
	s_or_b32 exec_lo, exec_lo, s27
	s_and_saveexec_b32 s26, s11
	s_cbranch_execnz .LBB4_162
	s_branch .LBB4_163
.LBB4_1085:                             ;   in Loop: Header=BB4_143 Depth=2
	s_mov_b32 s11, -1
	s_mov_b32 s28, exec_lo
                                        ; implicit-def: $sgpr26
	v_cmpx_eq_u16_e32 0x80, v115
; %bb.1086:                             ;   in Loop: Header=BB4_143 Depth=2
	s_mov_b32 s26, 0x7f800001
	s_xor_b32 s11, exec_lo, -1
; %bb.1087:                             ;   in Loop: Header=BB4_143 Depth=2
	s_or_b32 exec_lo, exec_lo, s28
	s_delay_alu instid0(SALU_CYCLE_1)
	s_and_b32 s11, s11, exec_lo
	s_or_saveexec_b32 s27, s27
	v_mov_b32_e32 v116, s26
	s_xor_b32 exec_lo, exec_lo, s27
	s_cbranch_execz .LBB4_175
.LBB4_1088:                             ;   in Loop: Header=BB4_143 Depth=2
	v_cmp_ne_u16_e32 vcc_lo, 0, v115
	v_mov_b32_e32 v116, 0
	s_and_not1_b32 s11, s11, exec_lo
	s_and_b32 s26, vcc_lo, exec_lo
	s_delay_alu instid0(SALU_CYCLE_1)
	s_or_b32 s11, s11, s26
	s_or_b32 exec_lo, exec_lo, s27
	s_and_saveexec_b32 s26, s11
	s_cbranch_execnz .LBB4_176
	s_branch .LBB4_177
.LBB4_1089:                             ;   in Loop: Header=BB4_143 Depth=2
	s_mov_b32 s11, -1
	s_mov_b32 s28, exec_lo
                                        ; implicit-def: $sgpr26
	v_cmpx_eq_u16_e32 0x80, v114
; %bb.1090:                             ;   in Loop: Header=BB4_143 Depth=2
	s_mov_b32 s26, 0x7f800001
	s_xor_b32 s11, exec_lo, -1
; %bb.1091:                             ;   in Loop: Header=BB4_143 Depth=2
	s_or_b32 exec_lo, exec_lo, s28
	s_delay_alu instid0(SALU_CYCLE_1)
	s_and_b32 s11, s11, exec_lo
	s_or_saveexec_b32 s27, s27
	v_mov_b32_e32 v117, s26
	s_xor_b32 exec_lo, exec_lo, s27
	s_cbranch_execz .LBB4_179
.LBB4_1092:                             ;   in Loop: Header=BB4_143 Depth=2
	v_cmp_ne_u16_e32 vcc_lo, 0, v114
	v_mov_b32_e32 v117, 0
	s_and_not1_b32 s11, s11, exec_lo
	s_and_b32 s26, vcc_lo, exec_lo
	s_delay_alu instid0(SALU_CYCLE_1)
	s_or_b32 s11, s11, s26
	s_or_b32 exec_lo, exec_lo, s27
	s_and_saveexec_b32 s26, s11
	s_cbranch_execnz .LBB4_180
	s_branch .LBB4_181
.LBB4_1093:                             ;   in Loop: Header=BB4_143 Depth=2
	s_mov_b32 s11, -1
	s_mov_b32 s28, exec_lo
                                        ; implicit-def: $sgpr26
	v_cmpx_eq_u16_e32 0x80, v115
; %bb.1094:                             ;   in Loop: Header=BB4_143 Depth=2
	s_mov_b32 s26, 0x7f800001
	s_xor_b32 s11, exec_lo, -1
; %bb.1095:                             ;   in Loop: Header=BB4_143 Depth=2
	s_or_b32 exec_lo, exec_lo, s28
	s_delay_alu instid0(SALU_CYCLE_1)
	s_and_b32 s11, s11, exec_lo
	s_or_saveexec_b32 s27, s27
	v_mov_b32_e32 v116, s26
	s_xor_b32 exec_lo, exec_lo, s27
	s_cbranch_execz .LBB4_186
.LBB4_1096:                             ;   in Loop: Header=BB4_143 Depth=2
	v_cmp_ne_u16_e32 vcc_lo, 0, v115
	v_mov_b32_e32 v116, 0
	s_and_not1_b32 s11, s11, exec_lo
	s_and_b32 s26, vcc_lo, exec_lo
	s_delay_alu instid0(SALU_CYCLE_1)
	s_or_b32 s11, s11, s26
	s_or_b32 exec_lo, exec_lo, s27
	s_and_saveexec_b32 s26, s11
	s_cbranch_execnz .LBB4_187
	s_branch .LBB4_188
.LBB4_1097:                             ;   in Loop: Header=BB4_143 Depth=2
	s_mov_b32 s11, -1
	s_mov_b32 s28, exec_lo
                                        ; implicit-def: $sgpr26
	v_cmpx_eq_u16_e32 0x80, v114
; %bb.1098:                             ;   in Loop: Header=BB4_143 Depth=2
	s_mov_b32 s26, 0x7f800001
	s_xor_b32 s11, exec_lo, -1
; %bb.1099:                             ;   in Loop: Header=BB4_143 Depth=2
	s_or_b32 exec_lo, exec_lo, s28
	s_delay_alu instid0(SALU_CYCLE_1)
	s_and_b32 s11, s11, exec_lo
	s_or_saveexec_b32 s27, s27
	v_mov_b32_e32 v115, s26
	s_xor_b32 exec_lo, exec_lo, s27
	s_cbranch_execz .LBB4_190
.LBB4_1100:                             ;   in Loop: Header=BB4_143 Depth=2
	v_cmp_ne_u16_e32 vcc_lo, 0, v114
	v_mov_b32_e32 v115, 0
	s_and_not1_b32 s11, s11, exec_lo
	s_and_b32 s26, vcc_lo, exec_lo
	s_delay_alu instid0(SALU_CYCLE_1)
	s_or_b32 s11, s11, s26
	s_or_b32 exec_lo, exec_lo, s27
	s_and_saveexec_b32 s26, s11
	s_cbranch_execnz .LBB4_191
	s_branch .LBB4_192
.LBB4_1101:                             ;   in Loop: Header=BB4_143 Depth=2
	s_mov_b32 s11, -1
	s_mov_b32 s28, exec_lo
                                        ; implicit-def: $sgpr26
	v_cmpx_eq_u16_e32 0x80, v118
; %bb.1102:                             ;   in Loop: Header=BB4_143 Depth=2
	s_mov_b32 s26, 0x7f800001
	s_xor_b32 s11, exec_lo, -1
; %bb.1103:                             ;   in Loop: Header=BB4_143 Depth=2
	s_or_b32 exec_lo, exec_lo, s28
	s_delay_alu instid0(SALU_CYCLE_1)
	s_and_b32 s11, s11, exec_lo
                                        ; implicit-def: $vgpr118
	s_or_saveexec_b32 s27, s27
	v_mov_b32_e32 v117, s26
	s_xor_b32 exec_lo, exec_lo, s27
	s_cbranch_execz .LBB4_204
.LBB4_1104:                             ;   in Loop: Header=BB4_143 Depth=2
	v_cmp_ne_u16_e32 vcc_lo, 0, v118
	v_mov_b32_e32 v117, 0
	s_and_not1_b32 s11, s11, exec_lo
	s_and_b32 s26, vcc_lo, exec_lo
	s_delay_alu instid0(SALU_CYCLE_1)
	s_or_b32 s11, s11, s26
	s_or_b32 exec_lo, exec_lo, s27
	s_and_saveexec_b32 s26, s11
	s_cbranch_execnz .LBB4_205
	s_branch .LBB4_206
.LBB4_1105:                             ;   in Loop: Header=BB4_143 Depth=2
	s_mov_b32 s11, -1
	s_mov_b32 s28, exec_lo
                                        ; implicit-def: $sgpr26
	v_cmpx_eq_u16_e32 0x80, v119
; %bb.1106:                             ;   in Loop: Header=BB4_143 Depth=2
	s_mov_b32 s26, 0x7f800001
	s_xor_b32 s11, exec_lo, -1
; %bb.1107:                             ;   in Loop: Header=BB4_143 Depth=2
	s_or_b32 exec_lo, exec_lo, s28
	s_delay_alu instid0(SALU_CYCLE_1)
	s_and_b32 s11, s11, exec_lo
                                        ; implicit-def: $vgpr119
	s_or_saveexec_b32 s27, s27
	v_mov_b32_e32 v118, s26
	s_xor_b32 exec_lo, exec_lo, s27
	s_cbranch_execz .LBB4_208
.LBB4_1108:                             ;   in Loop: Header=BB4_143 Depth=2
	v_cmp_ne_u16_e32 vcc_lo, 0, v119
	v_mov_b32_e32 v118, 0
	s_and_not1_b32 s11, s11, exec_lo
	s_and_b32 s26, vcc_lo, exec_lo
	s_delay_alu instid0(SALU_CYCLE_1)
	s_or_b32 s11, s11, s26
	s_or_b32 exec_lo, exec_lo, s27
	s_and_saveexec_b32 s26, s11
	s_cbranch_execnz .LBB4_209
	s_branch .LBB4_210
.LBB4_1109:                             ;   in Loop: Header=BB4_143 Depth=2
	s_mov_b32 s11, -1
	s_mov_b32 s28, exec_lo
                                        ; implicit-def: $sgpr26
	v_cmpx_eq_u16_e32 0x80, v118
; %bb.1110:                             ;   in Loop: Header=BB4_143 Depth=2
	s_mov_b32 s26, 0x7f800001
	s_xor_b32 s11, exec_lo, -1
; %bb.1111:                             ;   in Loop: Header=BB4_143 Depth=2
	s_or_b32 exec_lo, exec_lo, s28
	s_delay_alu instid0(SALU_CYCLE_1)
	s_and_b32 s11, s11, exec_lo
                                        ; implicit-def: $vgpr118
	s_or_saveexec_b32 s27, s27
	v_mov_b32_e32 v117, s26
	s_xor_b32 exec_lo, exec_lo, s27
	s_cbranch_execz .LBB4_215
.LBB4_1112:                             ;   in Loop: Header=BB4_143 Depth=2
	v_cmp_ne_u16_e32 vcc_lo, 0, v118
	v_mov_b32_e32 v117, 0
	s_and_not1_b32 s11, s11, exec_lo
	s_and_b32 s26, vcc_lo, exec_lo
	s_delay_alu instid0(SALU_CYCLE_1)
	s_or_b32 s11, s11, s26
	s_or_b32 exec_lo, exec_lo, s27
	s_and_saveexec_b32 s26, s11
	s_cbranch_execnz .LBB4_216
	s_branch .LBB4_217
.LBB4_1113:                             ;   in Loop: Header=BB4_143 Depth=2
	s_mov_b32 s11, -1
	s_mov_b32 s28, exec_lo
                                        ; implicit-def: $sgpr26
	v_cmpx_eq_u16_e32 0x80, v118
; %bb.1114:                             ;   in Loop: Header=BB4_143 Depth=2
	s_mov_b32 s26, 0x7f800001
	s_xor_b32 s11, exec_lo, -1
; %bb.1115:                             ;   in Loop: Header=BB4_143 Depth=2
	s_or_b32 exec_lo, exec_lo, s28
	s_delay_alu instid0(SALU_CYCLE_1)
	s_and_b32 s11, s11, exec_lo
                                        ; implicit-def: $vgpr118
	s_or_saveexec_b32 s27, s27
	v_mov_b32_e32 v116, s26
	s_xor_b32 exec_lo, exec_lo, s27
	s_cbranch_execz .LBB4_219
.LBB4_1116:                             ;   in Loop: Header=BB4_143 Depth=2
	v_cmp_ne_u16_e32 vcc_lo, 0, v118
	v_mov_b32_e32 v116, 0
	s_and_not1_b32 s11, s11, exec_lo
	s_and_b32 s26, vcc_lo, exec_lo
	s_delay_alu instid0(SALU_CYCLE_1)
	s_or_b32 s11, s11, s26
	s_or_b32 exec_lo, exec_lo, s27
	s_and_saveexec_b32 s26, s11
	s_cbranch_execnz .LBB4_220
	s_branch .LBB4_221
.LBB4_1117:                             ;   in Loop: Header=BB4_143 Depth=2
	s_mov_b32 s11, -1
	s_mov_b32 s28, exec_lo
                                        ; implicit-def: $sgpr26
	v_cmpx_eq_u16_e32 0x80, v117
; %bb.1118:                             ;   in Loop: Header=BB4_143 Depth=2
	s_mov_b32 s26, 0x7f800001
	s_xor_b32 s11, exec_lo, -1
; %bb.1119:                             ;   in Loop: Header=BB4_143 Depth=2
	s_or_b32 exec_lo, exec_lo, s28
	s_delay_alu instid0(SALU_CYCLE_1)
	s_and_b32 s11, s11, exec_lo
	s_or_saveexec_b32 s27, s27
	v_mov_b32_e32 v118, s26
	s_xor_b32 exec_lo, exec_lo, s27
	s_cbranch_execz .LBB4_233
.LBB4_1120:                             ;   in Loop: Header=BB4_143 Depth=2
	v_cmp_ne_u16_e32 vcc_lo, 0, v117
	v_mov_b32_e32 v118, 0
	s_and_not1_b32 s11, s11, exec_lo
	s_and_b32 s26, vcc_lo, exec_lo
	s_delay_alu instid0(SALU_CYCLE_1)
	s_or_b32 s11, s11, s26
	s_or_b32 exec_lo, exec_lo, s27
	s_and_saveexec_b32 s26, s11
	s_cbranch_execnz .LBB4_234
	s_branch .LBB4_235
.LBB4_1121:                             ;   in Loop: Header=BB4_143 Depth=2
	s_mov_b32 s11, -1
	s_mov_b32 s28, exec_lo
                                        ; implicit-def: $sgpr26
	v_cmpx_eq_u16_e32 0x80, v116
; %bb.1122:                             ;   in Loop: Header=BB4_143 Depth=2
	s_mov_b32 s26, 0x7f800001
	s_xor_b32 s11, exec_lo, -1
; %bb.1123:                             ;   in Loop: Header=BB4_143 Depth=2
	s_or_b32 exec_lo, exec_lo, s28
	s_delay_alu instid0(SALU_CYCLE_1)
	s_and_b32 s11, s11, exec_lo
	s_or_saveexec_b32 s27, s27
	v_mov_b32_e32 v119, s26
	s_xor_b32 exec_lo, exec_lo, s27
	s_cbranch_execz .LBB4_237
.LBB4_1124:                             ;   in Loop: Header=BB4_143 Depth=2
	v_cmp_ne_u16_e32 vcc_lo, 0, v116
	v_mov_b32_e32 v119, 0
	s_and_not1_b32 s11, s11, exec_lo
	s_and_b32 s26, vcc_lo, exec_lo
	s_delay_alu instid0(SALU_CYCLE_1)
	s_or_b32 s11, s11, s26
	s_or_b32 exec_lo, exec_lo, s27
	s_and_saveexec_b32 s26, s11
	s_cbranch_execnz .LBB4_238
	s_branch .LBB4_239
.LBB4_1125:                             ;   in Loop: Header=BB4_143 Depth=2
	s_mov_b32 s11, -1
	s_mov_b32 s28, exec_lo
                                        ; implicit-def: $sgpr26
	v_cmpx_eq_u16_e32 0x80, v117
; %bb.1126:                             ;   in Loop: Header=BB4_143 Depth=2
	s_mov_b32 s26, 0x7f800001
	s_xor_b32 s11, exec_lo, -1
; %bb.1127:                             ;   in Loop: Header=BB4_143 Depth=2
	s_or_b32 exec_lo, exec_lo, s28
	s_delay_alu instid0(SALU_CYCLE_1)
	s_and_b32 s11, s11, exec_lo
	s_or_saveexec_b32 s27, s27
	v_mov_b32_e32 v118, s26
	s_xor_b32 exec_lo, exec_lo, s27
	s_cbranch_execz .LBB4_244
.LBB4_1128:                             ;   in Loop: Header=BB4_143 Depth=2
	v_cmp_ne_u16_e32 vcc_lo, 0, v117
	v_mov_b32_e32 v118, 0
	s_and_not1_b32 s11, s11, exec_lo
	s_and_b32 s26, vcc_lo, exec_lo
	s_delay_alu instid0(SALU_CYCLE_1)
	s_or_b32 s11, s11, s26
	s_or_b32 exec_lo, exec_lo, s27
	s_and_saveexec_b32 s26, s11
	s_cbranch_execnz .LBB4_245
	s_branch .LBB4_246
.LBB4_1129:                             ;   in Loop: Header=BB4_143 Depth=2
	s_mov_b32 s11, -1
	s_mov_b32 s28, exec_lo
                                        ; implicit-def: $sgpr26
	v_cmpx_eq_u16_e32 0x80, v116
; %bb.1130:                             ;   in Loop: Header=BB4_143 Depth=2
	s_mov_b32 s26, 0x7f800001
	s_xor_b32 s11, exec_lo, -1
; %bb.1131:                             ;   in Loop: Header=BB4_143 Depth=2
	s_or_b32 exec_lo, exec_lo, s28
	s_delay_alu instid0(SALU_CYCLE_1)
	s_and_b32 s11, s11, exec_lo
	s_or_saveexec_b32 s27, s27
	v_mov_b32_e32 v22, s26
	s_xor_b32 exec_lo, exec_lo, s27
	s_cbranch_execz .LBB4_248
.LBB4_1132:                             ;   in Loop: Header=BB4_143 Depth=2
	v_cmp_ne_u16_e32 vcc_lo, 0, v116
	v_mov_b32_e32 v22, 0
	s_and_not1_b32 s11, s11, exec_lo
	s_and_b32 s26, vcc_lo, exec_lo
	s_delay_alu instid0(SALU_CYCLE_1)
	s_or_b32 s11, s11, s26
	s_or_b32 exec_lo, exec_lo, s27
	s_and_saveexec_b32 s26, s11
	s_cbranch_execnz .LBB4_249
	s_branch .LBB4_250
.LBB4_1133:                             ;   in Loop: Header=BB4_143 Depth=2
	s_mov_b32 s11, -1
	s_mov_b32 s28, exec_lo
                                        ; implicit-def: $sgpr26
	v_cmpx_eq_u16_e32 0x80, v116
; %bb.1134:                             ;   in Loop: Header=BB4_143 Depth=2
	s_mov_b32 s26, 0x7f800001
	s_xor_b32 s11, exec_lo, -1
; %bb.1135:                             ;   in Loop: Header=BB4_143 Depth=2
	s_or_b32 exec_lo, exec_lo, s28
	s_delay_alu instid0(SALU_CYCLE_1)
	s_and_b32 s11, s11, exec_lo
                                        ; implicit-def: $vgpr116
	s_or_saveexec_b32 s27, s27
	v_mov_b32_e32 v22, s26
	s_xor_b32 exec_lo, exec_lo, s27
	s_cbranch_execz .LBB4_262
.LBB4_1136:                             ;   in Loop: Header=BB4_143 Depth=2
	v_cmp_ne_u16_e32 vcc_lo, 0, v116
	v_mov_b32_e32 v22, 0
	s_and_not1_b32 s11, s11, exec_lo
	s_and_b32 s26, vcc_lo, exec_lo
	s_delay_alu instid0(SALU_CYCLE_1)
	s_or_b32 s11, s11, s26
	s_or_b32 exec_lo, exec_lo, s27
	s_and_saveexec_b32 s26, s11
	s_cbranch_execnz .LBB4_263
	s_branch .LBB4_264
.LBB4_1137:                             ;   in Loop: Header=BB4_143 Depth=2
	s_mov_b32 s11, -1
	s_mov_b32 s28, exec_lo
                                        ; implicit-def: $sgpr26
	v_cmpx_eq_u16_e32 0x80, v117
; %bb.1138:                             ;   in Loop: Header=BB4_143 Depth=2
	s_mov_b32 s26, 0x7f800001
	s_xor_b32 s11, exec_lo, -1
; %bb.1139:                             ;   in Loop: Header=BB4_143 Depth=2
	s_or_b32 exec_lo, exec_lo, s28
	s_delay_alu instid0(SALU_CYCLE_1)
	s_and_b32 s11, s11, exec_lo
                                        ; implicit-def: $vgpr117
	s_or_saveexec_b32 s27, s27
	v_mov_b32_e32 v116, s26
	s_xor_b32 exec_lo, exec_lo, s27
	s_cbranch_execz .LBB4_266
.LBB4_1140:                             ;   in Loop: Header=BB4_143 Depth=2
	v_cmp_ne_u16_e32 vcc_lo, 0, v117
	v_mov_b32_e32 v116, 0
	s_and_not1_b32 s11, s11, exec_lo
	s_and_b32 s26, vcc_lo, exec_lo
	s_delay_alu instid0(SALU_CYCLE_1)
	s_or_b32 s11, s11, s26
	s_or_b32 exec_lo, exec_lo, s27
	s_and_saveexec_b32 s26, s11
	s_cbranch_execnz .LBB4_267
	s_branch .LBB4_268
.LBB4_1141:                             ;   in Loop: Header=BB4_143 Depth=2
	s_mov_b32 s11, -1
	s_mov_b32 s28, exec_lo
                                        ; implicit-def: $sgpr26
	v_cmpx_eq_u16_e32 0x80, v116
; %bb.1142:                             ;   in Loop: Header=BB4_143 Depth=2
	s_mov_b32 s26, 0x7f800001
	s_xor_b32 s11, exec_lo, -1
; %bb.1143:                             ;   in Loop: Header=BB4_143 Depth=2
	s_or_b32 exec_lo, exec_lo, s28
	s_delay_alu instid0(SALU_CYCLE_1)
	s_and_b32 s11, s11, exec_lo
                                        ; implicit-def: $vgpr116
	s_or_saveexec_b32 s27, s27
	v_mov_b32_e32 v22, s26
	s_xor_b32 exec_lo, exec_lo, s27
	s_cbranch_execz .LBB4_273
.LBB4_1144:                             ;   in Loop: Header=BB4_143 Depth=2
	v_cmp_ne_u16_e32 vcc_lo, 0, v116
	v_mov_b32_e32 v22, 0
	s_and_not1_b32 s11, s11, exec_lo
	s_and_b32 s26, vcc_lo, exec_lo
	s_delay_alu instid0(SALU_CYCLE_1)
	s_or_b32 s11, s11, s26
	s_or_b32 exec_lo, exec_lo, s27
	s_and_saveexec_b32 s26, s11
	s_cbranch_execnz .LBB4_274
	s_branch .LBB4_275
.LBB4_1145:                             ;   in Loop: Header=BB4_143 Depth=2
	s_mov_b32 s11, -1
	s_mov_b32 s28, exec_lo
                                        ; implicit-def: $sgpr26
	v_cmpx_eq_u16_e32 0x80, v117
; %bb.1146:                             ;   in Loop: Header=BB4_143 Depth=2
	s_mov_b32 s26, 0x7f800001
	s_xor_b32 s11, exec_lo, -1
; %bb.1147:                             ;   in Loop: Header=BB4_143 Depth=2
	s_or_b32 exec_lo, exec_lo, s28
	s_delay_alu instid0(SALU_CYCLE_1)
	s_and_b32 s11, s11, exec_lo
                                        ; implicit-def: $vgpr117
	s_or_saveexec_b32 s27, s27
	v_mov_b32_e32 v116, s26
	s_xor_b32 exec_lo, exec_lo, s27
	s_cbranch_execz .LBB4_277
.LBB4_1148:                             ;   in Loop: Header=BB4_143 Depth=2
	v_cmp_ne_u16_e32 vcc_lo, 0, v117
	v_mov_b32_e32 v116, 0
	s_and_not1_b32 s11, s11, exec_lo
	s_and_b32 s26, vcc_lo, exec_lo
	s_delay_alu instid0(SALU_CYCLE_1)
	s_or_b32 s11, s11, s26
	s_or_b32 exec_lo, exec_lo, s27
	s_and_saveexec_b32 s26, s11
	s_cbranch_execnz .LBB4_278
	s_branch .LBB4_279
.LBB4_1149:                             ;   in Loop: Header=BB4_143 Depth=2
	s_mov_b32 s11, -1
	s_mov_b32 s28, exec_lo
                                        ; implicit-def: $sgpr26
	v_cmpx_eq_u16_e32 0x80, v117
; %bb.1150:                             ;   in Loop: Header=BB4_143 Depth=2
	s_mov_b32 s26, 0x7f800001
	s_xor_b32 s11, exec_lo, -1
; %bb.1151:                             ;   in Loop: Header=BB4_143 Depth=2
	s_or_b32 exec_lo, exec_lo, s28
	s_delay_alu instid0(SALU_CYCLE_1)
	s_and_b32 s11, s11, exec_lo
	s_or_saveexec_b32 s27, s27
	v_mov_b32_e32 v118, s26
	s_xor_b32 exec_lo, exec_lo, s27
	s_cbranch_execz .LBB4_291
.LBB4_1152:                             ;   in Loop: Header=BB4_143 Depth=2
	v_cmp_ne_u16_e32 vcc_lo, 0, v117
	v_mov_b32_e32 v118, 0
	s_and_not1_b32 s11, s11, exec_lo
	s_and_b32 s26, vcc_lo, exec_lo
	s_delay_alu instid0(SALU_CYCLE_1)
	s_or_b32 s11, s11, s26
	s_or_b32 exec_lo, exec_lo, s27
	s_and_saveexec_b32 s26, s11
	s_cbranch_execnz .LBB4_292
	s_branch .LBB4_293
.LBB4_1153:                             ;   in Loop: Header=BB4_143 Depth=2
	s_mov_b32 s11, -1
	s_mov_b32 s28, exec_lo
                                        ; implicit-def: $sgpr26
	v_cmpx_eq_u16_e32 0x80, v116
; %bb.1154:                             ;   in Loop: Header=BB4_143 Depth=2
	s_mov_b32 s26, 0x7f800001
	s_xor_b32 s11, exec_lo, -1
; %bb.1155:                             ;   in Loop: Header=BB4_143 Depth=2
	s_or_b32 exec_lo, exec_lo, s28
	s_delay_alu instid0(SALU_CYCLE_1)
	s_and_b32 s11, s11, exec_lo
	s_or_saveexec_b32 s27, s27
	v_mov_b32_e32 v119, s26
	s_xor_b32 exec_lo, exec_lo, s27
	s_cbranch_execz .LBB4_295
.LBB4_1156:                             ;   in Loop: Header=BB4_143 Depth=2
	v_cmp_ne_u16_e32 vcc_lo, 0, v116
	v_mov_b32_e32 v119, 0
	s_and_not1_b32 s11, s11, exec_lo
	s_and_b32 s26, vcc_lo, exec_lo
	s_delay_alu instid0(SALU_CYCLE_1)
	s_or_b32 s11, s11, s26
	s_or_b32 exec_lo, exec_lo, s27
	s_and_saveexec_b32 s26, s11
	s_cbranch_execnz .LBB4_296
	s_branch .LBB4_297
.LBB4_1157:                             ;   in Loop: Header=BB4_143 Depth=2
	s_mov_b32 s11, -1
	s_mov_b32 s28, exec_lo
                                        ; implicit-def: $sgpr26
	v_cmpx_eq_u16_e32 0x80, v117
; %bb.1158:                             ;   in Loop: Header=BB4_143 Depth=2
	s_mov_b32 s26, 0x7f800001
	s_xor_b32 s11, exec_lo, -1
; %bb.1159:                             ;   in Loop: Header=BB4_143 Depth=2
	s_or_b32 exec_lo, exec_lo, s28
	s_delay_alu instid0(SALU_CYCLE_1)
	s_and_b32 s11, s11, exec_lo
	s_or_saveexec_b32 s27, s27
	v_mov_b32_e32 v118, s26
	s_xor_b32 exec_lo, exec_lo, s27
	s_cbranch_execz .LBB4_302
.LBB4_1160:                             ;   in Loop: Header=BB4_143 Depth=2
	v_cmp_ne_u16_e32 vcc_lo, 0, v117
	v_mov_b32_e32 v118, 0
	s_and_not1_b32 s11, s11, exec_lo
	s_and_b32 s26, vcc_lo, exec_lo
	s_delay_alu instid0(SALU_CYCLE_1)
	s_or_b32 s11, s11, s26
	s_or_b32 exec_lo, exec_lo, s27
	s_and_saveexec_b32 s26, s11
	s_cbranch_execnz .LBB4_303
	s_branch .LBB4_304
.LBB4_1161:                             ;   in Loop: Header=BB4_143 Depth=2
	s_mov_b32 s11, -1
	s_mov_b32 s28, exec_lo
                                        ; implicit-def: $sgpr26
	v_cmpx_eq_u16_e32 0x80, v116
; %bb.1162:                             ;   in Loop: Header=BB4_143 Depth=2
	s_mov_b32 s26, 0x7f800001
	s_xor_b32 s11, exec_lo, -1
; %bb.1163:                             ;   in Loop: Header=BB4_143 Depth=2
	s_or_b32 exec_lo, exec_lo, s28
	s_delay_alu instid0(SALU_CYCLE_1)
	s_and_b32 s11, s11, exec_lo
	s_or_saveexec_b32 s27, s27
	v_mov_b32_e32 v117, s26
	s_xor_b32 exec_lo, exec_lo, s27
	s_cbranch_execz .LBB4_306
.LBB4_1164:                             ;   in Loop: Header=BB4_143 Depth=2
	v_cmp_ne_u16_e32 vcc_lo, 0, v116
	v_mov_b32_e32 v117, 0
	s_and_not1_b32 s11, s11, exec_lo
	s_and_b32 s26, vcc_lo, exec_lo
	s_delay_alu instid0(SALU_CYCLE_1)
	s_or_b32 s11, s11, s26
	s_or_b32 exec_lo, exec_lo, s27
	s_and_saveexec_b32 s26, s11
	s_cbranch_execnz .LBB4_307
	s_branch .LBB4_308
.LBB4_1165:                             ;   in Loop: Header=BB4_143 Depth=2
	s_mov_b32 s11, -1
	s_mov_b32 s28, exec_lo
                                        ; implicit-def: $sgpr26
	v_cmpx_eq_u16_e64 0x80, v128
; %bb.1166:                             ;   in Loop: Header=BB4_143 Depth=2
	s_mov_b32 s26, 0x7f800001
	s_xor_b32 s11, exec_lo, -1
; %bb.1167:                             ;   in Loop: Header=BB4_143 Depth=2
	s_or_b32 exec_lo, exec_lo, s28
	s_delay_alu instid0(SALU_CYCLE_1)
	s_and_b32 s11, s11, exec_lo
                                        ; implicit-def: $vgpr128
	s_or_saveexec_b32 s27, s27
	v_mov_b32_e32 v119, s26
	s_xor_b32 exec_lo, exec_lo, s27
	s_cbranch_execz .LBB4_320
.LBB4_1168:                             ;   in Loop: Header=BB4_143 Depth=2
	v_cmp_ne_u16_e64 vcc_lo, 0, v128
	v_mov_b32_e32 v119, 0
	s_and_not1_b32 s11, s11, exec_lo
	s_delay_alu instid0(VALU_DEP_2) | instskip(NEXT) | instid1(SALU_CYCLE_1)
	s_and_b32 s26, vcc_lo, exec_lo
	s_or_b32 s11, s11, s26
	s_or_b32 exec_lo, exec_lo, s27
	s_and_saveexec_b32 s26, s11
	s_cbranch_execnz .LBB4_321
	s_branch .LBB4_322
.LBB4_1169:                             ;   in Loop: Header=BB4_143 Depth=2
	s_mov_b32 s11, -1
	s_mov_b32 s28, exec_lo
                                        ; implicit-def: $sgpr26
	v_cmpx_eq_u16_e64 0x80, v129
; %bb.1170:                             ;   in Loop: Header=BB4_143 Depth=2
	s_mov_b32 s26, 0x7f800001
	s_xor_b32 s11, exec_lo, -1
; %bb.1171:                             ;   in Loop: Header=BB4_143 Depth=2
	s_or_b32 exec_lo, exec_lo, s28
	s_delay_alu instid0(SALU_CYCLE_1)
	s_and_b32 s11, s11, exec_lo
                                        ; implicit-def: $vgpr129
	s_or_saveexec_b32 s27, s27
	v_mov_b32_e32 v128, s26
	s_xor_b32 exec_lo, exec_lo, s27
	s_cbranch_execz .LBB4_324
.LBB4_1172:                             ;   in Loop: Header=BB4_143 Depth=2
	v_cmp_ne_u16_e64 vcc_lo, 0, v129
	v_mov_b32_e32 v128, 0
	s_and_not1_b32 s11, s11, exec_lo
	s_delay_alu instid0(VALU_DEP_2) | instskip(NEXT) | instid1(SALU_CYCLE_1)
	s_and_b32 s26, vcc_lo, exec_lo
	s_or_b32 s11, s11, s26
	s_or_b32 exec_lo, exec_lo, s27
	s_and_saveexec_b32 s26, s11
	s_cbranch_execnz .LBB4_325
	s_branch .LBB4_326
.LBB4_1173:                             ;   in Loop: Header=BB4_143 Depth=2
	s_mov_b32 s11, -1
	s_mov_b32 s28, exec_lo
                                        ; implicit-def: $sgpr26
	v_cmpx_eq_u16_e64 0x80, v128
; %bb.1174:                             ;   in Loop: Header=BB4_143 Depth=2
	s_mov_b32 s26, 0x7f800001
	s_xor_b32 s11, exec_lo, -1
; %bb.1175:                             ;   in Loop: Header=BB4_143 Depth=2
	s_or_b32 exec_lo, exec_lo, s28
	s_delay_alu instid0(SALU_CYCLE_1)
	s_and_b32 s11, s11, exec_lo
                                        ; implicit-def: $vgpr128
	s_or_saveexec_b32 s27, s27
	v_mov_b32_e32 v119, s26
	s_xor_b32 exec_lo, exec_lo, s27
	s_cbranch_execz .LBB4_331
.LBB4_1176:                             ;   in Loop: Header=BB4_143 Depth=2
	v_cmp_ne_u16_e64 vcc_lo, 0, v128
	v_mov_b32_e32 v119, 0
	s_and_not1_b32 s11, s11, exec_lo
	s_delay_alu instid0(VALU_DEP_2) | instskip(NEXT) | instid1(SALU_CYCLE_1)
	s_and_b32 s26, vcc_lo, exec_lo
	s_or_b32 s11, s11, s26
	s_or_b32 exec_lo, exec_lo, s27
	s_and_saveexec_b32 s26, s11
	s_cbranch_execnz .LBB4_332
	s_branch .LBB4_333
.LBB4_1177:                             ;   in Loop: Header=BB4_143 Depth=2
	s_mov_b32 s11, -1
	s_mov_b32 s28, exec_lo
                                        ; implicit-def: $sgpr26
	v_cmpx_eq_u16_e64 0x80, v128
; %bb.1178:                             ;   in Loop: Header=BB4_143 Depth=2
	s_mov_b32 s26, 0x7f800001
	s_xor_b32 s11, exec_lo, -1
; %bb.1179:                             ;   in Loop: Header=BB4_143 Depth=2
	s_or_b32 exec_lo, exec_lo, s28
	s_delay_alu instid0(SALU_CYCLE_1)
	s_and_b32 s11, s11, exec_lo
                                        ; implicit-def: $vgpr128
	s_or_saveexec_b32 s27, s27
	v_mov_b32_e32 v118, s26
	s_xor_b32 exec_lo, exec_lo, s27
	s_cbranch_execz .LBB4_335
.LBB4_1180:                             ;   in Loop: Header=BB4_143 Depth=2
	v_cmp_ne_u16_e64 vcc_lo, 0, v128
	v_mov_b32_e32 v118, 0
	s_and_not1_b32 s11, s11, exec_lo
	s_delay_alu instid0(VALU_DEP_2) | instskip(NEXT) | instid1(SALU_CYCLE_1)
	s_and_b32 s26, vcc_lo, exec_lo
	s_or_b32 s11, s11, s26
	s_or_b32 exec_lo, exec_lo, s27
	s_and_saveexec_b32 s26, s11
	s_cbranch_execnz .LBB4_336
	s_branch .LBB4_337
.LBB4_1181:                             ;   in Loop: Header=BB4_143 Depth=2
	s_mov_b32 s11, -1
	s_mov_b32 s28, exec_lo
                                        ; implicit-def: $sgpr26
	v_cmpx_eq_u16_e32 0x80, v119
; %bb.1182:                             ;   in Loop: Header=BB4_143 Depth=2
	s_mov_b32 s26, 0x7f800001
	s_xor_b32 s11, exec_lo, -1
; %bb.1183:                             ;   in Loop: Header=BB4_143 Depth=2
	s_or_b32 exec_lo, exec_lo, s28
	s_delay_alu instid0(SALU_CYCLE_1)
	s_and_b32 s11, s11, exec_lo
	s_or_saveexec_b32 s27, s27
	v_mov_b32_e32 v128, s26
	s_xor_b32 exec_lo, exec_lo, s27
	s_cbranch_execz .LBB4_349
.LBB4_1184:                             ;   in Loop: Header=BB4_143 Depth=2
	v_cmp_ne_u16_e32 vcc_lo, 0, v119
	v_mov_b32_e32 v128, 0
	s_and_not1_b32 s11, s11, exec_lo
	s_and_b32 s26, vcc_lo, exec_lo
	s_delay_alu instid0(SALU_CYCLE_1)
	s_or_b32 s11, s11, s26
	s_or_b32 exec_lo, exec_lo, s27
	s_and_saveexec_b32 s26, s11
	s_cbranch_execnz .LBB4_350
	s_branch .LBB4_351
.LBB4_1185:                             ;   in Loop: Header=BB4_143 Depth=2
	s_mov_b32 s11, -1
	s_mov_b32 s28, exec_lo
                                        ; implicit-def: $sgpr26
	v_cmpx_eq_u16_e32 0x80, v118
; %bb.1186:                             ;   in Loop: Header=BB4_143 Depth=2
	s_mov_b32 s26, 0x7f800001
	s_xor_b32 s11, exec_lo, -1
; %bb.1187:                             ;   in Loop: Header=BB4_143 Depth=2
	s_or_b32 exec_lo, exec_lo, s28
	s_delay_alu instid0(SALU_CYCLE_1)
	s_and_b32 s11, s11, exec_lo
	s_or_saveexec_b32 s27, s27
	v_mov_b32_e32 v129, s26
	s_xor_b32 exec_lo, exec_lo, s27
	s_cbranch_execz .LBB4_353
.LBB4_1188:                             ;   in Loop: Header=BB4_143 Depth=2
	v_cmp_ne_u16_e32 vcc_lo, 0, v118
	v_mov_b32_e32 v129, 0
	s_and_not1_b32 s11, s11, exec_lo
	s_and_b32 s26, vcc_lo, exec_lo
	s_delay_alu instid0(SALU_CYCLE_1)
	s_or_b32 s11, s11, s26
	s_or_b32 exec_lo, exec_lo, s27
	s_and_saveexec_b32 s26, s11
	s_cbranch_execnz .LBB4_354
	s_branch .LBB4_355
.LBB4_1189:                             ;   in Loop: Header=BB4_143 Depth=2
	s_mov_b32 s11, -1
	s_mov_b32 s28, exec_lo
                                        ; implicit-def: $sgpr26
	v_cmpx_eq_u16_e32 0x80, v119
; %bb.1190:                             ;   in Loop: Header=BB4_143 Depth=2
	s_mov_b32 s26, 0x7f800001
	s_xor_b32 s11, exec_lo, -1
; %bb.1191:                             ;   in Loop: Header=BB4_143 Depth=2
	s_or_b32 exec_lo, exec_lo, s28
	s_delay_alu instid0(SALU_CYCLE_1)
	s_and_b32 s11, s11, exec_lo
	s_or_saveexec_b32 s27, s27
	v_mov_b32_e32 v128, s26
	s_xor_b32 exec_lo, exec_lo, s27
	s_cbranch_execz .LBB4_360
.LBB4_1192:                             ;   in Loop: Header=BB4_143 Depth=2
	v_cmp_ne_u16_e32 vcc_lo, 0, v119
	v_mov_b32_e32 v128, 0
	s_and_not1_b32 s11, s11, exec_lo
	s_and_b32 s26, vcc_lo, exec_lo
	s_delay_alu instid0(SALU_CYCLE_1)
	s_or_b32 s11, s11, s26
	s_or_b32 exec_lo, exec_lo, s27
	s_and_saveexec_b32 s26, s11
	s_cbranch_execnz .LBB4_361
	s_branch .LBB4_362
.LBB4_1193:                             ;   in Loop: Header=BB4_143 Depth=2
	s_mov_b32 s11, -1
	s_mov_b32 s28, exec_lo
                                        ; implicit-def: $sgpr26
	v_cmpx_eq_u16_e32 0x80, v118
; %bb.1194:                             ;   in Loop: Header=BB4_143 Depth=2
	s_mov_b32 s26, 0x7f800001
	s_xor_b32 s11, exec_lo, -1
; %bb.1195:                             ;   in Loop: Header=BB4_143 Depth=2
	s_or_b32 exec_lo, exec_lo, s28
	s_delay_alu instid0(SALU_CYCLE_1)
	s_and_b32 s11, s11, exec_lo
	s_or_saveexec_b32 s27, s27
	v_mov_b32_e32 v23, s26
	s_xor_b32 exec_lo, exec_lo, s27
	s_cbranch_execz .LBB4_364
.LBB4_1196:                             ;   in Loop: Header=BB4_143 Depth=2
	v_cmp_ne_u16_e32 vcc_lo, 0, v118
	v_mov_b32_e32 v23, 0
	s_and_not1_b32 s11, s11, exec_lo
	s_and_b32 s26, vcc_lo, exec_lo
	s_delay_alu instid0(SALU_CYCLE_1)
	s_or_b32 s11, s11, s26
	s_or_b32 exec_lo, exec_lo, s27
	s_and_saveexec_b32 s26, s11
	s_cbranch_execnz .LBB4_365
	s_branch .LBB4_366
.LBB4_1197:                             ;   in Loop: Header=BB4_143 Depth=2
	s_mov_b32 s11, -1
	s_mov_b32 s28, exec_lo
                                        ; implicit-def: $sgpr26
	v_cmpx_eq_u16_e32 0x80, v118
; %bb.1198:                             ;   in Loop: Header=BB4_143 Depth=2
	s_mov_b32 s26, 0x7f800001
	s_xor_b32 s11, exec_lo, -1
; %bb.1199:                             ;   in Loop: Header=BB4_143 Depth=2
	s_or_b32 exec_lo, exec_lo, s28
	s_delay_alu instid0(SALU_CYCLE_1)
	s_and_b32 s11, s11, exec_lo
                                        ; implicit-def: $vgpr118
	s_or_saveexec_b32 s27, s27
	v_mov_b32_e32 v23, s26
	s_xor_b32 exec_lo, exec_lo, s27
	s_cbranch_execz .LBB4_378
.LBB4_1200:                             ;   in Loop: Header=BB4_143 Depth=2
	v_cmp_ne_u16_e32 vcc_lo, 0, v118
	v_mov_b32_e32 v23, 0
	s_and_not1_b32 s11, s11, exec_lo
	s_and_b32 s26, vcc_lo, exec_lo
	s_delay_alu instid0(SALU_CYCLE_1)
	s_or_b32 s11, s11, s26
	s_or_b32 exec_lo, exec_lo, s27
	s_and_saveexec_b32 s26, s11
	s_cbranch_execnz .LBB4_379
	s_branch .LBB4_380
.LBB4_1201:                             ;   in Loop: Header=BB4_143 Depth=2
	s_mov_b32 s11, -1
	s_mov_b32 s28, exec_lo
                                        ; implicit-def: $sgpr26
	v_cmpx_eq_u16_e32 0x80, v119
; %bb.1202:                             ;   in Loop: Header=BB4_143 Depth=2
	s_mov_b32 s26, 0x7f800001
	s_xor_b32 s11, exec_lo, -1
; %bb.1203:                             ;   in Loop: Header=BB4_143 Depth=2
	s_or_b32 exec_lo, exec_lo, s28
	s_delay_alu instid0(SALU_CYCLE_1)
	s_and_b32 s11, s11, exec_lo
                                        ; implicit-def: $vgpr119
	s_or_saveexec_b32 s27, s27
	v_mov_b32_e32 v118, s26
	s_xor_b32 exec_lo, exec_lo, s27
	s_cbranch_execz .LBB4_382
.LBB4_1204:                             ;   in Loop: Header=BB4_143 Depth=2
	v_cmp_ne_u16_e32 vcc_lo, 0, v119
	v_mov_b32_e32 v118, 0
	s_and_not1_b32 s11, s11, exec_lo
	s_and_b32 s26, vcc_lo, exec_lo
	s_delay_alu instid0(SALU_CYCLE_1)
	s_or_b32 s11, s11, s26
	s_or_b32 exec_lo, exec_lo, s27
	s_and_saveexec_b32 s26, s11
	s_cbranch_execnz .LBB4_383
	s_branch .LBB4_384
.LBB4_1205:                             ;   in Loop: Header=BB4_143 Depth=2
	s_mov_b32 s11, -1
	s_mov_b32 s28, exec_lo
                                        ; implicit-def: $sgpr26
	v_cmpx_eq_u16_e32 0x80, v118
; %bb.1206:                             ;   in Loop: Header=BB4_143 Depth=2
	s_mov_b32 s26, 0x7f800001
	s_xor_b32 s11, exec_lo, -1
; %bb.1207:                             ;   in Loop: Header=BB4_143 Depth=2
	s_or_b32 exec_lo, exec_lo, s28
	s_delay_alu instid0(SALU_CYCLE_1)
	s_and_b32 s11, s11, exec_lo
                                        ; implicit-def: $vgpr118
	s_or_saveexec_b32 s27, s27
	v_mov_b32_e32 v23, s26
	s_xor_b32 exec_lo, exec_lo, s27
	s_cbranch_execz .LBB4_389
.LBB4_1208:                             ;   in Loop: Header=BB4_143 Depth=2
	v_cmp_ne_u16_e32 vcc_lo, 0, v118
	v_mov_b32_e32 v23, 0
	s_and_not1_b32 s11, s11, exec_lo
	s_and_b32 s26, vcc_lo, exec_lo
	s_delay_alu instid0(SALU_CYCLE_1)
	s_or_b32 s11, s11, s26
	s_or_b32 exec_lo, exec_lo, s27
	s_and_saveexec_b32 s26, s11
	s_cbranch_execnz .LBB4_390
	s_branch .LBB4_391
.LBB4_1209:                             ;   in Loop: Header=BB4_143 Depth=2
	s_mov_b32 s11, -1
	s_mov_b32 s28, exec_lo
                                        ; implicit-def: $sgpr26
	v_cmpx_eq_u16_e32 0x80, v119
; %bb.1210:                             ;   in Loop: Header=BB4_143 Depth=2
	s_mov_b32 s26, 0x7f800001
	s_xor_b32 s11, exec_lo, -1
; %bb.1211:                             ;   in Loop: Header=BB4_143 Depth=2
	s_or_b32 exec_lo, exec_lo, s28
	s_delay_alu instid0(SALU_CYCLE_1)
	s_and_b32 s11, s11, exec_lo
                                        ; implicit-def: $vgpr119
	s_or_saveexec_b32 s27, s27
	v_mov_b32_e32 v118, s26
	s_xor_b32 exec_lo, exec_lo, s27
	s_cbranch_execz .LBB4_393
.LBB4_1212:                             ;   in Loop: Header=BB4_143 Depth=2
	v_cmp_ne_u16_e32 vcc_lo, 0, v119
	v_mov_b32_e32 v118, 0
	s_and_not1_b32 s11, s11, exec_lo
	s_and_b32 s26, vcc_lo, exec_lo
	s_delay_alu instid0(SALU_CYCLE_1)
	s_or_b32 s11, s11, s26
	s_or_b32 exec_lo, exec_lo, s27
	s_and_saveexec_b32 s26, s11
	s_cbranch_execnz .LBB4_394
	s_branch .LBB4_395
.LBB4_1213:                             ;   in Loop: Header=BB4_143 Depth=2
	s_mov_b32 s11, -1
	s_mov_b32 s28, exec_lo
                                        ; implicit-def: $sgpr26
	v_cmpx_eq_u16_e32 0x80, v119
; %bb.1214:                             ;   in Loop: Header=BB4_143 Depth=2
	s_mov_b32 s26, 0x7f800001
	s_xor_b32 s11, exec_lo, -1
; %bb.1215:                             ;   in Loop: Header=BB4_143 Depth=2
	s_or_b32 exec_lo, exec_lo, s28
	s_delay_alu instid0(SALU_CYCLE_1)
	s_and_b32 s11, s11, exec_lo
	s_or_saveexec_b32 s27, s27
	v_mov_b32_e32 v128, s26
	s_xor_b32 exec_lo, exec_lo, s27
	s_cbranch_execz .LBB4_407
.LBB4_1216:                             ;   in Loop: Header=BB4_143 Depth=2
	v_cmp_ne_u16_e32 vcc_lo, 0, v119
	v_mov_b32_e32 v128, 0
	s_and_not1_b32 s11, s11, exec_lo
	s_and_b32 s26, vcc_lo, exec_lo
	s_delay_alu instid0(SALU_CYCLE_1)
	s_or_b32 s11, s11, s26
	s_or_b32 exec_lo, exec_lo, s27
	s_and_saveexec_b32 s26, s11
	s_cbranch_execnz .LBB4_408
	s_branch .LBB4_409
.LBB4_1217:                             ;   in Loop: Header=BB4_143 Depth=2
	s_mov_b32 s11, -1
	s_mov_b32 s28, exec_lo
                                        ; implicit-def: $sgpr26
	v_cmpx_eq_u16_e32 0x80, v118
; %bb.1218:                             ;   in Loop: Header=BB4_143 Depth=2
	s_mov_b32 s26, 0x7f800001
	s_xor_b32 s11, exec_lo, -1
; %bb.1219:                             ;   in Loop: Header=BB4_143 Depth=2
	s_or_b32 exec_lo, exec_lo, s28
	s_delay_alu instid0(SALU_CYCLE_1)
	s_and_b32 s11, s11, exec_lo
	s_or_saveexec_b32 s27, s27
	v_mov_b32_e32 v129, s26
	s_xor_b32 exec_lo, exec_lo, s27
	s_cbranch_execz .LBB4_411
.LBB4_1220:                             ;   in Loop: Header=BB4_143 Depth=2
	v_cmp_ne_u16_e32 vcc_lo, 0, v118
	v_mov_b32_e32 v129, 0
	s_and_not1_b32 s11, s11, exec_lo
	s_and_b32 s26, vcc_lo, exec_lo
	s_delay_alu instid0(SALU_CYCLE_1)
	s_or_b32 s11, s11, s26
	s_or_b32 exec_lo, exec_lo, s27
	s_and_saveexec_b32 s26, s11
	s_cbranch_execnz .LBB4_412
	s_branch .LBB4_413
.LBB4_1221:                             ;   in Loop: Header=BB4_143 Depth=2
	s_mov_b32 s11, -1
	s_mov_b32 s28, exec_lo
                                        ; implicit-def: $sgpr26
	v_cmpx_eq_u16_e32 0x80, v119
; %bb.1222:                             ;   in Loop: Header=BB4_143 Depth=2
	s_mov_b32 s26, 0x7f800001
	s_xor_b32 s11, exec_lo, -1
; %bb.1223:                             ;   in Loop: Header=BB4_143 Depth=2
	s_or_b32 exec_lo, exec_lo, s28
	s_delay_alu instid0(SALU_CYCLE_1)
	s_and_b32 s11, s11, exec_lo
	s_or_saveexec_b32 s27, s27
	v_mov_b32_e32 v128, s26
	s_xor_b32 exec_lo, exec_lo, s27
	s_cbranch_execz .LBB4_418
.LBB4_1224:                             ;   in Loop: Header=BB4_143 Depth=2
	v_cmp_ne_u16_e32 vcc_lo, 0, v119
	v_mov_b32_e32 v128, 0
	s_and_not1_b32 s11, s11, exec_lo
	s_and_b32 s26, vcc_lo, exec_lo
	s_delay_alu instid0(SALU_CYCLE_1)
	s_or_b32 s11, s11, s26
	s_or_b32 exec_lo, exec_lo, s27
	s_and_saveexec_b32 s26, s11
	s_cbranch_execnz .LBB4_419
	s_branch .LBB4_420
.LBB4_1225:                             ;   in Loop: Header=BB4_143 Depth=2
	s_mov_b32 s11, -1
	s_mov_b32 s28, exec_lo
                                        ; implicit-def: $sgpr26
	v_cmpx_eq_u16_e32 0x80, v118
; %bb.1226:                             ;   in Loop: Header=BB4_143 Depth=2
	s_mov_b32 s26, 0x7f800001
	s_xor_b32 s11, exec_lo, -1
; %bb.1227:                             ;   in Loop: Header=BB4_143 Depth=2
	s_or_b32 exec_lo, exec_lo, s28
	s_delay_alu instid0(SALU_CYCLE_1)
	s_and_b32 s11, s11, exec_lo
	s_or_saveexec_b32 s27, s27
	v_mov_b32_e32 v119, s26
	s_xor_b32 exec_lo, exec_lo, s27
	s_cbranch_execz .LBB4_422
.LBB4_1228:                             ;   in Loop: Header=BB4_143 Depth=2
	v_cmp_ne_u16_e32 vcc_lo, 0, v118
	v_mov_b32_e32 v119, 0
	s_and_not1_b32 s11, s11, exec_lo
	s_and_b32 s26, vcc_lo, exec_lo
	s_delay_alu instid0(SALU_CYCLE_1)
	s_or_b32 s11, s11, s26
	s_or_b32 exec_lo, exec_lo, s27
	s_and_saveexec_b32 s26, s11
	s_cbranch_execnz .LBB4_423
	s_branch .LBB4_424
.LBB4_1229:                             ;   in Loop: Header=BB4_143 Depth=2
	s_mov_b32 s11, -1
	s_mov_b32 s28, exec_lo
                                        ; implicit-def: $sgpr26
	v_cmpx_eq_u16_e64 0x80, v130
; %bb.1230:                             ;   in Loop: Header=BB4_143 Depth=2
	s_mov_b32 s26, 0x7f800001
	s_xor_b32 s11, exec_lo, -1
; %bb.1231:                             ;   in Loop: Header=BB4_143 Depth=2
	s_or_b32 exec_lo, exec_lo, s28
	s_delay_alu instid0(SALU_CYCLE_1)
	s_and_b32 s11, s11, exec_lo
                                        ; implicit-def: $vgpr130
	s_or_saveexec_b32 s27, s27
	v_mov_b32_e32 v129, s26
	s_xor_b32 exec_lo, exec_lo, s27
	s_cbranch_execz .LBB4_436
.LBB4_1232:                             ;   in Loop: Header=BB4_143 Depth=2
	v_cmp_ne_u16_e64 vcc_lo, 0, v130
	v_mov_b32_e32 v129, 0
	s_and_not1_b32 s11, s11, exec_lo
	s_delay_alu instid0(VALU_DEP_2) | instskip(NEXT) | instid1(SALU_CYCLE_1)
	s_and_b32 s26, vcc_lo, exec_lo
	s_or_b32 s11, s11, s26
	s_or_b32 exec_lo, exec_lo, s27
	s_and_saveexec_b32 s26, s11
	s_cbranch_execnz .LBB4_437
	s_branch .LBB4_438
.LBB4_1233:                             ;   in Loop: Header=BB4_143 Depth=2
	s_mov_b32 s11, -1
	s_mov_b32 s28, exec_lo
                                        ; implicit-def: $sgpr26
	v_cmpx_eq_u16_e64 0x80, v131
; %bb.1234:                             ;   in Loop: Header=BB4_143 Depth=2
	s_mov_b32 s26, 0x7f800001
	s_xor_b32 s11, exec_lo, -1
; %bb.1235:                             ;   in Loop: Header=BB4_143 Depth=2
	s_or_b32 exec_lo, exec_lo, s28
	s_delay_alu instid0(SALU_CYCLE_1)
	s_and_b32 s11, s11, exec_lo
                                        ; implicit-def: $vgpr131
	s_or_saveexec_b32 s27, s27
	v_mov_b32_e32 v130, s26
	s_xor_b32 exec_lo, exec_lo, s27
	s_cbranch_execz .LBB4_440
.LBB4_1236:                             ;   in Loop: Header=BB4_143 Depth=2
	v_cmp_ne_u16_e64 vcc_lo, 0, v131
	v_mov_b32_e32 v130, 0
	s_and_not1_b32 s11, s11, exec_lo
	s_delay_alu instid0(VALU_DEP_2) | instskip(NEXT) | instid1(SALU_CYCLE_1)
	s_and_b32 s26, vcc_lo, exec_lo
	s_or_b32 s11, s11, s26
	s_or_b32 exec_lo, exec_lo, s27
	s_and_saveexec_b32 s26, s11
	s_cbranch_execnz .LBB4_441
	s_branch .LBB4_442
.LBB4_1237:                             ;   in Loop: Header=BB4_143 Depth=2
	s_mov_b32 s11, -1
	s_mov_b32 s28, exec_lo
                                        ; implicit-def: $sgpr26
	v_cmpx_eq_u16_e64 0x80, v130
; %bb.1238:                             ;   in Loop: Header=BB4_143 Depth=2
	s_mov_b32 s26, 0x7f800001
	s_xor_b32 s11, exec_lo, -1
; %bb.1239:                             ;   in Loop: Header=BB4_143 Depth=2
	s_or_b32 exec_lo, exec_lo, s28
	s_delay_alu instid0(SALU_CYCLE_1)
	s_and_b32 s11, s11, exec_lo
                                        ; implicit-def: $vgpr130
	s_or_saveexec_b32 s27, s27
	v_mov_b32_e32 v129, s26
	s_xor_b32 exec_lo, exec_lo, s27
	s_cbranch_execz .LBB4_447
.LBB4_1240:                             ;   in Loop: Header=BB4_143 Depth=2
	v_cmp_ne_u16_e64 vcc_lo, 0, v130
	v_mov_b32_e32 v129, 0
	s_and_not1_b32 s11, s11, exec_lo
	s_delay_alu instid0(VALU_DEP_2) | instskip(NEXT) | instid1(SALU_CYCLE_1)
	s_and_b32 s26, vcc_lo, exec_lo
	s_or_b32 s11, s11, s26
	s_or_b32 exec_lo, exec_lo, s27
	s_and_saveexec_b32 s26, s11
	s_cbranch_execnz .LBB4_448
	s_branch .LBB4_449
.LBB4_1241:                             ;   in Loop: Header=BB4_143 Depth=2
	s_mov_b32 s11, -1
	s_mov_b32 s28, exec_lo
                                        ; implicit-def: $sgpr26
	v_cmpx_eq_u16_e64 0x80, v130
; %bb.1242:                             ;   in Loop: Header=BB4_143 Depth=2
	s_mov_b32 s26, 0x7f800001
	s_xor_b32 s11, exec_lo, -1
; %bb.1243:                             ;   in Loop: Header=BB4_143 Depth=2
	s_or_b32 exec_lo, exec_lo, s28
	s_delay_alu instid0(SALU_CYCLE_1)
	s_and_b32 s11, s11, exec_lo
                                        ; implicit-def: $vgpr130
	s_or_saveexec_b32 s27, s27
	v_mov_b32_e32 v128, s26
	s_xor_b32 exec_lo, exec_lo, s27
	s_cbranch_execz .LBB4_451
.LBB4_1244:                             ;   in Loop: Header=BB4_143 Depth=2
	v_cmp_ne_u16_e64 vcc_lo, 0, v130
	v_mov_b32_e32 v128, 0
	s_and_not1_b32 s11, s11, exec_lo
	s_delay_alu instid0(VALU_DEP_2) | instskip(NEXT) | instid1(SALU_CYCLE_1)
	s_and_b32 s26, vcc_lo, exec_lo
	s_or_b32 s11, s11, s26
	s_or_b32 exec_lo, exec_lo, s27
	s_and_saveexec_b32 s26, s11
	s_cbranch_execnz .LBB4_452
	s_branch .LBB4_453
.LBB4_1245:                             ;   in Loop: Header=BB4_143 Depth=2
	s_mov_b32 s11, -1
	s_mov_b32 s28, exec_lo
                                        ; implicit-def: $sgpr26
	v_cmpx_eq_u16_e64 0x80, v129
; %bb.1246:                             ;   in Loop: Header=BB4_143 Depth=2
	s_mov_b32 s26, 0x7f800001
	s_xor_b32 s11, exec_lo, -1
; %bb.1247:                             ;   in Loop: Header=BB4_143 Depth=2
	s_or_b32 exec_lo, exec_lo, s28
	s_delay_alu instid0(SALU_CYCLE_1)
	s_and_b32 s11, s11, exec_lo
	s_or_saveexec_b32 s27, s27
	v_mov_b32_e32 v130, s26
	s_xor_b32 exec_lo, exec_lo, s27
	s_cbranch_execz .LBB4_465
.LBB4_1248:                             ;   in Loop: Header=BB4_143 Depth=2
	v_cmp_ne_u16_e64 vcc_lo, 0, v129
	v_mov_b32_e32 v130, 0
	s_and_not1_b32 s11, s11, exec_lo
	s_delay_alu instid0(VALU_DEP_2) | instskip(NEXT) | instid1(SALU_CYCLE_1)
	s_and_b32 s26, vcc_lo, exec_lo
	s_or_b32 s11, s11, s26
	s_or_b32 exec_lo, exec_lo, s27
	s_and_saveexec_b32 s26, s11
	s_cbranch_execnz .LBB4_466
	s_branch .LBB4_467
.LBB4_1249:                             ;   in Loop: Header=BB4_143 Depth=2
	s_mov_b32 s11, -1
	s_mov_b32 s28, exec_lo
                                        ; implicit-def: $sgpr26
	v_cmpx_eq_u16_e64 0x80, v128
; %bb.1250:                             ;   in Loop: Header=BB4_143 Depth=2
	s_mov_b32 s26, 0x7f800001
	s_xor_b32 s11, exec_lo, -1
; %bb.1251:                             ;   in Loop: Header=BB4_143 Depth=2
	s_or_b32 exec_lo, exec_lo, s28
	s_delay_alu instid0(SALU_CYCLE_1)
	s_and_b32 s11, s11, exec_lo
	s_or_saveexec_b32 s27, s27
	v_mov_b32_e32 v131, s26
	s_xor_b32 exec_lo, exec_lo, s27
	s_cbranch_execz .LBB4_469
.LBB4_1252:                             ;   in Loop: Header=BB4_143 Depth=2
	v_cmp_ne_u16_e64 vcc_lo, 0, v128
	v_mov_b32_e32 v131, 0
	s_and_not1_b32 s11, s11, exec_lo
	s_delay_alu instid0(VALU_DEP_2) | instskip(NEXT) | instid1(SALU_CYCLE_1)
	s_and_b32 s26, vcc_lo, exec_lo
	s_or_b32 s11, s11, s26
	s_or_b32 exec_lo, exec_lo, s27
	s_and_saveexec_b32 s26, s11
	s_cbranch_execnz .LBB4_470
	s_branch .LBB4_471
.LBB4_1253:                             ;   in Loop: Header=BB4_143 Depth=2
	s_mov_b32 s11, -1
	s_mov_b32 s28, exec_lo
                                        ; implicit-def: $sgpr26
	v_cmpx_eq_u16_e64 0x80, v129
; %bb.1254:                             ;   in Loop: Header=BB4_143 Depth=2
	s_mov_b32 s26, 0x7f800001
	s_xor_b32 s11, exec_lo, -1
; %bb.1255:                             ;   in Loop: Header=BB4_143 Depth=2
	s_or_b32 exec_lo, exec_lo, s28
	s_delay_alu instid0(SALU_CYCLE_1)
	s_and_b32 s11, s11, exec_lo
	s_or_saveexec_b32 s27, s27
	v_mov_b32_e32 v130, s26
	s_xor_b32 exec_lo, exec_lo, s27
	s_cbranch_execz .LBB4_476
.LBB4_1256:                             ;   in Loop: Header=BB4_143 Depth=2
	v_cmp_ne_u16_e64 vcc_lo, 0, v129
	v_mov_b32_e32 v130, 0
	s_and_not1_b32 s11, s11, exec_lo
	s_delay_alu instid0(VALU_DEP_2) | instskip(NEXT) | instid1(SALU_CYCLE_1)
	s_and_b32 s26, vcc_lo, exec_lo
	s_or_b32 s11, s11, s26
	s_or_b32 exec_lo, exec_lo, s27
	s_and_saveexec_b32 s26, s11
	s_cbranch_execnz .LBB4_477
	s_branch .LBB4_478
.LBB4_1257:                             ;   in Loop: Header=BB4_143 Depth=2
	s_mov_b32 s11, -1
	s_mov_b32 s28, exec_lo
                                        ; implicit-def: $sgpr26
	v_cmpx_eq_u16_e64 0x80, v128
; %bb.1258:                             ;   in Loop: Header=BB4_143 Depth=2
	s_mov_b32 s26, 0x7f800001
	s_xor_b32 s11, exec_lo, -1
; %bb.1259:                             ;   in Loop: Header=BB4_143 Depth=2
	s_or_b32 exec_lo, exec_lo, s28
	s_delay_alu instid0(SALU_CYCLE_1)
	s_and_b32 s11, s11, exec_lo
	s_or_saveexec_b32 s27, s27
	v_mov_b32_e32 v24, s26
	s_xor_b32 exec_lo, exec_lo, s27
	s_cbranch_execz .LBB4_480
.LBB4_1260:                             ;   in Loop: Header=BB4_143 Depth=2
	v_cmp_ne_u16_e64 vcc_lo, 0, v128
	v_mov_b32_e32 v24, 0
	s_and_not1_b32 s11, s11, exec_lo
	s_delay_alu instid0(VALU_DEP_2) | instskip(NEXT) | instid1(SALU_CYCLE_1)
	s_and_b32 s26, vcc_lo, exec_lo
	s_or_b32 s11, s11, s26
	s_or_b32 exec_lo, exec_lo, s27
	s_and_saveexec_b32 s26, s11
	s_cbranch_execnz .LBB4_481
	s_branch .LBB4_482
.LBB4_1261:                             ;   in Loop: Header=BB4_143 Depth=2
	s_mov_b32 s11, -1
	s_mov_b32 s28, exec_lo
                                        ; implicit-def: $sgpr26
	v_cmpx_eq_u16_e64 0x80, v128
; %bb.1262:                             ;   in Loop: Header=BB4_143 Depth=2
	s_mov_b32 s26, 0x7f800001
	s_xor_b32 s11, exec_lo, -1
; %bb.1263:                             ;   in Loop: Header=BB4_143 Depth=2
	s_or_b32 exec_lo, exec_lo, s28
	s_delay_alu instid0(SALU_CYCLE_1)
	s_and_b32 s11, s11, exec_lo
                                        ; implicit-def: $vgpr128
	s_or_saveexec_b32 s27, s27
	v_mov_b32_e32 v24, s26
	s_xor_b32 exec_lo, exec_lo, s27
	s_cbranch_execz .LBB4_494
.LBB4_1264:                             ;   in Loop: Header=BB4_143 Depth=2
	v_cmp_ne_u16_e64 vcc_lo, 0, v128
	v_mov_b32_e32 v24, 0
	s_and_not1_b32 s11, s11, exec_lo
	s_delay_alu instid0(VALU_DEP_2) | instskip(NEXT) | instid1(SALU_CYCLE_1)
	s_and_b32 s26, vcc_lo, exec_lo
	s_or_b32 s11, s11, s26
	s_or_b32 exec_lo, exec_lo, s27
	s_and_saveexec_b32 s26, s11
	s_cbranch_execnz .LBB4_495
	s_branch .LBB4_496
.LBB4_1265:                             ;   in Loop: Header=BB4_143 Depth=2
	s_mov_b32 s11, -1
	s_mov_b32 s28, exec_lo
                                        ; implicit-def: $sgpr26
	v_cmpx_eq_u16_e64 0x80, v129
; %bb.1266:                             ;   in Loop: Header=BB4_143 Depth=2
	s_mov_b32 s26, 0x7f800001
	s_xor_b32 s11, exec_lo, -1
; %bb.1267:                             ;   in Loop: Header=BB4_143 Depth=2
	s_or_b32 exec_lo, exec_lo, s28
	s_delay_alu instid0(SALU_CYCLE_1)
	s_and_b32 s11, s11, exec_lo
                                        ; implicit-def: $vgpr129
	s_or_saveexec_b32 s27, s27
	v_mov_b32_e32 v128, s26
	s_xor_b32 exec_lo, exec_lo, s27
	s_cbranch_execz .LBB4_498
.LBB4_1268:                             ;   in Loop: Header=BB4_143 Depth=2
	v_cmp_ne_u16_e64 vcc_lo, 0, v129
	v_mov_b32_e32 v128, 0
	s_and_not1_b32 s11, s11, exec_lo
	s_delay_alu instid0(VALU_DEP_2) | instskip(NEXT) | instid1(SALU_CYCLE_1)
	s_and_b32 s26, vcc_lo, exec_lo
	s_or_b32 s11, s11, s26
	s_or_b32 exec_lo, exec_lo, s27
	s_and_saveexec_b32 s26, s11
	s_cbranch_execnz .LBB4_499
	s_branch .LBB4_500
.LBB4_1269:                             ;   in Loop: Header=BB4_143 Depth=2
	s_mov_b32 s11, -1
	s_mov_b32 s28, exec_lo
                                        ; implicit-def: $sgpr26
	v_cmpx_eq_u16_e64 0x80, v128
; %bb.1270:                             ;   in Loop: Header=BB4_143 Depth=2
	s_mov_b32 s26, 0x7f800001
	s_xor_b32 s11, exec_lo, -1
; %bb.1271:                             ;   in Loop: Header=BB4_143 Depth=2
	s_or_b32 exec_lo, exec_lo, s28
	s_delay_alu instid0(SALU_CYCLE_1)
	s_and_b32 s11, s11, exec_lo
                                        ; implicit-def: $vgpr128
	s_or_saveexec_b32 s27, s27
	v_mov_b32_e32 v24, s26
	s_xor_b32 exec_lo, exec_lo, s27
	s_cbranch_execz .LBB4_505
.LBB4_1272:                             ;   in Loop: Header=BB4_143 Depth=2
	v_cmp_ne_u16_e64 vcc_lo, 0, v128
	v_mov_b32_e32 v24, 0
	s_and_not1_b32 s11, s11, exec_lo
	s_delay_alu instid0(VALU_DEP_2) | instskip(NEXT) | instid1(SALU_CYCLE_1)
	s_and_b32 s26, vcc_lo, exec_lo
	s_or_b32 s11, s11, s26
	s_or_b32 exec_lo, exec_lo, s27
	s_and_saveexec_b32 s26, s11
	s_cbranch_execnz .LBB4_506
	s_branch .LBB4_507
.LBB4_1273:                             ;   in Loop: Header=BB4_143 Depth=2
	s_mov_b32 s11, -1
	s_mov_b32 s28, exec_lo
                                        ; implicit-def: $sgpr26
	v_cmpx_eq_u16_e64 0x80, v129
; %bb.1274:                             ;   in Loop: Header=BB4_143 Depth=2
	s_mov_b32 s26, 0x7f800001
	s_xor_b32 s11, exec_lo, -1
; %bb.1275:                             ;   in Loop: Header=BB4_143 Depth=2
	s_or_b32 exec_lo, exec_lo, s28
	s_delay_alu instid0(SALU_CYCLE_1)
	s_and_b32 s11, s11, exec_lo
                                        ; implicit-def: $vgpr129
	s_or_saveexec_b32 s27, s27
	v_mov_b32_e32 v128, s26
	s_xor_b32 exec_lo, exec_lo, s27
	s_cbranch_execz .LBB4_509
.LBB4_1276:                             ;   in Loop: Header=BB4_143 Depth=2
	v_cmp_ne_u16_e64 vcc_lo, 0, v129
	v_mov_b32_e32 v128, 0
	s_and_not1_b32 s11, s11, exec_lo
	s_delay_alu instid0(VALU_DEP_2) | instskip(NEXT) | instid1(SALU_CYCLE_1)
	s_and_b32 s26, vcc_lo, exec_lo
	s_or_b32 s11, s11, s26
	s_or_b32 exec_lo, exec_lo, s27
	s_and_saveexec_b32 s26, s11
	s_cbranch_execnz .LBB4_510
	s_branch .LBB4_511
.LBB4_1277:                             ;   in Loop: Header=BB4_143 Depth=2
	s_mov_b32 s11, -1
	s_mov_b32 s28, exec_lo
                                        ; implicit-def: $sgpr26
	v_cmpx_eq_u16_e64 0x80, v129
; %bb.1278:                             ;   in Loop: Header=BB4_143 Depth=2
	s_mov_b32 s26, 0x7f800001
	s_xor_b32 s11, exec_lo, -1
; %bb.1279:                             ;   in Loop: Header=BB4_143 Depth=2
	s_or_b32 exec_lo, exec_lo, s28
	s_delay_alu instid0(SALU_CYCLE_1)
	s_and_b32 s11, s11, exec_lo
	s_or_saveexec_b32 s27, s27
	v_mov_b32_e32 v130, s26
	s_xor_b32 exec_lo, exec_lo, s27
	s_cbranch_execz .LBB4_523
.LBB4_1280:                             ;   in Loop: Header=BB4_143 Depth=2
	v_cmp_ne_u16_e64 vcc_lo, 0, v129
	v_mov_b32_e32 v130, 0
	s_and_not1_b32 s11, s11, exec_lo
	s_delay_alu instid0(VALU_DEP_2) | instskip(NEXT) | instid1(SALU_CYCLE_1)
	s_and_b32 s26, vcc_lo, exec_lo
	s_or_b32 s11, s11, s26
	s_or_b32 exec_lo, exec_lo, s27
	s_and_saveexec_b32 s26, s11
	s_cbranch_execnz .LBB4_524
	s_branch .LBB4_525
.LBB4_1281:                             ;   in Loop: Header=BB4_143 Depth=2
	s_mov_b32 s11, -1
	s_mov_b32 s28, exec_lo
                                        ; implicit-def: $sgpr26
	v_cmpx_eq_u16_e64 0x80, v128
; %bb.1282:                             ;   in Loop: Header=BB4_143 Depth=2
	s_mov_b32 s26, 0x7f800001
	s_xor_b32 s11, exec_lo, -1
; %bb.1283:                             ;   in Loop: Header=BB4_143 Depth=2
	s_or_b32 exec_lo, exec_lo, s28
	s_delay_alu instid0(SALU_CYCLE_1)
	s_and_b32 s11, s11, exec_lo
	s_or_saveexec_b32 s27, s27
	v_mov_b32_e32 v131, s26
	s_xor_b32 exec_lo, exec_lo, s27
	s_cbranch_execz .LBB4_527
.LBB4_1284:                             ;   in Loop: Header=BB4_143 Depth=2
	v_cmp_ne_u16_e64 vcc_lo, 0, v128
	v_mov_b32_e32 v131, 0
	s_and_not1_b32 s11, s11, exec_lo
	s_delay_alu instid0(VALU_DEP_2) | instskip(NEXT) | instid1(SALU_CYCLE_1)
	s_and_b32 s26, vcc_lo, exec_lo
	s_or_b32 s11, s11, s26
	s_or_b32 exec_lo, exec_lo, s27
	s_and_saveexec_b32 s26, s11
	s_cbranch_execnz .LBB4_528
	s_branch .LBB4_529
.LBB4_1285:                             ;   in Loop: Header=BB4_143 Depth=2
	s_mov_b32 s11, -1
	s_mov_b32 s28, exec_lo
                                        ; implicit-def: $sgpr26
	v_cmpx_eq_u16_e64 0x80, v129
; %bb.1286:                             ;   in Loop: Header=BB4_143 Depth=2
	s_mov_b32 s26, 0x7f800001
	s_xor_b32 s11, exec_lo, -1
; %bb.1287:                             ;   in Loop: Header=BB4_143 Depth=2
	s_or_b32 exec_lo, exec_lo, s28
	s_delay_alu instid0(SALU_CYCLE_1)
	s_and_b32 s11, s11, exec_lo
	s_or_saveexec_b32 s27, s27
	v_mov_b32_e32 v130, s26
	s_xor_b32 exec_lo, exec_lo, s27
	s_cbranch_execz .LBB4_534
.LBB4_1288:                             ;   in Loop: Header=BB4_143 Depth=2
	v_cmp_ne_u16_e64 vcc_lo, 0, v129
	v_mov_b32_e32 v130, 0
	s_and_not1_b32 s11, s11, exec_lo
	s_delay_alu instid0(VALU_DEP_2) | instskip(NEXT) | instid1(SALU_CYCLE_1)
	s_and_b32 s26, vcc_lo, exec_lo
	s_or_b32 s11, s11, s26
	s_or_b32 exec_lo, exec_lo, s27
	s_and_saveexec_b32 s26, s11
	s_cbranch_execnz .LBB4_535
	s_branch .LBB4_536
.LBB4_1289:                             ;   in Loop: Header=BB4_143 Depth=2
	s_mov_b32 s11, -1
	s_mov_b32 s28, exec_lo
                                        ; implicit-def: $sgpr26
	v_cmpx_eq_u16_e64 0x80, v128
; %bb.1290:                             ;   in Loop: Header=BB4_143 Depth=2
	s_mov_b32 s26, 0x7f800001
	s_xor_b32 s11, exec_lo, -1
; %bb.1291:                             ;   in Loop: Header=BB4_143 Depth=2
	s_or_b32 exec_lo, exec_lo, s28
	s_delay_alu instid0(SALU_CYCLE_1)
	s_and_b32 s11, s11, exec_lo
	s_or_saveexec_b32 s27, s27
	v_mov_b32_e32 v129, s26
	s_xor_b32 exec_lo, exec_lo, s27
	s_cbranch_execz .LBB4_538
.LBB4_1292:                             ;   in Loop: Header=BB4_143 Depth=2
	v_cmp_ne_u16_e64 vcc_lo, 0, v128
	v_mov_b32_e32 v129, 0
	s_and_not1_b32 s11, s11, exec_lo
	s_delay_alu instid0(VALU_DEP_2) | instskip(NEXT) | instid1(SALU_CYCLE_1)
	s_and_b32 s26, vcc_lo, exec_lo
	s_or_b32 s11, s11, s26
	s_or_b32 exec_lo, exec_lo, s27
	s_and_saveexec_b32 s26, s11
	s_cbranch_execnz .LBB4_539
	s_branch .LBB4_540
.LBB4_1293:                             ;   in Loop: Header=BB4_143 Depth=2
	s_mov_b32 s11, -1
	s_mov_b32 s28, exec_lo
                                        ; implicit-def: $sgpr26
	v_cmpx_eq_u16_e64 0x80, v132
; %bb.1294:                             ;   in Loop: Header=BB4_143 Depth=2
	s_mov_b32 s26, 0x7f800001
	s_xor_b32 s11, exec_lo, -1
; %bb.1295:                             ;   in Loop: Header=BB4_143 Depth=2
	s_or_b32 exec_lo, exec_lo, s28
	s_delay_alu instid0(SALU_CYCLE_1)
	s_and_b32 s11, s11, exec_lo
                                        ; implicit-def: $vgpr132
	s_or_saveexec_b32 s27, s27
	v_mov_b32_e32 v131, s26
	s_xor_b32 exec_lo, exec_lo, s27
	s_cbranch_execz .LBB4_552
.LBB4_1296:                             ;   in Loop: Header=BB4_143 Depth=2
	v_cmp_ne_u16_e64 vcc_lo, 0, v132
	v_mov_b32_e32 v131, 0
	s_and_not1_b32 s11, s11, exec_lo
	s_delay_alu instid0(VALU_DEP_2) | instskip(NEXT) | instid1(SALU_CYCLE_1)
	s_and_b32 s26, vcc_lo, exec_lo
	s_or_b32 s11, s11, s26
	s_or_b32 exec_lo, exec_lo, s27
	s_and_saveexec_b32 s26, s11
	s_cbranch_execnz .LBB4_553
	s_branch .LBB4_554
.LBB4_1297:                             ;   in Loop: Header=BB4_143 Depth=2
	s_mov_b32 s11, -1
	s_mov_b32 s28, exec_lo
                                        ; implicit-def: $sgpr26
	v_cmpx_eq_u16_e64 0x80, v133
; %bb.1298:                             ;   in Loop: Header=BB4_143 Depth=2
	s_mov_b32 s26, 0x7f800001
	s_xor_b32 s11, exec_lo, -1
; %bb.1299:                             ;   in Loop: Header=BB4_143 Depth=2
	s_or_b32 exec_lo, exec_lo, s28
	s_delay_alu instid0(SALU_CYCLE_1)
	s_and_b32 s11, s11, exec_lo
                                        ; implicit-def: $vgpr133
	s_or_saveexec_b32 s27, s27
	v_mov_b32_e32 v132, s26
	s_xor_b32 exec_lo, exec_lo, s27
	s_cbranch_execz .LBB4_556
.LBB4_1300:                             ;   in Loop: Header=BB4_143 Depth=2
	v_cmp_ne_u16_e64 vcc_lo, 0, v133
	v_mov_b32_e32 v132, 0
	s_and_not1_b32 s11, s11, exec_lo
	s_delay_alu instid0(VALU_DEP_2) | instskip(NEXT) | instid1(SALU_CYCLE_1)
	s_and_b32 s26, vcc_lo, exec_lo
	s_or_b32 s11, s11, s26
	s_or_b32 exec_lo, exec_lo, s27
	s_and_saveexec_b32 s26, s11
	s_cbranch_execnz .LBB4_557
	s_branch .LBB4_558
.LBB4_1301:                             ;   in Loop: Header=BB4_143 Depth=2
	s_mov_b32 s11, -1
	s_mov_b32 s28, exec_lo
                                        ; implicit-def: $sgpr26
	v_cmpx_eq_u16_e64 0x80, v132
; %bb.1302:                             ;   in Loop: Header=BB4_143 Depth=2
	s_mov_b32 s26, 0x7f800001
	s_xor_b32 s11, exec_lo, -1
; %bb.1303:                             ;   in Loop: Header=BB4_143 Depth=2
	s_or_b32 exec_lo, exec_lo, s28
	s_delay_alu instid0(SALU_CYCLE_1)
	s_and_b32 s11, s11, exec_lo
                                        ; implicit-def: $vgpr132
	s_or_saveexec_b32 s27, s27
	v_mov_b32_e32 v131, s26
	s_xor_b32 exec_lo, exec_lo, s27
	s_cbranch_execz .LBB4_563
.LBB4_1304:                             ;   in Loop: Header=BB4_143 Depth=2
	v_cmp_ne_u16_e64 vcc_lo, 0, v132
	v_mov_b32_e32 v131, 0
	s_and_not1_b32 s11, s11, exec_lo
	s_delay_alu instid0(VALU_DEP_2) | instskip(NEXT) | instid1(SALU_CYCLE_1)
	s_and_b32 s26, vcc_lo, exec_lo
	s_or_b32 s11, s11, s26
	s_or_b32 exec_lo, exec_lo, s27
	s_and_saveexec_b32 s26, s11
	s_cbranch_execnz .LBB4_564
	s_branch .LBB4_565
.LBB4_1305:                             ;   in Loop: Header=BB4_143 Depth=2
	s_mov_b32 s11, -1
	s_mov_b32 s28, exec_lo
                                        ; implicit-def: $sgpr26
	v_cmpx_eq_u16_e64 0x80, v132
; %bb.1306:                             ;   in Loop: Header=BB4_143 Depth=2
	s_mov_b32 s26, 0x7f800001
	s_xor_b32 s11, exec_lo, -1
; %bb.1307:                             ;   in Loop: Header=BB4_143 Depth=2
	s_or_b32 exec_lo, exec_lo, s28
	s_delay_alu instid0(SALU_CYCLE_1)
	s_and_b32 s11, s11, exec_lo
                                        ; implicit-def: $vgpr132
	s_or_saveexec_b32 s27, s27
	v_mov_b32_e32 v130, s26
	s_xor_b32 exec_lo, exec_lo, s27
	s_cbranch_execz .LBB4_567
.LBB4_1308:                             ;   in Loop: Header=BB4_143 Depth=2
	v_cmp_ne_u16_e64 vcc_lo, 0, v132
	v_mov_b32_e32 v130, 0
	s_and_not1_b32 s11, s11, exec_lo
	s_delay_alu instid0(VALU_DEP_2) | instskip(NEXT) | instid1(SALU_CYCLE_1)
	s_and_b32 s26, vcc_lo, exec_lo
	s_or_b32 s11, s11, s26
	s_or_b32 exec_lo, exec_lo, s27
	s_and_saveexec_b32 s26, s11
	s_cbranch_execnz .LBB4_568
	s_branch .LBB4_569
.LBB4_1309:                             ;   in Loop: Header=BB4_143 Depth=2
	s_mov_b32 s11, -1
	s_mov_b32 s28, exec_lo
                                        ; implicit-def: $sgpr26
	v_cmpx_eq_u16_e64 0x80, v131
; %bb.1310:                             ;   in Loop: Header=BB4_143 Depth=2
	s_mov_b32 s26, 0x7f800001
	s_xor_b32 s11, exec_lo, -1
; %bb.1311:                             ;   in Loop: Header=BB4_143 Depth=2
	s_or_b32 exec_lo, exec_lo, s28
	s_delay_alu instid0(SALU_CYCLE_1)
	s_and_b32 s11, s11, exec_lo
	s_or_saveexec_b32 s27, s27
	v_mov_b32_e32 v132, s26
	s_xor_b32 exec_lo, exec_lo, s27
	s_cbranch_execz .LBB4_581
.LBB4_1312:                             ;   in Loop: Header=BB4_143 Depth=2
	v_cmp_ne_u16_e64 vcc_lo, 0, v131
	v_mov_b32_e32 v132, 0
	s_and_not1_b32 s11, s11, exec_lo
	s_delay_alu instid0(VALU_DEP_2) | instskip(NEXT) | instid1(SALU_CYCLE_1)
	s_and_b32 s26, vcc_lo, exec_lo
	s_or_b32 s11, s11, s26
	s_or_b32 exec_lo, exec_lo, s27
	s_and_saveexec_b32 s26, s11
	s_cbranch_execnz .LBB4_582
	s_branch .LBB4_583
.LBB4_1313:                             ;   in Loop: Header=BB4_143 Depth=2
	s_mov_b32 s11, -1
	s_mov_b32 s28, exec_lo
                                        ; implicit-def: $sgpr26
	v_cmpx_eq_u16_e64 0x80, v130
; %bb.1314:                             ;   in Loop: Header=BB4_143 Depth=2
	s_mov_b32 s26, 0x7f800001
	s_xor_b32 s11, exec_lo, -1
; %bb.1315:                             ;   in Loop: Header=BB4_143 Depth=2
	s_or_b32 exec_lo, exec_lo, s28
	s_delay_alu instid0(SALU_CYCLE_1)
	s_and_b32 s11, s11, exec_lo
	s_or_saveexec_b32 s27, s27
	v_mov_b32_e32 v133, s26
	s_xor_b32 exec_lo, exec_lo, s27
	s_cbranch_execz .LBB4_585
.LBB4_1316:                             ;   in Loop: Header=BB4_143 Depth=2
	v_cmp_ne_u16_e64 vcc_lo, 0, v130
	v_mov_b32_e32 v133, 0
	s_and_not1_b32 s11, s11, exec_lo
	s_delay_alu instid0(VALU_DEP_2) | instskip(NEXT) | instid1(SALU_CYCLE_1)
	s_and_b32 s26, vcc_lo, exec_lo
	s_or_b32 s11, s11, s26
	s_or_b32 exec_lo, exec_lo, s27
	s_and_saveexec_b32 s26, s11
	s_cbranch_execnz .LBB4_586
	s_branch .LBB4_587
.LBB4_1317:                             ;   in Loop: Header=BB4_143 Depth=2
	s_mov_b32 s11, -1
	s_mov_b32 s28, exec_lo
                                        ; implicit-def: $sgpr26
	v_cmpx_eq_u16_e64 0x80, v131
; %bb.1318:                             ;   in Loop: Header=BB4_143 Depth=2
	s_mov_b32 s26, 0x7f800001
	s_xor_b32 s11, exec_lo, -1
; %bb.1319:                             ;   in Loop: Header=BB4_143 Depth=2
	s_or_b32 exec_lo, exec_lo, s28
	s_delay_alu instid0(SALU_CYCLE_1)
	s_and_b32 s11, s11, exec_lo
	s_or_saveexec_b32 s27, s27
	v_mov_b32_e32 v132, s26
	s_xor_b32 exec_lo, exec_lo, s27
	s_cbranch_execz .LBB4_592
.LBB4_1320:                             ;   in Loop: Header=BB4_143 Depth=2
	v_cmp_ne_u16_e64 vcc_lo, 0, v131
	v_mov_b32_e32 v132, 0
	s_and_not1_b32 s11, s11, exec_lo
	s_delay_alu instid0(VALU_DEP_2) | instskip(NEXT) | instid1(SALU_CYCLE_1)
	s_and_b32 s26, vcc_lo, exec_lo
	s_or_b32 s11, s11, s26
	s_or_b32 exec_lo, exec_lo, s27
	s_and_saveexec_b32 s26, s11
	s_cbranch_execnz .LBB4_593
	s_branch .LBB4_594
.LBB4_1321:                             ;   in Loop: Header=BB4_143 Depth=2
	s_mov_b32 s11, -1
	s_mov_b32 s28, exec_lo
                                        ; implicit-def: $sgpr26
	v_cmpx_eq_u16_e64 0x80, v130
; %bb.1322:                             ;   in Loop: Header=BB4_143 Depth=2
	s_mov_b32 s26, 0x7f800001
	s_xor_b32 s11, exec_lo, -1
; %bb.1323:                             ;   in Loop: Header=BB4_143 Depth=2
	s_or_b32 exec_lo, exec_lo, s28
	s_delay_alu instid0(SALU_CYCLE_1)
	s_and_b32 s11, s11, exec_lo
	s_or_saveexec_b32 s27, s27
	v_mov_b32_e32 v25, s26
	s_xor_b32 exec_lo, exec_lo, s27
	s_cbranch_execz .LBB4_596
.LBB4_1324:                             ;   in Loop: Header=BB4_143 Depth=2
	v_cmp_ne_u16_e64 vcc_lo, 0, v130
	v_mov_b32_e32 v25, 0
	s_and_not1_b32 s11, s11, exec_lo
	s_delay_alu instid0(VALU_DEP_2) | instskip(NEXT) | instid1(SALU_CYCLE_1)
	s_and_b32 s26, vcc_lo, exec_lo
	s_or_b32 s11, s11, s26
	s_or_b32 exec_lo, exec_lo, s27
	s_and_saveexec_b32 s26, s11
	s_cbranch_execnz .LBB4_597
	s_branch .LBB4_598
.LBB4_1325:                             ;   in Loop: Header=BB4_143 Depth=2
	s_mov_b32 s11, -1
	s_mov_b32 s28, exec_lo
                                        ; implicit-def: $sgpr26
	v_cmpx_eq_u16_e64 0x80, v130
; %bb.1326:                             ;   in Loop: Header=BB4_143 Depth=2
	s_mov_b32 s26, 0x7f800001
	s_xor_b32 s11, exec_lo, -1
; %bb.1327:                             ;   in Loop: Header=BB4_143 Depth=2
	s_or_b32 exec_lo, exec_lo, s28
	s_delay_alu instid0(SALU_CYCLE_1)
	s_and_b32 s11, s11, exec_lo
                                        ; implicit-def: $vgpr130
	s_or_saveexec_b32 s27, s27
	v_mov_b32_e32 v25, s26
	s_xor_b32 exec_lo, exec_lo, s27
	s_cbranch_execz .LBB4_610
.LBB4_1328:                             ;   in Loop: Header=BB4_143 Depth=2
	v_cmp_ne_u16_e64 vcc_lo, 0, v130
	v_mov_b32_e32 v25, 0
	s_and_not1_b32 s11, s11, exec_lo
	s_delay_alu instid0(VALU_DEP_2) | instskip(NEXT) | instid1(SALU_CYCLE_1)
	s_and_b32 s26, vcc_lo, exec_lo
	s_or_b32 s11, s11, s26
	s_or_b32 exec_lo, exec_lo, s27
	s_and_saveexec_b32 s26, s11
	s_cbranch_execnz .LBB4_611
	s_branch .LBB4_612
.LBB4_1329:                             ;   in Loop: Header=BB4_143 Depth=2
	s_mov_b32 s11, -1
	s_mov_b32 s28, exec_lo
                                        ; implicit-def: $sgpr26
	v_cmpx_eq_u16_e64 0x80, v131
; %bb.1330:                             ;   in Loop: Header=BB4_143 Depth=2
	s_mov_b32 s26, 0x7f800001
	s_xor_b32 s11, exec_lo, -1
; %bb.1331:                             ;   in Loop: Header=BB4_143 Depth=2
	s_or_b32 exec_lo, exec_lo, s28
	s_delay_alu instid0(SALU_CYCLE_1)
	s_and_b32 s11, s11, exec_lo
                                        ; implicit-def: $vgpr131
	s_or_saveexec_b32 s27, s27
	v_mov_b32_e32 v130, s26
	s_xor_b32 exec_lo, exec_lo, s27
	s_cbranch_execz .LBB4_614
.LBB4_1332:                             ;   in Loop: Header=BB4_143 Depth=2
	v_cmp_ne_u16_e64 vcc_lo, 0, v131
	v_mov_b32_e32 v130, 0
	s_and_not1_b32 s11, s11, exec_lo
	s_delay_alu instid0(VALU_DEP_2) | instskip(NEXT) | instid1(SALU_CYCLE_1)
	s_and_b32 s26, vcc_lo, exec_lo
	s_or_b32 s11, s11, s26
	s_or_b32 exec_lo, exec_lo, s27
	s_and_saveexec_b32 s26, s11
	s_cbranch_execnz .LBB4_615
	s_branch .LBB4_616
.LBB4_1333:                             ;   in Loop: Header=BB4_143 Depth=2
	s_mov_b32 s11, -1
	s_mov_b32 s28, exec_lo
                                        ; implicit-def: $sgpr26
	v_cmpx_eq_u16_e64 0x80, v130
; %bb.1334:                             ;   in Loop: Header=BB4_143 Depth=2
	s_mov_b32 s26, 0x7f800001
	s_xor_b32 s11, exec_lo, -1
; %bb.1335:                             ;   in Loop: Header=BB4_143 Depth=2
	s_or_b32 exec_lo, exec_lo, s28
	s_delay_alu instid0(SALU_CYCLE_1)
	s_and_b32 s11, s11, exec_lo
                                        ; implicit-def: $vgpr130
	s_or_saveexec_b32 s27, s27
	v_mov_b32_e32 v25, s26
	s_xor_b32 exec_lo, exec_lo, s27
	s_cbranch_execz .LBB4_621
.LBB4_1336:                             ;   in Loop: Header=BB4_143 Depth=2
	v_cmp_ne_u16_e64 vcc_lo, 0, v130
	v_mov_b32_e32 v25, 0
	s_and_not1_b32 s11, s11, exec_lo
	s_delay_alu instid0(VALU_DEP_2) | instskip(NEXT) | instid1(SALU_CYCLE_1)
	s_and_b32 s26, vcc_lo, exec_lo
	s_or_b32 s11, s11, s26
	s_or_b32 exec_lo, exec_lo, s27
	s_and_saveexec_b32 s26, s11
	s_cbranch_execnz .LBB4_622
	s_branch .LBB4_623
.LBB4_1337:                             ;   in Loop: Header=BB4_143 Depth=2
	s_mov_b32 s11, -1
	s_mov_b32 s28, exec_lo
                                        ; implicit-def: $sgpr26
	v_cmpx_eq_u16_e64 0x80, v131
; %bb.1338:                             ;   in Loop: Header=BB4_143 Depth=2
	s_mov_b32 s26, 0x7f800001
	s_xor_b32 s11, exec_lo, -1
; %bb.1339:                             ;   in Loop: Header=BB4_143 Depth=2
	s_or_b32 exec_lo, exec_lo, s28
	s_delay_alu instid0(SALU_CYCLE_1)
	s_and_b32 s11, s11, exec_lo
                                        ; implicit-def: $vgpr131
	s_or_saveexec_b32 s27, s27
	v_mov_b32_e32 v130, s26
	s_xor_b32 exec_lo, exec_lo, s27
	s_cbranch_execz .LBB4_625
.LBB4_1340:                             ;   in Loop: Header=BB4_143 Depth=2
	v_cmp_ne_u16_e64 vcc_lo, 0, v131
	v_mov_b32_e32 v130, 0
	s_and_not1_b32 s11, s11, exec_lo
	s_delay_alu instid0(VALU_DEP_2) | instskip(NEXT) | instid1(SALU_CYCLE_1)
	s_and_b32 s26, vcc_lo, exec_lo
	s_or_b32 s11, s11, s26
	s_or_b32 exec_lo, exec_lo, s27
	s_and_saveexec_b32 s26, s11
	s_cbranch_execnz .LBB4_626
	s_branch .LBB4_627
.LBB4_1341:                             ;   in Loop: Header=BB4_143 Depth=2
	s_mov_b32 s11, -1
	s_mov_b32 s28, exec_lo
                                        ; implicit-def: $sgpr26
	v_cmpx_eq_u16_e64 0x80, v131
; %bb.1342:                             ;   in Loop: Header=BB4_143 Depth=2
	s_mov_b32 s26, 0x7f800001
	s_xor_b32 s11, exec_lo, -1
; %bb.1343:                             ;   in Loop: Header=BB4_143 Depth=2
	s_or_b32 exec_lo, exec_lo, s28
	s_delay_alu instid0(SALU_CYCLE_1)
	s_and_b32 s11, s11, exec_lo
	s_or_saveexec_b32 s27, s27
	v_mov_b32_e32 v132, s26
	s_xor_b32 exec_lo, exec_lo, s27
	s_cbranch_execz .LBB4_639
.LBB4_1344:                             ;   in Loop: Header=BB4_143 Depth=2
	v_cmp_ne_u16_e64 vcc_lo, 0, v131
	v_mov_b32_e32 v132, 0
	s_and_not1_b32 s11, s11, exec_lo
	s_delay_alu instid0(VALU_DEP_2) | instskip(NEXT) | instid1(SALU_CYCLE_1)
	s_and_b32 s26, vcc_lo, exec_lo
	s_or_b32 s11, s11, s26
	s_or_b32 exec_lo, exec_lo, s27
	s_and_saveexec_b32 s26, s11
	s_cbranch_execnz .LBB4_640
	s_branch .LBB4_641
.LBB4_1345:                             ;   in Loop: Header=BB4_143 Depth=2
	s_mov_b32 s11, -1
	s_mov_b32 s28, exec_lo
                                        ; implicit-def: $sgpr26
	v_cmpx_eq_u16_e64 0x80, v130
; %bb.1346:                             ;   in Loop: Header=BB4_143 Depth=2
	s_mov_b32 s26, 0x7f800001
	s_xor_b32 s11, exec_lo, -1
; %bb.1347:                             ;   in Loop: Header=BB4_143 Depth=2
	s_or_b32 exec_lo, exec_lo, s28
	s_delay_alu instid0(SALU_CYCLE_1)
	s_and_b32 s11, s11, exec_lo
	s_or_saveexec_b32 s27, s27
	v_mov_b32_e32 v133, s26
	s_xor_b32 exec_lo, exec_lo, s27
	s_cbranch_execz .LBB4_643
.LBB4_1348:                             ;   in Loop: Header=BB4_143 Depth=2
	v_cmp_ne_u16_e64 vcc_lo, 0, v130
	v_mov_b32_e32 v133, 0
	s_and_not1_b32 s11, s11, exec_lo
	s_delay_alu instid0(VALU_DEP_2) | instskip(NEXT) | instid1(SALU_CYCLE_1)
	s_and_b32 s26, vcc_lo, exec_lo
	s_or_b32 s11, s11, s26
	s_or_b32 exec_lo, exec_lo, s27
	s_and_saveexec_b32 s26, s11
	s_cbranch_execnz .LBB4_644
	s_branch .LBB4_645
.LBB4_1349:                             ;   in Loop: Header=BB4_143 Depth=2
	s_mov_b32 s11, -1
	s_mov_b32 s28, exec_lo
                                        ; implicit-def: $sgpr26
	v_cmpx_eq_u16_e64 0x80, v131
; %bb.1350:                             ;   in Loop: Header=BB4_143 Depth=2
	s_mov_b32 s26, 0x7f800001
	s_xor_b32 s11, exec_lo, -1
; %bb.1351:                             ;   in Loop: Header=BB4_143 Depth=2
	s_or_b32 exec_lo, exec_lo, s28
	s_delay_alu instid0(SALU_CYCLE_1)
	s_and_b32 s11, s11, exec_lo
	s_or_saveexec_b32 s27, s27
	v_mov_b32_e32 v132, s26
	s_xor_b32 exec_lo, exec_lo, s27
	s_cbranch_execz .LBB4_650
.LBB4_1352:                             ;   in Loop: Header=BB4_143 Depth=2
	v_cmp_ne_u16_e64 vcc_lo, 0, v131
	v_mov_b32_e32 v132, 0
	s_and_not1_b32 s11, s11, exec_lo
	s_delay_alu instid0(VALU_DEP_2) | instskip(NEXT) | instid1(SALU_CYCLE_1)
	s_and_b32 s26, vcc_lo, exec_lo
	s_or_b32 s11, s11, s26
	s_or_b32 exec_lo, exec_lo, s27
	s_and_saveexec_b32 s26, s11
	s_cbranch_execnz .LBB4_651
	s_branch .LBB4_652
.LBB4_1353:                             ;   in Loop: Header=BB4_143 Depth=2
	s_mov_b32 s11, -1
	s_mov_b32 s28, exec_lo
                                        ; implicit-def: $sgpr26
	v_cmpx_eq_u16_e64 0x80, v130
; %bb.1354:                             ;   in Loop: Header=BB4_143 Depth=2
	s_mov_b32 s26, 0x7f800001
	s_xor_b32 s11, exec_lo, -1
; %bb.1355:                             ;   in Loop: Header=BB4_143 Depth=2
	s_or_b32 exec_lo, exec_lo, s28
	s_delay_alu instid0(SALU_CYCLE_1)
	s_and_b32 s11, s11, exec_lo
	s_or_saveexec_b32 s27, s27
	v_mov_b32_e32 v131, s26
	s_xor_b32 exec_lo, exec_lo, s27
	s_cbranch_execz .LBB4_654
.LBB4_1356:                             ;   in Loop: Header=BB4_143 Depth=2
	v_cmp_ne_u16_e64 vcc_lo, 0, v130
	v_mov_b32_e32 v131, 0
	s_and_not1_b32 s11, s11, exec_lo
	s_delay_alu instid0(VALU_DEP_2) | instskip(NEXT) | instid1(SALU_CYCLE_1)
	s_and_b32 s26, vcc_lo, exec_lo
	s_or_b32 s11, s11, s26
	s_or_b32 exec_lo, exec_lo, s27
	s_and_saveexec_b32 s26, s11
	s_cbranch_execnz .LBB4_655
	s_branch .LBB4_656
.LBB4_1357:                             ;   in Loop: Header=BB4_143 Depth=2
	s_mov_b32 s11, -1
	s_mov_b32 s28, exec_lo
                                        ; implicit-def: $sgpr26
	v_cmpx_eq_u16_e64 0x80, v134
; %bb.1358:                             ;   in Loop: Header=BB4_143 Depth=2
	s_mov_b32 s26, 0x7f800001
	s_xor_b32 s11, exec_lo, -1
; %bb.1359:                             ;   in Loop: Header=BB4_143 Depth=2
	s_or_b32 exec_lo, exec_lo, s28
	s_delay_alu instid0(SALU_CYCLE_1)
	s_and_b32 s11, s11, exec_lo
                                        ; implicit-def: $vgpr134
	s_or_saveexec_b32 s27, s27
	v_mov_b32_e32 v133, s26
	s_xor_b32 exec_lo, exec_lo, s27
	s_cbranch_execz .LBB4_668
.LBB4_1360:                             ;   in Loop: Header=BB4_143 Depth=2
	v_cmp_ne_u16_e64 vcc_lo, 0, v134
	v_mov_b32_e32 v133, 0
	s_and_not1_b32 s11, s11, exec_lo
	s_delay_alu instid0(VALU_DEP_2) | instskip(NEXT) | instid1(SALU_CYCLE_1)
	s_and_b32 s26, vcc_lo, exec_lo
	s_or_b32 s11, s11, s26
	s_or_b32 exec_lo, exec_lo, s27
	s_and_saveexec_b32 s26, s11
	s_cbranch_execnz .LBB4_669
	s_branch .LBB4_670
.LBB4_1361:                             ;   in Loop: Header=BB4_143 Depth=2
	s_mov_b32 s11, -1
	s_mov_b32 s28, exec_lo
                                        ; implicit-def: $sgpr26
	v_cmpx_eq_u16_e64 0x80, v135
; %bb.1362:                             ;   in Loop: Header=BB4_143 Depth=2
	s_mov_b32 s26, 0x7f800001
	s_xor_b32 s11, exec_lo, -1
; %bb.1363:                             ;   in Loop: Header=BB4_143 Depth=2
	s_or_b32 exec_lo, exec_lo, s28
	s_delay_alu instid0(SALU_CYCLE_1)
	s_and_b32 s11, s11, exec_lo
                                        ; implicit-def: $vgpr135
	s_or_saveexec_b32 s27, s27
	v_mov_b32_e32 v134, s26
	s_xor_b32 exec_lo, exec_lo, s27
	s_cbranch_execz .LBB4_672
.LBB4_1364:                             ;   in Loop: Header=BB4_143 Depth=2
	v_cmp_ne_u16_e64 vcc_lo, 0, v135
	v_mov_b32_e32 v134, 0
	s_and_not1_b32 s11, s11, exec_lo
	s_delay_alu instid0(VALU_DEP_2) | instskip(NEXT) | instid1(SALU_CYCLE_1)
	s_and_b32 s26, vcc_lo, exec_lo
	s_or_b32 s11, s11, s26
	s_or_b32 exec_lo, exec_lo, s27
	s_and_saveexec_b32 s26, s11
	s_cbranch_execnz .LBB4_673
	s_branch .LBB4_674
.LBB4_1365:                             ;   in Loop: Header=BB4_143 Depth=2
	s_mov_b32 s11, -1
	s_mov_b32 s28, exec_lo
                                        ; implicit-def: $sgpr26
	v_cmpx_eq_u16_e64 0x80, v134
; %bb.1366:                             ;   in Loop: Header=BB4_143 Depth=2
	s_mov_b32 s26, 0x7f800001
	s_xor_b32 s11, exec_lo, -1
; %bb.1367:                             ;   in Loop: Header=BB4_143 Depth=2
	s_or_b32 exec_lo, exec_lo, s28
	s_delay_alu instid0(SALU_CYCLE_1)
	s_and_b32 s11, s11, exec_lo
                                        ; implicit-def: $vgpr134
	s_or_saveexec_b32 s27, s27
	v_mov_b32_e32 v133, s26
	s_xor_b32 exec_lo, exec_lo, s27
	s_cbranch_execz .LBB4_679
.LBB4_1368:                             ;   in Loop: Header=BB4_143 Depth=2
	v_cmp_ne_u16_e64 vcc_lo, 0, v134
	v_mov_b32_e32 v133, 0
	s_and_not1_b32 s11, s11, exec_lo
	s_delay_alu instid0(VALU_DEP_2) | instskip(NEXT) | instid1(SALU_CYCLE_1)
	s_and_b32 s26, vcc_lo, exec_lo
	s_or_b32 s11, s11, s26
	s_or_b32 exec_lo, exec_lo, s27
	s_and_saveexec_b32 s26, s11
	s_cbranch_execnz .LBB4_680
	s_branch .LBB4_681
.LBB4_1369:                             ;   in Loop: Header=BB4_143 Depth=2
	s_mov_b32 s11, -1
	s_mov_b32 s28, exec_lo
                                        ; implicit-def: $sgpr26
	v_cmpx_eq_u16_e64 0x80, v134
; %bb.1370:                             ;   in Loop: Header=BB4_143 Depth=2
	s_mov_b32 s26, 0x7f800001
	s_xor_b32 s11, exec_lo, -1
; %bb.1371:                             ;   in Loop: Header=BB4_143 Depth=2
	s_or_b32 exec_lo, exec_lo, s28
	s_delay_alu instid0(SALU_CYCLE_1)
	s_and_b32 s11, s11, exec_lo
                                        ; implicit-def: $vgpr134
	s_or_saveexec_b32 s27, s27
	v_mov_b32_e32 v132, s26
	s_xor_b32 exec_lo, exec_lo, s27
	s_cbranch_execz .LBB4_683
.LBB4_1372:                             ;   in Loop: Header=BB4_143 Depth=2
	v_cmp_ne_u16_e64 vcc_lo, 0, v134
	v_mov_b32_e32 v132, 0
	s_and_not1_b32 s11, s11, exec_lo
	s_delay_alu instid0(VALU_DEP_2) | instskip(NEXT) | instid1(SALU_CYCLE_1)
	s_and_b32 s26, vcc_lo, exec_lo
	s_or_b32 s11, s11, s26
	s_or_b32 exec_lo, exec_lo, s27
	s_and_saveexec_b32 s26, s11
	s_cbranch_execnz .LBB4_684
	s_branch .LBB4_685
.LBB4_1373:                             ;   in Loop: Header=BB4_143 Depth=2
	s_mov_b32 s11, -1
	s_mov_b32 s28, exec_lo
                                        ; implicit-def: $sgpr26
	v_cmpx_eq_u16_e64 0x80, v133
; %bb.1374:                             ;   in Loop: Header=BB4_143 Depth=2
	s_mov_b32 s26, 0x7f800001
	s_xor_b32 s11, exec_lo, -1
; %bb.1375:                             ;   in Loop: Header=BB4_143 Depth=2
	s_or_b32 exec_lo, exec_lo, s28
	s_delay_alu instid0(SALU_CYCLE_1)
	s_and_b32 s11, s11, exec_lo
	s_or_saveexec_b32 s27, s27
	v_mov_b32_e32 v134, s26
	s_xor_b32 exec_lo, exec_lo, s27
	s_cbranch_execz .LBB4_697
.LBB4_1376:                             ;   in Loop: Header=BB4_143 Depth=2
	v_cmp_ne_u16_e64 vcc_lo, 0, v133
	v_mov_b32_e32 v134, 0
	s_and_not1_b32 s11, s11, exec_lo
	s_delay_alu instid0(VALU_DEP_2) | instskip(NEXT) | instid1(SALU_CYCLE_1)
	s_and_b32 s26, vcc_lo, exec_lo
	s_or_b32 s11, s11, s26
	s_or_b32 exec_lo, exec_lo, s27
	s_and_saveexec_b32 s26, s11
	s_cbranch_execnz .LBB4_698
	s_branch .LBB4_699
.LBB4_1377:                             ;   in Loop: Header=BB4_143 Depth=2
	s_mov_b32 s11, -1
	s_mov_b32 s28, exec_lo
                                        ; implicit-def: $sgpr26
	v_cmpx_eq_u16_e64 0x80, v132
; %bb.1378:                             ;   in Loop: Header=BB4_143 Depth=2
	s_mov_b32 s26, 0x7f800001
	s_xor_b32 s11, exec_lo, -1
; %bb.1379:                             ;   in Loop: Header=BB4_143 Depth=2
	s_or_b32 exec_lo, exec_lo, s28
	s_delay_alu instid0(SALU_CYCLE_1)
	s_and_b32 s11, s11, exec_lo
	s_or_saveexec_b32 s27, s27
	v_mov_b32_e32 v135, s26
	s_xor_b32 exec_lo, exec_lo, s27
	s_cbranch_execz .LBB4_701
.LBB4_1380:                             ;   in Loop: Header=BB4_143 Depth=2
	v_cmp_ne_u16_e64 vcc_lo, 0, v132
	v_mov_b32_e32 v135, 0
	s_and_not1_b32 s11, s11, exec_lo
	s_delay_alu instid0(VALU_DEP_2) | instskip(NEXT) | instid1(SALU_CYCLE_1)
	s_and_b32 s26, vcc_lo, exec_lo
	s_or_b32 s11, s11, s26
	s_or_b32 exec_lo, exec_lo, s27
	s_and_saveexec_b32 s26, s11
	s_cbranch_execnz .LBB4_702
	s_branch .LBB4_703
.LBB4_1381:                             ;   in Loop: Header=BB4_143 Depth=2
	s_mov_b32 s11, -1
	s_mov_b32 s28, exec_lo
                                        ; implicit-def: $sgpr26
	v_cmpx_eq_u16_e64 0x80, v133
; %bb.1382:                             ;   in Loop: Header=BB4_143 Depth=2
	s_mov_b32 s26, 0x7f800001
	s_xor_b32 s11, exec_lo, -1
; %bb.1383:                             ;   in Loop: Header=BB4_143 Depth=2
	s_or_b32 exec_lo, exec_lo, s28
	s_delay_alu instid0(SALU_CYCLE_1)
	s_and_b32 s11, s11, exec_lo
	s_or_saveexec_b32 s27, s27
	v_mov_b32_e32 v134, s26
	s_xor_b32 exec_lo, exec_lo, s27
	s_cbranch_execz .LBB4_708
.LBB4_1384:                             ;   in Loop: Header=BB4_143 Depth=2
	v_cmp_ne_u16_e64 vcc_lo, 0, v133
	v_mov_b32_e32 v134, 0
	s_and_not1_b32 s11, s11, exec_lo
	s_delay_alu instid0(VALU_DEP_2) | instskip(NEXT) | instid1(SALU_CYCLE_1)
	s_and_b32 s26, vcc_lo, exec_lo
	s_or_b32 s11, s11, s26
	s_or_b32 exec_lo, exec_lo, s27
	s_and_saveexec_b32 s26, s11
	s_cbranch_execnz .LBB4_709
	s_branch .LBB4_710
.LBB4_1385:                             ;   in Loop: Header=BB4_143 Depth=2
	s_mov_b32 s11, -1
	s_mov_b32 s28, exec_lo
                                        ; implicit-def: $sgpr26
	v_cmpx_eq_u16_e64 0x80, v132
; %bb.1386:                             ;   in Loop: Header=BB4_143 Depth=2
	s_mov_b32 s26, 0x7f800001
	s_xor_b32 s11, exec_lo, -1
; %bb.1387:                             ;   in Loop: Header=BB4_143 Depth=2
	s_or_b32 exec_lo, exec_lo, s28
	s_delay_alu instid0(SALU_CYCLE_1)
	s_and_b32 s11, s11, exec_lo
	s_or_saveexec_b32 s27, s27
	v_mov_b32_e32 v14, s26
	s_xor_b32 exec_lo, exec_lo, s27
	s_cbranch_execz .LBB4_712
.LBB4_1388:                             ;   in Loop: Header=BB4_143 Depth=2
	v_cmp_ne_u16_e64 vcc_lo, 0, v132
	v_mov_b32_e32 v14, 0
	s_and_not1_b32 s11, s11, exec_lo
	s_delay_alu instid0(VALU_DEP_2) | instskip(NEXT) | instid1(SALU_CYCLE_1)
	s_and_b32 s26, vcc_lo, exec_lo
	s_or_b32 s11, s11, s26
	s_or_b32 exec_lo, exec_lo, s27
	s_and_saveexec_b32 s26, s11
	s_cbranch_execnz .LBB4_713
	s_branch .LBB4_714
.LBB4_1389:                             ;   in Loop: Header=BB4_143 Depth=2
	s_mov_b32 s11, -1
	s_mov_b32 s28, exec_lo
                                        ; implicit-def: $sgpr26
	v_cmpx_eq_u16_e64 0x80, v132
; %bb.1390:                             ;   in Loop: Header=BB4_143 Depth=2
	s_mov_b32 s26, 0x7f800001
	s_xor_b32 s11, exec_lo, -1
; %bb.1391:                             ;   in Loop: Header=BB4_143 Depth=2
	s_or_b32 exec_lo, exec_lo, s28
	s_delay_alu instid0(SALU_CYCLE_1)
	s_and_b32 s11, s11, exec_lo
                                        ; implicit-def: $vgpr132
	s_or_saveexec_b32 s27, s27
	v_mov_b32_e32 v14, s26
	s_xor_b32 exec_lo, exec_lo, s27
	s_cbranch_execz .LBB4_726
.LBB4_1392:                             ;   in Loop: Header=BB4_143 Depth=2
	v_cmp_ne_u16_e64 vcc_lo, 0, v132
	v_mov_b32_e32 v14, 0
	s_and_not1_b32 s11, s11, exec_lo
	s_delay_alu instid0(VALU_DEP_2) | instskip(NEXT) | instid1(SALU_CYCLE_1)
	s_and_b32 s26, vcc_lo, exec_lo
	s_or_b32 s11, s11, s26
	s_or_b32 exec_lo, exec_lo, s27
	s_and_saveexec_b32 s26, s11
	s_cbranch_execnz .LBB4_727
	s_branch .LBB4_728
.LBB4_1393:                             ;   in Loop: Header=BB4_143 Depth=2
	s_mov_b32 s11, -1
	s_mov_b32 s28, exec_lo
                                        ; implicit-def: $sgpr26
	v_cmpx_eq_u16_e64 0x80, v133
; %bb.1394:                             ;   in Loop: Header=BB4_143 Depth=2
	s_mov_b32 s26, 0x7f800001
	s_xor_b32 s11, exec_lo, -1
; %bb.1395:                             ;   in Loop: Header=BB4_143 Depth=2
	s_or_b32 exec_lo, exec_lo, s28
	s_delay_alu instid0(SALU_CYCLE_1)
	s_and_b32 s11, s11, exec_lo
                                        ; implicit-def: $vgpr133
	s_or_saveexec_b32 s27, s27
	v_mov_b32_e32 v132, s26
	s_xor_b32 exec_lo, exec_lo, s27
	s_cbranch_execz .LBB4_730
.LBB4_1396:                             ;   in Loop: Header=BB4_143 Depth=2
	v_cmp_ne_u16_e64 vcc_lo, 0, v133
	v_mov_b32_e32 v132, 0
	s_and_not1_b32 s11, s11, exec_lo
	s_delay_alu instid0(VALU_DEP_2) | instskip(NEXT) | instid1(SALU_CYCLE_1)
	s_and_b32 s26, vcc_lo, exec_lo
	s_or_b32 s11, s11, s26
	s_or_b32 exec_lo, exec_lo, s27
	s_and_saveexec_b32 s26, s11
	s_cbranch_execnz .LBB4_731
	s_branch .LBB4_732
.LBB4_1397:                             ;   in Loop: Header=BB4_143 Depth=2
	s_mov_b32 s11, -1
	s_mov_b32 s28, exec_lo
                                        ; implicit-def: $sgpr26
	v_cmpx_eq_u16_e64 0x80, v132
; %bb.1398:                             ;   in Loop: Header=BB4_143 Depth=2
	s_mov_b32 s26, 0x7f800001
	s_xor_b32 s11, exec_lo, -1
; %bb.1399:                             ;   in Loop: Header=BB4_143 Depth=2
	s_or_b32 exec_lo, exec_lo, s28
	s_delay_alu instid0(SALU_CYCLE_1)
	s_and_b32 s11, s11, exec_lo
                                        ; implicit-def: $vgpr132
	s_or_saveexec_b32 s27, s27
	v_mov_b32_e32 v14, s26
	s_xor_b32 exec_lo, exec_lo, s27
	s_cbranch_execz .LBB4_737
.LBB4_1400:                             ;   in Loop: Header=BB4_143 Depth=2
	v_cmp_ne_u16_e64 vcc_lo, 0, v132
	v_mov_b32_e32 v14, 0
	s_and_not1_b32 s11, s11, exec_lo
	s_delay_alu instid0(VALU_DEP_2) | instskip(NEXT) | instid1(SALU_CYCLE_1)
	s_and_b32 s26, vcc_lo, exec_lo
	s_or_b32 s11, s11, s26
	s_or_b32 exec_lo, exec_lo, s27
	s_and_saveexec_b32 s26, s11
	s_cbranch_execnz .LBB4_738
	s_branch .LBB4_739
.LBB4_1401:                             ;   in Loop: Header=BB4_143 Depth=2
	s_mov_b32 s11, -1
	s_mov_b32 s28, exec_lo
                                        ; implicit-def: $sgpr26
	v_cmpx_eq_u16_e64 0x80, v133
; %bb.1402:                             ;   in Loop: Header=BB4_143 Depth=2
	s_mov_b32 s26, 0x7f800001
	s_xor_b32 s11, exec_lo, -1
; %bb.1403:                             ;   in Loop: Header=BB4_143 Depth=2
	s_or_b32 exec_lo, exec_lo, s28
	s_delay_alu instid0(SALU_CYCLE_1)
	s_and_b32 s11, s11, exec_lo
                                        ; implicit-def: $vgpr133
	s_or_saveexec_b32 s27, s27
	v_mov_b32_e32 v132, s26
	s_xor_b32 exec_lo, exec_lo, s27
	s_cbranch_execz .LBB4_741
.LBB4_1404:                             ;   in Loop: Header=BB4_143 Depth=2
	v_cmp_ne_u16_e64 vcc_lo, 0, v133
	v_mov_b32_e32 v132, 0
	s_and_not1_b32 s11, s11, exec_lo
	s_delay_alu instid0(VALU_DEP_2) | instskip(NEXT) | instid1(SALU_CYCLE_1)
	s_and_b32 s26, vcc_lo, exec_lo
	s_or_b32 s11, s11, s26
	s_or_b32 exec_lo, exec_lo, s27
	s_and_saveexec_b32 s26, s11
	s_cbranch_execnz .LBB4_742
	s_branch .LBB4_743
.LBB4_1405:                             ;   in Loop: Header=BB4_143 Depth=2
	s_mov_b32 s11, -1
	s_mov_b32 s28, exec_lo
                                        ; implicit-def: $sgpr26
	v_cmpx_eq_u16_e64 0x80, v133
; %bb.1406:                             ;   in Loop: Header=BB4_143 Depth=2
	s_mov_b32 s26, 0x7f800001
	s_xor_b32 s11, exec_lo, -1
; %bb.1407:                             ;   in Loop: Header=BB4_143 Depth=2
	s_or_b32 exec_lo, exec_lo, s28
	s_delay_alu instid0(SALU_CYCLE_1)
	s_and_b32 s11, s11, exec_lo
	s_or_saveexec_b32 s27, s27
	v_mov_b32_e32 v134, s26
	s_xor_b32 exec_lo, exec_lo, s27
	s_cbranch_execz .LBB4_755
.LBB4_1408:                             ;   in Loop: Header=BB4_143 Depth=2
	v_cmp_ne_u16_e64 vcc_lo, 0, v133
	v_mov_b32_e32 v134, 0
	s_and_not1_b32 s11, s11, exec_lo
	s_delay_alu instid0(VALU_DEP_2) | instskip(NEXT) | instid1(SALU_CYCLE_1)
	s_and_b32 s26, vcc_lo, exec_lo
	s_or_b32 s11, s11, s26
	s_or_b32 exec_lo, exec_lo, s27
	s_and_saveexec_b32 s26, s11
	s_cbranch_execnz .LBB4_756
	s_branch .LBB4_757
.LBB4_1409:                             ;   in Loop: Header=BB4_143 Depth=2
	s_mov_b32 s11, -1
	s_mov_b32 s28, exec_lo
                                        ; implicit-def: $sgpr26
	v_cmpx_eq_u16_e64 0x80, v132
; %bb.1410:                             ;   in Loop: Header=BB4_143 Depth=2
	s_mov_b32 s26, 0x7f800001
	s_xor_b32 s11, exec_lo, -1
; %bb.1411:                             ;   in Loop: Header=BB4_143 Depth=2
	s_or_b32 exec_lo, exec_lo, s28
	s_delay_alu instid0(SALU_CYCLE_1)
	s_and_b32 s11, s11, exec_lo
	s_or_saveexec_b32 s27, s27
	v_mov_b32_e32 v135, s26
	s_xor_b32 exec_lo, exec_lo, s27
	s_cbranch_execz .LBB4_759
.LBB4_1412:                             ;   in Loop: Header=BB4_143 Depth=2
	v_cmp_ne_u16_e64 vcc_lo, 0, v132
	v_mov_b32_e32 v135, 0
	s_and_not1_b32 s11, s11, exec_lo
	s_delay_alu instid0(VALU_DEP_2) | instskip(NEXT) | instid1(SALU_CYCLE_1)
	s_and_b32 s26, vcc_lo, exec_lo
	s_or_b32 s11, s11, s26
	s_or_b32 exec_lo, exec_lo, s27
	s_and_saveexec_b32 s26, s11
	s_cbranch_execnz .LBB4_760
	s_branch .LBB4_761
.LBB4_1413:                             ;   in Loop: Header=BB4_143 Depth=2
	s_mov_b32 s11, -1
	s_mov_b32 s28, exec_lo
                                        ; implicit-def: $sgpr26
	v_cmpx_eq_u16_e64 0x80, v133
; %bb.1414:                             ;   in Loop: Header=BB4_143 Depth=2
	s_mov_b32 s26, 0x7f800001
	s_xor_b32 s11, exec_lo, -1
; %bb.1415:                             ;   in Loop: Header=BB4_143 Depth=2
	s_or_b32 exec_lo, exec_lo, s28
	s_delay_alu instid0(SALU_CYCLE_1)
	s_and_b32 s11, s11, exec_lo
	s_or_saveexec_b32 s27, s27
	v_mov_b32_e32 v134, s26
	s_xor_b32 exec_lo, exec_lo, s27
	s_cbranch_execz .LBB4_766
.LBB4_1416:                             ;   in Loop: Header=BB4_143 Depth=2
	v_cmp_ne_u16_e64 vcc_lo, 0, v133
	v_mov_b32_e32 v134, 0
	s_and_not1_b32 s11, s11, exec_lo
	s_delay_alu instid0(VALU_DEP_2) | instskip(NEXT) | instid1(SALU_CYCLE_1)
	s_and_b32 s26, vcc_lo, exec_lo
	s_or_b32 s11, s11, s26
	s_or_b32 exec_lo, exec_lo, s27
	s_and_saveexec_b32 s26, s11
	s_cbranch_execnz .LBB4_767
	s_branch .LBB4_768
.LBB4_1417:                             ;   in Loop: Header=BB4_143 Depth=2
	s_mov_b32 s11, -1
	s_mov_b32 s28, exec_lo
                                        ; implicit-def: $sgpr26
	v_cmpx_eq_u16_e64 0x80, v132
; %bb.1418:                             ;   in Loop: Header=BB4_143 Depth=2
	s_mov_b32 s26, 0x7f800001
	s_xor_b32 s11, exec_lo, -1
; %bb.1419:                             ;   in Loop: Header=BB4_143 Depth=2
	s_or_b32 exec_lo, exec_lo, s28
	s_delay_alu instid0(SALU_CYCLE_1)
	s_and_b32 s11, s11, exec_lo
	s_or_saveexec_b32 s27, s27
	v_mov_b32_e32 v133, s26
	s_xor_b32 exec_lo, exec_lo, s27
	s_cbranch_execz .LBB4_770
.LBB4_1420:                             ;   in Loop: Header=BB4_143 Depth=2
	v_cmp_ne_u16_e64 vcc_lo, 0, v132
	v_mov_b32_e32 v133, 0
	s_and_not1_b32 s11, s11, exec_lo
	s_delay_alu instid0(VALU_DEP_2) | instskip(NEXT) | instid1(SALU_CYCLE_1)
	s_and_b32 s26, vcc_lo, exec_lo
	s_or_b32 s11, s11, s26
	s_or_b32 exec_lo, exec_lo, s27
	s_and_saveexec_b32 s26, s11
	s_cbranch_execnz .LBB4_771
	s_branch .LBB4_772
.LBB4_1421:                             ;   in Loop: Header=BB4_143 Depth=2
	s_mov_b32 s11, -1
	s_mov_b32 s28, exec_lo
                                        ; implicit-def: $sgpr26
	v_cmpx_eq_u16_e64 0x80, v144
; %bb.1422:                             ;   in Loop: Header=BB4_143 Depth=2
	s_mov_b32 s26, 0x7f800001
	s_xor_b32 s11, exec_lo, -1
; %bb.1423:                             ;   in Loop: Header=BB4_143 Depth=2
	s_or_b32 exec_lo, exec_lo, s28
	s_delay_alu instid0(SALU_CYCLE_1)
	s_and_b32 s11, s11, exec_lo
                                        ; implicit-def: $vgpr144
	s_or_saveexec_b32 s27, s27
	v_mov_b32_e32 v135, s26
	s_xor_b32 exec_lo, exec_lo, s27
	s_cbranch_execz .LBB4_784
.LBB4_1424:                             ;   in Loop: Header=BB4_143 Depth=2
	v_cmp_ne_u16_e64 vcc_lo, 0, v144
	v_mov_b32_e32 v135, 0
	s_and_not1_b32 s11, s11, exec_lo
	s_delay_alu instid0(VALU_DEP_2) | instskip(NEXT) | instid1(SALU_CYCLE_1)
	s_and_b32 s26, vcc_lo, exec_lo
	s_or_b32 s11, s11, s26
	s_or_b32 exec_lo, exec_lo, s27
	s_and_saveexec_b32 s26, s11
	s_cbranch_execnz .LBB4_785
	s_branch .LBB4_786
.LBB4_1425:                             ;   in Loop: Header=BB4_143 Depth=2
	s_mov_b32 s11, -1
	s_mov_b32 s28, exec_lo
                                        ; implicit-def: $sgpr26
	v_cmpx_eq_u16_e64 0x80, v145
; %bb.1426:                             ;   in Loop: Header=BB4_143 Depth=2
	s_mov_b32 s26, 0x7f800001
	s_xor_b32 s11, exec_lo, -1
; %bb.1427:                             ;   in Loop: Header=BB4_143 Depth=2
	s_or_b32 exec_lo, exec_lo, s28
	s_delay_alu instid0(SALU_CYCLE_1)
	s_and_b32 s11, s11, exec_lo
                                        ; implicit-def: $vgpr145
	s_or_saveexec_b32 s27, s27
	v_mov_b32_e32 v144, s26
	s_xor_b32 exec_lo, exec_lo, s27
	s_cbranch_execz .LBB4_788
.LBB4_1428:                             ;   in Loop: Header=BB4_143 Depth=2
	v_cmp_ne_u16_e64 vcc_lo, 0, v145
	v_mov_b32_e32 v144, 0
	s_and_not1_b32 s11, s11, exec_lo
	s_delay_alu instid0(VALU_DEP_2) | instskip(NEXT) | instid1(SALU_CYCLE_1)
	s_and_b32 s26, vcc_lo, exec_lo
	s_or_b32 s11, s11, s26
	s_or_b32 exec_lo, exec_lo, s27
	s_and_saveexec_b32 s26, s11
	s_cbranch_execnz .LBB4_789
	s_branch .LBB4_790
.LBB4_1429:                             ;   in Loop: Header=BB4_143 Depth=2
	s_mov_b32 s11, -1
	s_mov_b32 s28, exec_lo
                                        ; implicit-def: $sgpr26
	v_cmpx_eq_u16_e64 0x80, v144
; %bb.1430:                             ;   in Loop: Header=BB4_143 Depth=2
	s_mov_b32 s26, 0x7f800001
	s_xor_b32 s11, exec_lo, -1
; %bb.1431:                             ;   in Loop: Header=BB4_143 Depth=2
	s_or_b32 exec_lo, exec_lo, s28
	s_delay_alu instid0(SALU_CYCLE_1)
	s_and_b32 s11, s11, exec_lo
                                        ; implicit-def: $vgpr144
	s_or_saveexec_b32 s27, s27
	v_mov_b32_e32 v135, s26
	s_xor_b32 exec_lo, exec_lo, s27
	s_cbranch_execz .LBB4_795
.LBB4_1432:                             ;   in Loop: Header=BB4_143 Depth=2
	v_cmp_ne_u16_e64 vcc_lo, 0, v144
	v_mov_b32_e32 v135, 0
	s_and_not1_b32 s11, s11, exec_lo
	s_delay_alu instid0(VALU_DEP_2) | instskip(NEXT) | instid1(SALU_CYCLE_1)
	s_and_b32 s26, vcc_lo, exec_lo
	s_or_b32 s11, s11, s26
	s_or_b32 exec_lo, exec_lo, s27
	s_and_saveexec_b32 s26, s11
	s_cbranch_execnz .LBB4_796
	s_branch .LBB4_797
.LBB4_1433:                             ;   in Loop: Header=BB4_143 Depth=2
	s_mov_b32 s11, -1
	s_mov_b32 s28, exec_lo
                                        ; implicit-def: $sgpr26
	v_cmpx_eq_u16_e64 0x80, v144
; %bb.1434:                             ;   in Loop: Header=BB4_143 Depth=2
	s_mov_b32 s26, 0x7f800001
	s_xor_b32 s11, exec_lo, -1
; %bb.1435:                             ;   in Loop: Header=BB4_143 Depth=2
	s_or_b32 exec_lo, exec_lo, s28
	s_delay_alu instid0(SALU_CYCLE_1)
	s_and_b32 s11, s11, exec_lo
                                        ; implicit-def: $vgpr144
	s_or_saveexec_b32 s27, s27
	v_mov_b32_e32 v134, s26
	s_xor_b32 exec_lo, exec_lo, s27
	s_cbranch_execz .LBB4_799
.LBB4_1436:                             ;   in Loop: Header=BB4_143 Depth=2
	v_cmp_ne_u16_e64 vcc_lo, 0, v144
	v_mov_b32_e32 v134, 0
	s_and_not1_b32 s11, s11, exec_lo
	s_delay_alu instid0(VALU_DEP_2) | instskip(NEXT) | instid1(SALU_CYCLE_1)
	s_and_b32 s26, vcc_lo, exec_lo
	s_or_b32 s11, s11, s26
	s_or_b32 exec_lo, exec_lo, s27
	s_and_saveexec_b32 s26, s11
	s_cbranch_execnz .LBB4_800
	s_branch .LBB4_801
.LBB4_1437:                             ;   in Loop: Header=BB4_143 Depth=2
	s_mov_b32 s11, -1
	s_mov_b32 s28, exec_lo
                                        ; implicit-def: $sgpr26
	v_cmpx_eq_u16_e64 0x80, v135
; %bb.1438:                             ;   in Loop: Header=BB4_143 Depth=2
	s_mov_b32 s26, 0x7f800001
	s_xor_b32 s11, exec_lo, -1
; %bb.1439:                             ;   in Loop: Header=BB4_143 Depth=2
	s_or_b32 exec_lo, exec_lo, s28
	s_delay_alu instid0(SALU_CYCLE_1)
	s_and_b32 s11, s11, exec_lo
	s_or_saveexec_b32 s27, s27
	v_mov_b32_e32 v144, s26
	s_xor_b32 exec_lo, exec_lo, s27
	s_cbranch_execz .LBB4_813
.LBB4_1440:                             ;   in Loop: Header=BB4_143 Depth=2
	v_cmp_ne_u16_e64 vcc_lo, 0, v135
	v_mov_b32_e32 v144, 0
	s_and_not1_b32 s11, s11, exec_lo
	s_delay_alu instid0(VALU_DEP_2) | instskip(NEXT) | instid1(SALU_CYCLE_1)
	s_and_b32 s26, vcc_lo, exec_lo
	s_or_b32 s11, s11, s26
	s_or_b32 exec_lo, exec_lo, s27
	s_and_saveexec_b32 s26, s11
	s_cbranch_execnz .LBB4_814
	s_branch .LBB4_815
.LBB4_1441:                             ;   in Loop: Header=BB4_143 Depth=2
	s_mov_b32 s11, -1
	s_mov_b32 s28, exec_lo
                                        ; implicit-def: $sgpr26
	v_cmpx_eq_u16_e64 0x80, v134
; %bb.1442:                             ;   in Loop: Header=BB4_143 Depth=2
	s_mov_b32 s26, 0x7f800001
	s_xor_b32 s11, exec_lo, -1
; %bb.1443:                             ;   in Loop: Header=BB4_143 Depth=2
	s_or_b32 exec_lo, exec_lo, s28
	s_delay_alu instid0(SALU_CYCLE_1)
	s_and_b32 s11, s11, exec_lo
	s_or_saveexec_b32 s27, s27
	v_mov_b32_e32 v145, s26
	s_xor_b32 exec_lo, exec_lo, s27
	s_cbranch_execz .LBB4_817
.LBB4_1444:                             ;   in Loop: Header=BB4_143 Depth=2
	v_cmp_ne_u16_e64 vcc_lo, 0, v134
	v_mov_b32_e32 v145, 0
	s_and_not1_b32 s11, s11, exec_lo
	s_delay_alu instid0(VALU_DEP_2) | instskip(NEXT) | instid1(SALU_CYCLE_1)
	s_and_b32 s26, vcc_lo, exec_lo
	s_or_b32 s11, s11, s26
	s_or_b32 exec_lo, exec_lo, s27
	s_and_saveexec_b32 s26, s11
	s_cbranch_execnz .LBB4_818
	s_branch .LBB4_819
.LBB4_1445:                             ;   in Loop: Header=BB4_143 Depth=2
	s_mov_b32 s11, -1
	s_mov_b32 s28, exec_lo
                                        ; implicit-def: $sgpr26
	v_cmpx_eq_u16_e64 0x80, v135
; %bb.1446:                             ;   in Loop: Header=BB4_143 Depth=2
	s_mov_b32 s26, 0x7f800001
	s_xor_b32 s11, exec_lo, -1
; %bb.1447:                             ;   in Loop: Header=BB4_143 Depth=2
	s_or_b32 exec_lo, exec_lo, s28
	s_delay_alu instid0(SALU_CYCLE_1)
	s_and_b32 s11, s11, exec_lo
	s_or_saveexec_b32 s27, s27
	v_mov_b32_e32 v144, s26
	s_xor_b32 exec_lo, exec_lo, s27
	s_cbranch_execz .LBB4_824
.LBB4_1448:                             ;   in Loop: Header=BB4_143 Depth=2
	v_cmp_ne_u16_e64 vcc_lo, 0, v135
	v_mov_b32_e32 v144, 0
	s_and_not1_b32 s11, s11, exec_lo
	s_delay_alu instid0(VALU_DEP_2) | instskip(NEXT) | instid1(SALU_CYCLE_1)
	s_and_b32 s26, vcc_lo, exec_lo
	s_or_b32 s11, s11, s26
	s_or_b32 exec_lo, exec_lo, s27
	s_and_saveexec_b32 s26, s11
	s_cbranch_execnz .LBB4_825
	s_branch .LBB4_826
.LBB4_1449:                             ;   in Loop: Header=BB4_143 Depth=2
	s_mov_b32 s11, -1
	s_mov_b32 s28, exec_lo
                                        ; implicit-def: $sgpr26
	v_cmpx_eq_u16_e64 0x80, v134
; %bb.1450:                             ;   in Loop: Header=BB4_143 Depth=2
	s_mov_b32 s26, 0x7f800001
	s_xor_b32 s11, exec_lo, -1
; %bb.1451:                             ;   in Loop: Header=BB4_143 Depth=2
	s_or_b32 exec_lo, exec_lo, s28
	s_delay_alu instid0(SALU_CYCLE_1)
	s_and_b32 s11, s11, exec_lo
	s_or_saveexec_b32 s27, s27
	v_mov_b32_e32 v15, s26
	s_xor_b32 exec_lo, exec_lo, s27
	s_cbranch_execz .LBB4_828
.LBB4_1452:                             ;   in Loop: Header=BB4_143 Depth=2
	v_cmp_ne_u16_e64 vcc_lo, 0, v134
	v_mov_b32_e32 v15, 0
	s_and_not1_b32 s11, s11, exec_lo
	s_delay_alu instid0(VALU_DEP_2) | instskip(NEXT) | instid1(SALU_CYCLE_1)
	s_and_b32 s26, vcc_lo, exec_lo
	s_or_b32 s11, s11, s26
	s_or_b32 exec_lo, exec_lo, s27
	s_and_saveexec_b32 s26, s11
	s_cbranch_execnz .LBB4_829
	s_branch .LBB4_830
.LBB4_1453:                             ;   in Loop: Header=BB4_143 Depth=2
	s_mov_b32 s11, -1
	s_mov_b32 s28, exec_lo
                                        ; implicit-def: $sgpr26
	v_cmpx_eq_u16_e64 0x80, v134
; %bb.1454:                             ;   in Loop: Header=BB4_143 Depth=2
	s_mov_b32 s26, 0x7f800001
	s_xor_b32 s11, exec_lo, -1
; %bb.1455:                             ;   in Loop: Header=BB4_143 Depth=2
	s_or_b32 exec_lo, exec_lo, s28
	s_delay_alu instid0(SALU_CYCLE_1)
	s_and_b32 s11, s11, exec_lo
                                        ; implicit-def: $vgpr134
	s_or_saveexec_b32 s27, s27
	v_mov_b32_e32 v15, s26
	s_xor_b32 exec_lo, exec_lo, s27
	s_cbranch_execz .LBB4_842
.LBB4_1456:                             ;   in Loop: Header=BB4_143 Depth=2
	v_cmp_ne_u16_e64 vcc_lo, 0, v134
	v_mov_b32_e32 v15, 0
	s_and_not1_b32 s11, s11, exec_lo
	s_delay_alu instid0(VALU_DEP_2) | instskip(NEXT) | instid1(SALU_CYCLE_1)
	s_and_b32 s26, vcc_lo, exec_lo
	s_or_b32 s11, s11, s26
	s_or_b32 exec_lo, exec_lo, s27
	s_and_saveexec_b32 s26, s11
	s_cbranch_execnz .LBB4_843
	s_branch .LBB4_844
.LBB4_1457:                             ;   in Loop: Header=BB4_143 Depth=2
	s_mov_b32 s11, -1
	s_mov_b32 s28, exec_lo
                                        ; implicit-def: $sgpr26
	v_cmpx_eq_u16_e64 0x80, v135
; %bb.1458:                             ;   in Loop: Header=BB4_143 Depth=2
	s_mov_b32 s26, 0x7f800001
	s_xor_b32 s11, exec_lo, -1
; %bb.1459:                             ;   in Loop: Header=BB4_143 Depth=2
	s_or_b32 exec_lo, exec_lo, s28
	s_delay_alu instid0(SALU_CYCLE_1)
	s_and_b32 s11, s11, exec_lo
                                        ; implicit-def: $vgpr135
	s_or_saveexec_b32 s27, s27
	v_mov_b32_e32 v134, s26
	s_xor_b32 exec_lo, exec_lo, s27
	s_cbranch_execz .LBB4_846
.LBB4_1460:                             ;   in Loop: Header=BB4_143 Depth=2
	v_cmp_ne_u16_e64 vcc_lo, 0, v135
	v_mov_b32_e32 v134, 0
	s_and_not1_b32 s11, s11, exec_lo
	s_delay_alu instid0(VALU_DEP_2) | instskip(NEXT) | instid1(SALU_CYCLE_1)
	s_and_b32 s26, vcc_lo, exec_lo
	s_or_b32 s11, s11, s26
	s_or_b32 exec_lo, exec_lo, s27
	s_and_saveexec_b32 s26, s11
	s_cbranch_execnz .LBB4_847
	s_branch .LBB4_848
.LBB4_1461:                             ;   in Loop: Header=BB4_143 Depth=2
	s_mov_b32 s11, -1
	s_mov_b32 s28, exec_lo
                                        ; implicit-def: $sgpr26
	v_cmpx_eq_u16_e64 0x80, v134
; %bb.1462:                             ;   in Loop: Header=BB4_143 Depth=2
	s_mov_b32 s26, 0x7f800001
	s_xor_b32 s11, exec_lo, -1
; %bb.1463:                             ;   in Loop: Header=BB4_143 Depth=2
	s_or_b32 exec_lo, exec_lo, s28
	s_delay_alu instid0(SALU_CYCLE_1)
	s_and_b32 s11, s11, exec_lo
                                        ; implicit-def: $vgpr134
	s_or_saveexec_b32 s27, s27
	v_mov_b32_e32 v15, s26
	s_xor_b32 exec_lo, exec_lo, s27
	s_cbranch_execz .LBB4_853
.LBB4_1464:                             ;   in Loop: Header=BB4_143 Depth=2
	v_cmp_ne_u16_e64 vcc_lo, 0, v134
	v_mov_b32_e32 v15, 0
	s_and_not1_b32 s11, s11, exec_lo
	s_delay_alu instid0(VALU_DEP_2) | instskip(NEXT) | instid1(SALU_CYCLE_1)
	s_and_b32 s26, vcc_lo, exec_lo
	s_or_b32 s11, s11, s26
	s_or_b32 exec_lo, exec_lo, s27
	s_and_saveexec_b32 s26, s11
	s_cbranch_execnz .LBB4_854
	s_branch .LBB4_855
.LBB4_1465:                             ;   in Loop: Header=BB4_143 Depth=2
	s_mov_b32 s11, -1
	s_mov_b32 s28, exec_lo
                                        ; implicit-def: $sgpr26
	v_cmpx_eq_u16_e64 0x80, v135
; %bb.1466:                             ;   in Loop: Header=BB4_143 Depth=2
	s_mov_b32 s26, 0x7f800001
	s_xor_b32 s11, exec_lo, -1
; %bb.1467:                             ;   in Loop: Header=BB4_143 Depth=2
	s_or_b32 exec_lo, exec_lo, s28
	s_delay_alu instid0(SALU_CYCLE_1)
	s_and_b32 s11, s11, exec_lo
                                        ; implicit-def: $vgpr135
	s_or_saveexec_b32 s27, s27
	v_mov_b32_e32 v134, s26
	s_xor_b32 exec_lo, exec_lo, s27
	s_cbranch_execz .LBB4_857
.LBB4_1468:                             ;   in Loop: Header=BB4_143 Depth=2
	v_cmp_ne_u16_e64 vcc_lo, 0, v135
	v_mov_b32_e32 v134, 0
	s_and_not1_b32 s11, s11, exec_lo
	s_delay_alu instid0(VALU_DEP_2) | instskip(NEXT) | instid1(SALU_CYCLE_1)
	s_and_b32 s26, vcc_lo, exec_lo
	s_or_b32 s11, s11, s26
	s_or_b32 exec_lo, exec_lo, s27
	s_and_saveexec_b32 s26, s11
	s_cbranch_execnz .LBB4_858
	s_branch .LBB4_859
.LBB4_1469:                             ;   in Loop: Header=BB4_143 Depth=2
	s_mov_b32 s11, -1
	s_mov_b32 s28, exec_lo
                                        ; implicit-def: $sgpr26
	v_cmpx_eq_u16_e64 0x80, v135
; %bb.1470:                             ;   in Loop: Header=BB4_143 Depth=2
	s_mov_b32 s26, 0x7f800001
	s_xor_b32 s11, exec_lo, -1
; %bb.1471:                             ;   in Loop: Header=BB4_143 Depth=2
	s_or_b32 exec_lo, exec_lo, s28
	s_delay_alu instid0(SALU_CYCLE_1)
	s_and_b32 s11, s11, exec_lo
	s_or_saveexec_b32 s27, s27
	v_mov_b32_e32 v144, s26
	s_xor_b32 exec_lo, exec_lo, s27
	s_cbranch_execz .LBB4_871
.LBB4_1472:                             ;   in Loop: Header=BB4_143 Depth=2
	v_cmp_ne_u16_e64 vcc_lo, 0, v135
	v_mov_b32_e32 v144, 0
	s_and_not1_b32 s11, s11, exec_lo
	s_delay_alu instid0(VALU_DEP_2) | instskip(NEXT) | instid1(SALU_CYCLE_1)
	s_and_b32 s26, vcc_lo, exec_lo
	s_or_b32 s11, s11, s26
	s_or_b32 exec_lo, exec_lo, s27
	s_and_saveexec_b32 s26, s11
	s_cbranch_execnz .LBB4_872
	s_branch .LBB4_873
.LBB4_1473:                             ;   in Loop: Header=BB4_143 Depth=2
	s_mov_b32 s11, -1
	s_mov_b32 s28, exec_lo
                                        ; implicit-def: $sgpr26
	v_cmpx_eq_u16_e64 0x80, v134
; %bb.1474:                             ;   in Loop: Header=BB4_143 Depth=2
	s_mov_b32 s26, 0x7f800001
	s_xor_b32 s11, exec_lo, -1
; %bb.1475:                             ;   in Loop: Header=BB4_143 Depth=2
	s_or_b32 exec_lo, exec_lo, s28
	s_delay_alu instid0(SALU_CYCLE_1)
	s_and_b32 s11, s11, exec_lo
	s_or_saveexec_b32 s27, s27
	v_mov_b32_e32 v145, s26
	s_xor_b32 exec_lo, exec_lo, s27
	s_cbranch_execz .LBB4_875
.LBB4_1476:                             ;   in Loop: Header=BB4_143 Depth=2
	v_cmp_ne_u16_e64 vcc_lo, 0, v134
	v_mov_b32_e32 v145, 0
	s_and_not1_b32 s11, s11, exec_lo
	s_delay_alu instid0(VALU_DEP_2) | instskip(NEXT) | instid1(SALU_CYCLE_1)
	s_and_b32 s26, vcc_lo, exec_lo
	s_or_b32 s11, s11, s26
	s_or_b32 exec_lo, exec_lo, s27
	s_and_saveexec_b32 s26, s11
	s_cbranch_execnz .LBB4_876
	s_branch .LBB4_877
.LBB4_1477:                             ;   in Loop: Header=BB4_143 Depth=2
	s_mov_b32 s11, -1
	s_mov_b32 s28, exec_lo
                                        ; implicit-def: $sgpr26
	v_cmpx_eq_u16_e64 0x80, v135
; %bb.1478:                             ;   in Loop: Header=BB4_143 Depth=2
	s_mov_b32 s26, 0x7f800001
	s_xor_b32 s11, exec_lo, -1
; %bb.1479:                             ;   in Loop: Header=BB4_143 Depth=2
	s_or_b32 exec_lo, exec_lo, s28
	s_delay_alu instid0(SALU_CYCLE_1)
	s_and_b32 s11, s11, exec_lo
	s_or_saveexec_b32 s27, s27
	v_mov_b32_e32 v144, s26
	s_xor_b32 exec_lo, exec_lo, s27
	s_cbranch_execz .LBB4_882
.LBB4_1480:                             ;   in Loop: Header=BB4_143 Depth=2
	v_cmp_ne_u16_e64 vcc_lo, 0, v135
	v_mov_b32_e32 v144, 0
	s_and_not1_b32 s11, s11, exec_lo
	s_delay_alu instid0(VALU_DEP_2) | instskip(NEXT) | instid1(SALU_CYCLE_1)
	s_and_b32 s26, vcc_lo, exec_lo
	s_or_b32 s11, s11, s26
	s_or_b32 exec_lo, exec_lo, s27
	s_and_saveexec_b32 s26, s11
	s_cbranch_execnz .LBB4_883
	s_branch .LBB4_884
.LBB4_1481:                             ;   in Loop: Header=BB4_143 Depth=2
	s_mov_b32 s11, -1
	s_mov_b32 s28, exec_lo
                                        ; implicit-def: $sgpr26
	v_cmpx_eq_u16_e64 0x80, v134
; %bb.1482:                             ;   in Loop: Header=BB4_143 Depth=2
	s_mov_b32 s26, 0x7f800001
	s_xor_b32 s11, exec_lo, -1
; %bb.1483:                             ;   in Loop: Header=BB4_143 Depth=2
	s_or_b32 exec_lo, exec_lo, s28
	s_delay_alu instid0(SALU_CYCLE_1)
	s_and_b32 s11, s11, exec_lo
	s_or_saveexec_b32 s27, s27
	v_mov_b32_e32 v135, s26
	s_xor_b32 exec_lo, exec_lo, s27
	s_cbranch_execz .LBB4_886
.LBB4_1484:                             ;   in Loop: Header=BB4_143 Depth=2
	v_cmp_ne_u16_e64 vcc_lo, 0, v134
	v_mov_b32_e32 v135, 0
	s_and_not1_b32 s11, s11, exec_lo
	s_delay_alu instid0(VALU_DEP_2) | instskip(NEXT) | instid1(SALU_CYCLE_1)
	s_and_b32 s26, vcc_lo, exec_lo
	s_or_b32 s11, s11, s26
	s_or_b32 exec_lo, exec_lo, s27
	s_and_saveexec_b32 s26, s11
	s_cbranch_execnz .LBB4_887
	s_branch .LBB4_888
.LBB4_1485:                             ;   in Loop: Header=BB4_143 Depth=2
	s_mov_b32 s11, -1
	s_mov_b32 s28, exec_lo
                                        ; implicit-def: $sgpr26
	v_cmpx_eq_u16_e64 0x80, v146
; %bb.1486:                             ;   in Loop: Header=BB4_143 Depth=2
	s_mov_b32 s26, 0x7f800001
	s_xor_b32 s11, exec_lo, -1
; %bb.1487:                             ;   in Loop: Header=BB4_143 Depth=2
	s_or_b32 exec_lo, exec_lo, s28
	s_delay_alu instid0(SALU_CYCLE_1)
	s_and_b32 s11, s11, exec_lo
                                        ; implicit-def: $vgpr146
	s_or_saveexec_b32 s27, s27
	v_mov_b32_e32 v145, s26
	s_xor_b32 exec_lo, exec_lo, s27
	s_cbranch_execz .LBB4_900
.LBB4_1488:                             ;   in Loop: Header=BB4_143 Depth=2
	v_cmp_ne_u16_e64 vcc_lo, 0, v146
	v_mov_b32_e32 v145, 0
	s_and_not1_b32 s11, s11, exec_lo
	s_delay_alu instid0(VALU_DEP_2) | instskip(NEXT) | instid1(SALU_CYCLE_1)
	s_and_b32 s26, vcc_lo, exec_lo
	s_or_b32 s11, s11, s26
	s_or_b32 exec_lo, exec_lo, s27
	s_and_saveexec_b32 s26, s11
	s_cbranch_execnz .LBB4_901
	s_branch .LBB4_902
.LBB4_1489:                             ;   in Loop: Header=BB4_143 Depth=2
	s_mov_b32 s11, -1
	s_mov_b32 s28, exec_lo
                                        ; implicit-def: $sgpr26
	v_cmpx_eq_u16_e64 0x80, v147
; %bb.1490:                             ;   in Loop: Header=BB4_143 Depth=2
	s_mov_b32 s26, 0x7f800001
	s_xor_b32 s11, exec_lo, -1
; %bb.1491:                             ;   in Loop: Header=BB4_143 Depth=2
	s_or_b32 exec_lo, exec_lo, s28
	s_delay_alu instid0(SALU_CYCLE_1)
	s_and_b32 s11, s11, exec_lo
                                        ; implicit-def: $vgpr147
	s_or_saveexec_b32 s27, s27
	v_mov_b32_e32 v146, s26
	s_xor_b32 exec_lo, exec_lo, s27
	s_cbranch_execz .LBB4_904
.LBB4_1492:                             ;   in Loop: Header=BB4_143 Depth=2
	v_cmp_ne_u16_e64 vcc_lo, 0, v147
	v_mov_b32_e32 v146, 0
	s_and_not1_b32 s11, s11, exec_lo
	s_delay_alu instid0(VALU_DEP_2) | instskip(NEXT) | instid1(SALU_CYCLE_1)
	s_and_b32 s26, vcc_lo, exec_lo
	s_or_b32 s11, s11, s26
	s_or_b32 exec_lo, exec_lo, s27
	s_and_saveexec_b32 s26, s11
	s_cbranch_execnz .LBB4_905
	s_branch .LBB4_906
.LBB4_1493:                             ;   in Loop: Header=BB4_143 Depth=2
	s_mov_b32 s11, -1
	s_mov_b32 s28, exec_lo
                                        ; implicit-def: $sgpr26
	v_cmpx_eq_u16_e64 0x80, v146
; %bb.1494:                             ;   in Loop: Header=BB4_143 Depth=2
	s_mov_b32 s26, 0x7f800001
	s_xor_b32 s11, exec_lo, -1
; %bb.1495:                             ;   in Loop: Header=BB4_143 Depth=2
	s_or_b32 exec_lo, exec_lo, s28
	s_delay_alu instid0(SALU_CYCLE_1)
	s_and_b32 s11, s11, exec_lo
                                        ; implicit-def: $vgpr146
	s_or_saveexec_b32 s27, s27
	v_mov_b32_e32 v145, s26
	s_xor_b32 exec_lo, exec_lo, s27
	s_cbranch_execz .LBB4_911
.LBB4_1496:                             ;   in Loop: Header=BB4_143 Depth=2
	v_cmp_ne_u16_e64 vcc_lo, 0, v146
	v_mov_b32_e32 v145, 0
	s_and_not1_b32 s11, s11, exec_lo
	s_delay_alu instid0(VALU_DEP_2) | instskip(NEXT) | instid1(SALU_CYCLE_1)
	s_and_b32 s26, vcc_lo, exec_lo
	s_or_b32 s11, s11, s26
	s_or_b32 exec_lo, exec_lo, s27
	s_and_saveexec_b32 s26, s11
	s_cbranch_execnz .LBB4_912
	s_branch .LBB4_913
.LBB4_1497:                             ;   in Loop: Header=BB4_143 Depth=2
	s_mov_b32 s11, -1
	s_mov_b32 s28, exec_lo
                                        ; implicit-def: $sgpr26
	v_cmpx_eq_u16_e64 0x80, v146
; %bb.1498:                             ;   in Loop: Header=BB4_143 Depth=2
	s_mov_b32 s26, 0x7f800001
	s_xor_b32 s11, exec_lo, -1
; %bb.1499:                             ;   in Loop: Header=BB4_143 Depth=2
	s_or_b32 exec_lo, exec_lo, s28
	s_delay_alu instid0(SALU_CYCLE_1)
	s_and_b32 s11, s11, exec_lo
                                        ; implicit-def: $vgpr146
	s_or_saveexec_b32 s27, s27
	v_mov_b32_e32 v144, s26
	s_xor_b32 exec_lo, exec_lo, s27
	s_cbranch_execz .LBB4_915
.LBB4_1500:                             ;   in Loop: Header=BB4_143 Depth=2
	v_cmp_ne_u16_e64 vcc_lo, 0, v146
	v_mov_b32_e32 v144, 0
	s_and_not1_b32 s11, s11, exec_lo
	s_delay_alu instid0(VALU_DEP_2) | instskip(NEXT) | instid1(SALU_CYCLE_1)
	s_and_b32 s26, vcc_lo, exec_lo
	s_or_b32 s11, s11, s26
	s_or_b32 exec_lo, exec_lo, s27
	s_and_saveexec_b32 s26, s11
	s_cbranch_execnz .LBB4_916
	s_branch .LBB4_917
.LBB4_1501:                             ;   in Loop: Header=BB4_143 Depth=2
	s_mov_b32 s11, -1
	s_mov_b32 s28, exec_lo
                                        ; implicit-def: $sgpr26
	v_cmpx_eq_u16_e64 0x80, v145
; %bb.1502:                             ;   in Loop: Header=BB4_143 Depth=2
	s_mov_b32 s26, 0x7f800001
	s_xor_b32 s11, exec_lo, -1
; %bb.1503:                             ;   in Loop: Header=BB4_143 Depth=2
	s_or_b32 exec_lo, exec_lo, s28
	s_delay_alu instid0(SALU_CYCLE_1)
	s_and_b32 s11, s11, exec_lo
	s_or_saveexec_b32 s27, s27
	v_mov_b32_e32 v146, s26
	s_xor_b32 exec_lo, exec_lo, s27
	s_cbranch_execz .LBB4_929
.LBB4_1504:                             ;   in Loop: Header=BB4_143 Depth=2
	v_cmp_ne_u16_e64 vcc_lo, 0, v145
	v_mov_b32_e32 v146, 0
	s_and_not1_b32 s11, s11, exec_lo
	s_delay_alu instid0(VALU_DEP_2) | instskip(NEXT) | instid1(SALU_CYCLE_1)
	s_and_b32 s26, vcc_lo, exec_lo
	s_or_b32 s11, s11, s26
	s_or_b32 exec_lo, exec_lo, s27
	s_and_saveexec_b32 s26, s11
	s_cbranch_execnz .LBB4_930
	s_branch .LBB4_931
.LBB4_1505:                             ;   in Loop: Header=BB4_143 Depth=2
	s_mov_b32 s11, -1
	s_mov_b32 s28, exec_lo
                                        ; implicit-def: $sgpr26
	v_cmpx_eq_u16_e64 0x80, v144
; %bb.1506:                             ;   in Loop: Header=BB4_143 Depth=2
	s_mov_b32 s26, 0x7f800001
	s_xor_b32 s11, exec_lo, -1
; %bb.1507:                             ;   in Loop: Header=BB4_143 Depth=2
	s_or_b32 exec_lo, exec_lo, s28
	s_delay_alu instid0(SALU_CYCLE_1)
	s_and_b32 s11, s11, exec_lo
	s_or_saveexec_b32 s27, s27
	v_mov_b32_e32 v147, s26
	s_xor_b32 exec_lo, exec_lo, s27
	s_cbranch_execz .LBB4_933
.LBB4_1508:                             ;   in Loop: Header=BB4_143 Depth=2
	v_cmp_ne_u16_e64 vcc_lo, 0, v144
	v_mov_b32_e32 v147, 0
	s_and_not1_b32 s11, s11, exec_lo
	s_delay_alu instid0(VALU_DEP_2) | instskip(NEXT) | instid1(SALU_CYCLE_1)
	s_and_b32 s26, vcc_lo, exec_lo
	s_or_b32 s11, s11, s26
	s_or_b32 exec_lo, exec_lo, s27
	s_and_saveexec_b32 s26, s11
	s_cbranch_execnz .LBB4_934
	s_branch .LBB4_935
.LBB4_1509:                             ;   in Loop: Header=BB4_143 Depth=2
	s_mov_b32 s11, -1
	s_mov_b32 s28, exec_lo
                                        ; implicit-def: $sgpr26
	v_cmpx_eq_u16_e64 0x80, v145
; %bb.1510:                             ;   in Loop: Header=BB4_143 Depth=2
	s_mov_b32 s26, 0x7f800001
	s_xor_b32 s11, exec_lo, -1
; %bb.1511:                             ;   in Loop: Header=BB4_143 Depth=2
	s_or_b32 exec_lo, exec_lo, s28
	s_delay_alu instid0(SALU_CYCLE_1)
	s_and_b32 s11, s11, exec_lo
	s_or_saveexec_b32 s27, s27
	v_mov_b32_e32 v146, s26
	s_xor_b32 exec_lo, exec_lo, s27
	s_cbranch_execz .LBB4_940
.LBB4_1512:                             ;   in Loop: Header=BB4_143 Depth=2
	v_cmp_ne_u16_e64 vcc_lo, 0, v145
	v_mov_b32_e32 v146, 0
	s_and_not1_b32 s11, s11, exec_lo
	s_delay_alu instid0(VALU_DEP_2) | instskip(NEXT) | instid1(SALU_CYCLE_1)
	s_and_b32 s26, vcc_lo, exec_lo
	s_or_b32 s11, s11, s26
	s_or_b32 exec_lo, exec_lo, s27
	s_and_saveexec_b32 s26, s11
	s_cbranch_execnz .LBB4_941
	s_branch .LBB4_942
.LBB4_1513:                             ;   in Loop: Header=BB4_143 Depth=2
	s_mov_b32 s11, -1
	s_mov_b32 s28, exec_lo
                                        ; implicit-def: $sgpr26
	v_cmpx_eq_u16_e64 0x80, v144
; %bb.1514:                             ;   in Loop: Header=BB4_143 Depth=2
	s_mov_b32 s26, 0x7f800001
	s_xor_b32 s11, exec_lo, -1
; %bb.1515:                             ;   in Loop: Header=BB4_143 Depth=2
	s_or_b32 exec_lo, exec_lo, s28
	s_delay_alu instid0(SALU_CYCLE_1)
	s_and_b32 s11, s11, exec_lo
	s_or_saveexec_b32 s27, s27
	v_mov_b32_e32 v16, s26
	s_xor_b32 exec_lo, exec_lo, s27
	s_cbranch_execz .LBB4_944
.LBB4_1516:                             ;   in Loop: Header=BB4_143 Depth=2
	v_cmp_ne_u16_e64 vcc_lo, 0, v144
	v_mov_b32_e32 v16, 0
	s_and_not1_b32 s11, s11, exec_lo
	s_delay_alu instid0(VALU_DEP_2) | instskip(NEXT) | instid1(SALU_CYCLE_1)
	s_and_b32 s26, vcc_lo, exec_lo
	s_or_b32 s11, s11, s26
	s_or_b32 exec_lo, exec_lo, s27
	s_and_saveexec_b32 s26, s11
	s_cbranch_execnz .LBB4_945
	s_branch .LBB4_946
.LBB4_1517:                             ;   in Loop: Header=BB4_143 Depth=2
	s_mov_b32 s11, -1
	s_mov_b32 s28, exec_lo
                                        ; implicit-def: $sgpr26
	v_cmpx_eq_u16_e64 0x80, v144
; %bb.1518:                             ;   in Loop: Header=BB4_143 Depth=2
	s_mov_b32 s26, 0x7f800001
	s_xor_b32 s11, exec_lo, -1
; %bb.1519:                             ;   in Loop: Header=BB4_143 Depth=2
	s_or_b32 exec_lo, exec_lo, s28
	s_delay_alu instid0(SALU_CYCLE_1)
	s_and_b32 s11, s11, exec_lo
                                        ; implicit-def: $vgpr144
	s_or_saveexec_b32 s27, s27
	v_mov_b32_e32 v16, s26
	s_xor_b32 exec_lo, exec_lo, s27
	s_cbranch_execz .LBB4_958
.LBB4_1520:                             ;   in Loop: Header=BB4_143 Depth=2
	v_cmp_ne_u16_e64 vcc_lo, 0, v144
	v_mov_b32_e32 v16, 0
	s_and_not1_b32 s11, s11, exec_lo
	s_delay_alu instid0(VALU_DEP_2) | instskip(NEXT) | instid1(SALU_CYCLE_1)
	s_and_b32 s26, vcc_lo, exec_lo
	s_or_b32 s11, s11, s26
	s_or_b32 exec_lo, exec_lo, s27
	s_and_saveexec_b32 s26, s11
	s_cbranch_execnz .LBB4_959
	s_branch .LBB4_960
.LBB4_1521:                             ;   in Loop: Header=BB4_143 Depth=2
	s_mov_b32 s11, -1
	s_mov_b32 s28, exec_lo
                                        ; implicit-def: $sgpr26
	v_cmpx_eq_u16_e64 0x80, v145
; %bb.1522:                             ;   in Loop: Header=BB4_143 Depth=2
	s_mov_b32 s26, 0x7f800001
	s_xor_b32 s11, exec_lo, -1
; %bb.1523:                             ;   in Loop: Header=BB4_143 Depth=2
	s_or_b32 exec_lo, exec_lo, s28
	s_delay_alu instid0(SALU_CYCLE_1)
	s_and_b32 s11, s11, exec_lo
                                        ; implicit-def: $vgpr145
	s_or_saveexec_b32 s27, s27
	v_mov_b32_e32 v144, s26
	s_xor_b32 exec_lo, exec_lo, s27
	s_cbranch_execz .LBB4_962
.LBB4_1524:                             ;   in Loop: Header=BB4_143 Depth=2
	v_cmp_ne_u16_e64 vcc_lo, 0, v145
	v_mov_b32_e32 v144, 0
	s_and_not1_b32 s11, s11, exec_lo
	s_delay_alu instid0(VALU_DEP_2) | instskip(NEXT) | instid1(SALU_CYCLE_1)
	s_and_b32 s26, vcc_lo, exec_lo
	s_or_b32 s11, s11, s26
	s_or_b32 exec_lo, exec_lo, s27
	s_and_saveexec_b32 s26, s11
	s_cbranch_execnz .LBB4_963
	s_branch .LBB4_964
.LBB4_1525:                             ;   in Loop: Header=BB4_143 Depth=2
	s_mov_b32 s11, -1
	s_mov_b32 s28, exec_lo
                                        ; implicit-def: $sgpr26
	v_cmpx_eq_u16_e64 0x80, v144
; %bb.1526:                             ;   in Loop: Header=BB4_143 Depth=2
	s_mov_b32 s26, 0x7f800001
	s_xor_b32 s11, exec_lo, -1
; %bb.1527:                             ;   in Loop: Header=BB4_143 Depth=2
	s_or_b32 exec_lo, exec_lo, s28
	s_delay_alu instid0(SALU_CYCLE_1)
	s_and_b32 s11, s11, exec_lo
                                        ; implicit-def: $vgpr144
	s_or_saveexec_b32 s27, s27
	v_mov_b32_e32 v16, s26
	s_xor_b32 exec_lo, exec_lo, s27
	s_cbranch_execz .LBB4_969
.LBB4_1528:                             ;   in Loop: Header=BB4_143 Depth=2
	v_cmp_ne_u16_e64 vcc_lo, 0, v144
	v_mov_b32_e32 v16, 0
	s_and_not1_b32 s11, s11, exec_lo
	s_delay_alu instid0(VALU_DEP_2) | instskip(NEXT) | instid1(SALU_CYCLE_1)
	s_and_b32 s26, vcc_lo, exec_lo
	s_or_b32 s11, s11, s26
	s_or_b32 exec_lo, exec_lo, s27
	s_and_saveexec_b32 s26, s11
	s_cbranch_execnz .LBB4_970
	s_branch .LBB4_971
.LBB4_1529:                             ;   in Loop: Header=BB4_143 Depth=2
	s_mov_b32 s11, -1
	s_mov_b32 s28, exec_lo
                                        ; implicit-def: $sgpr26
	v_cmpx_eq_u16_e64 0x80, v145
; %bb.1530:                             ;   in Loop: Header=BB4_143 Depth=2
	s_mov_b32 s26, 0x7f800001
	s_xor_b32 s11, exec_lo, -1
; %bb.1531:                             ;   in Loop: Header=BB4_143 Depth=2
	s_or_b32 exec_lo, exec_lo, s28
	s_delay_alu instid0(SALU_CYCLE_1)
	s_and_b32 s11, s11, exec_lo
                                        ; implicit-def: $vgpr145
	s_or_saveexec_b32 s27, s27
	v_mov_b32_e32 v144, s26
	s_xor_b32 exec_lo, exec_lo, s27
	s_cbranch_execz .LBB4_973
.LBB4_1532:                             ;   in Loop: Header=BB4_143 Depth=2
	v_cmp_ne_u16_e64 vcc_lo, 0, v145
	v_mov_b32_e32 v144, 0
	s_and_not1_b32 s11, s11, exec_lo
	s_delay_alu instid0(VALU_DEP_2) | instskip(NEXT) | instid1(SALU_CYCLE_1)
	s_and_b32 s26, vcc_lo, exec_lo
	s_or_b32 s11, s11, s26
	s_or_b32 exec_lo, exec_lo, s27
	s_and_saveexec_b32 s26, s11
	s_cbranch_execnz .LBB4_974
	s_branch .LBB4_975
.LBB4_1533:                             ;   in Loop: Header=BB4_143 Depth=2
	s_mov_b32 s11, -1
	s_mov_b32 s28, exec_lo
                                        ; implicit-def: $sgpr26
	v_cmpx_eq_u16_e64 0x80, v145
; %bb.1534:                             ;   in Loop: Header=BB4_143 Depth=2
	s_mov_b32 s26, 0x7f800001
	s_xor_b32 s11, exec_lo, -1
; %bb.1535:                             ;   in Loop: Header=BB4_143 Depth=2
	s_or_b32 exec_lo, exec_lo, s28
	s_delay_alu instid0(SALU_CYCLE_1)
	s_and_b32 s11, s11, exec_lo
	s_or_saveexec_b32 s27, s27
	v_mov_b32_e32 v146, s26
	s_xor_b32 exec_lo, exec_lo, s27
	s_cbranch_execz .LBB4_987
.LBB4_1536:                             ;   in Loop: Header=BB4_143 Depth=2
	v_cmp_ne_u16_e64 vcc_lo, 0, v145
	v_mov_b32_e32 v146, 0
	s_and_not1_b32 s11, s11, exec_lo
	s_delay_alu instid0(VALU_DEP_2) | instskip(NEXT) | instid1(SALU_CYCLE_1)
	s_and_b32 s26, vcc_lo, exec_lo
	s_or_b32 s11, s11, s26
	s_or_b32 exec_lo, exec_lo, s27
	s_and_saveexec_b32 s26, s11
	s_cbranch_execnz .LBB4_988
	s_branch .LBB4_989
.LBB4_1537:                             ;   in Loop: Header=BB4_143 Depth=2
	s_mov_b32 s11, -1
	s_mov_b32 s28, exec_lo
                                        ; implicit-def: $sgpr26
	v_cmpx_eq_u16_e64 0x80, v144
; %bb.1538:                             ;   in Loop: Header=BB4_143 Depth=2
	s_mov_b32 s26, 0x7f800001
	s_xor_b32 s11, exec_lo, -1
; %bb.1539:                             ;   in Loop: Header=BB4_143 Depth=2
	s_or_b32 exec_lo, exec_lo, s28
	s_delay_alu instid0(SALU_CYCLE_1)
	s_and_b32 s11, s11, exec_lo
	s_or_saveexec_b32 s27, s27
	v_mov_b32_e32 v147, s26
	s_xor_b32 exec_lo, exec_lo, s27
	s_cbranch_execz .LBB4_991
.LBB4_1540:                             ;   in Loop: Header=BB4_143 Depth=2
	v_cmp_ne_u16_e64 vcc_lo, 0, v144
	v_mov_b32_e32 v147, 0
	s_and_not1_b32 s11, s11, exec_lo
	s_delay_alu instid0(VALU_DEP_2) | instskip(NEXT) | instid1(SALU_CYCLE_1)
	s_and_b32 s26, vcc_lo, exec_lo
	s_or_b32 s11, s11, s26
	s_or_b32 exec_lo, exec_lo, s27
	s_and_saveexec_b32 s26, s11
	s_cbranch_execnz .LBB4_992
	s_branch .LBB4_993
.LBB4_1541:                             ;   in Loop: Header=BB4_143 Depth=2
	s_mov_b32 s11, -1
	s_mov_b32 s28, exec_lo
                                        ; implicit-def: $sgpr26
	v_cmpx_eq_u16_e64 0x80, v145
; %bb.1542:                             ;   in Loop: Header=BB4_143 Depth=2
	s_mov_b32 s26, 0x7f800001
	s_xor_b32 s11, exec_lo, -1
; %bb.1543:                             ;   in Loop: Header=BB4_143 Depth=2
	s_or_b32 exec_lo, exec_lo, s28
	s_delay_alu instid0(SALU_CYCLE_1)
	s_and_b32 s11, s11, exec_lo
	s_or_saveexec_b32 s27, s27
	v_mov_b32_e32 v146, s26
	s_xor_b32 exec_lo, exec_lo, s27
	s_cbranch_execz .LBB4_998
.LBB4_1544:                             ;   in Loop: Header=BB4_143 Depth=2
	v_cmp_ne_u16_e64 vcc_lo, 0, v145
	v_mov_b32_e32 v146, 0
	s_and_not1_b32 s11, s11, exec_lo
	s_delay_alu instid0(VALU_DEP_2) | instskip(NEXT) | instid1(SALU_CYCLE_1)
	s_and_b32 s26, vcc_lo, exec_lo
	s_or_b32 s11, s11, s26
	s_or_b32 exec_lo, exec_lo, s27
	s_and_saveexec_b32 s26, s11
	s_cbranch_execnz .LBB4_999
	s_branch .LBB4_1000
.LBB4_1545:                             ;   in Loop: Header=BB4_143 Depth=2
	s_mov_b32 s11, -1
	s_mov_b32 s28, exec_lo
                                        ; implicit-def: $sgpr26
	v_cmpx_eq_u16_e64 0x80, v144
; %bb.1546:                             ;   in Loop: Header=BB4_143 Depth=2
	s_mov_b32 s26, 0x7f800001
	s_xor_b32 s11, exec_lo, -1
; %bb.1547:                             ;   in Loop: Header=BB4_143 Depth=2
	s_or_b32 exec_lo, exec_lo, s28
	s_delay_alu instid0(SALU_CYCLE_1)
	s_and_b32 s11, s11, exec_lo
	s_or_saveexec_b32 s27, s27
	v_mov_b32_e32 v145, s26
	s_xor_b32 exec_lo, exec_lo, s27
	s_cbranch_execz .LBB4_1002
.LBB4_1548:                             ;   in Loop: Header=BB4_143 Depth=2
	v_cmp_ne_u16_e64 vcc_lo, 0, v144
	v_mov_b32_e32 v145, 0
	s_and_not1_b32 s11, s11, exec_lo
	s_delay_alu instid0(VALU_DEP_2) | instskip(NEXT) | instid1(SALU_CYCLE_1)
	s_and_b32 s26, vcc_lo, exec_lo
	s_or_b32 s11, s11, s26
	s_or_b32 exec_lo, exec_lo, s27
	s_and_saveexec_b32 s26, s11
	s_cbranch_execnz .LBB4_1003
	s_branch .LBB4_1004
.LBB4_1549:                             ;   in Loop: Header=BB4_143 Depth=2
	s_mov_b32 s11, -1
	s_mov_b32 s28, exec_lo
                                        ; implicit-def: $sgpr26
	v_cmpx_eq_u16_e64 0x80, v148
; %bb.1550:                             ;   in Loop: Header=BB4_143 Depth=2
	s_mov_b32 s26, 0x7f800001
	s_xor_b32 s11, exec_lo, -1
; %bb.1551:                             ;   in Loop: Header=BB4_143 Depth=2
	s_or_b32 exec_lo, exec_lo, s28
	s_delay_alu instid0(SALU_CYCLE_1)
	s_and_b32 s11, s11, exec_lo
                                        ; implicit-def: $vgpr148
	s_or_saveexec_b32 s27, s27
	v_mov_b32_e32 v147, s26
	s_xor_b32 exec_lo, exec_lo, s27
	s_cbranch_execz .LBB4_1016
.LBB4_1552:                             ;   in Loop: Header=BB4_143 Depth=2
	v_cmp_ne_u16_e64 vcc_lo, 0, v148
	v_mov_b32_e32 v147, 0
	s_and_not1_b32 s11, s11, exec_lo
	s_delay_alu instid0(VALU_DEP_2) | instskip(NEXT) | instid1(SALU_CYCLE_1)
	s_and_b32 s26, vcc_lo, exec_lo
	s_or_b32 s11, s11, s26
	s_or_b32 exec_lo, exec_lo, s27
	s_and_saveexec_b32 s26, s11
	s_cbranch_execnz .LBB4_1017
	s_branch .LBB4_1018
.LBB4_1553:                             ;   in Loop: Header=BB4_143 Depth=2
	s_mov_b32 s11, -1
	s_mov_b32 s28, exec_lo
                                        ; implicit-def: $sgpr26
	v_cmpx_eq_u16_e64 0x80, v149
; %bb.1554:                             ;   in Loop: Header=BB4_143 Depth=2
	s_mov_b32 s26, 0x7f800001
	s_xor_b32 s11, exec_lo, -1
; %bb.1555:                             ;   in Loop: Header=BB4_143 Depth=2
	s_or_b32 exec_lo, exec_lo, s28
	s_delay_alu instid0(SALU_CYCLE_1)
	s_and_b32 s11, s11, exec_lo
                                        ; implicit-def: $vgpr149
	s_or_saveexec_b32 s27, s27
	v_mov_b32_e32 v148, s26
	s_xor_b32 exec_lo, exec_lo, s27
	s_cbranch_execz .LBB4_1020
.LBB4_1556:                             ;   in Loop: Header=BB4_143 Depth=2
	v_cmp_ne_u16_e64 vcc_lo, 0, v149
	v_mov_b32_e32 v148, 0
	s_and_not1_b32 s11, s11, exec_lo
	s_delay_alu instid0(VALU_DEP_2) | instskip(NEXT) | instid1(SALU_CYCLE_1)
	s_and_b32 s26, vcc_lo, exec_lo
	s_or_b32 s11, s11, s26
	s_or_b32 exec_lo, exec_lo, s27
	s_and_saveexec_b32 s26, s11
	s_cbranch_execnz .LBB4_1021
	s_branch .LBB4_1022
.LBB4_1557:                             ;   in Loop: Header=BB4_143 Depth=2
	s_mov_b32 s11, -1
	s_mov_b32 s28, exec_lo
                                        ; implicit-def: $sgpr26
	v_cmpx_eq_u16_e64 0x80, v148
; %bb.1558:                             ;   in Loop: Header=BB4_143 Depth=2
	s_mov_b32 s26, 0x7f800001
	s_xor_b32 s11, exec_lo, -1
; %bb.1559:                             ;   in Loop: Header=BB4_143 Depth=2
	s_or_b32 exec_lo, exec_lo, s28
	s_delay_alu instid0(SALU_CYCLE_1)
	s_and_b32 s11, s11, exec_lo
                                        ; implicit-def: $vgpr148
	s_or_saveexec_b32 s27, s27
	v_mov_b32_e32 v147, s26
	s_xor_b32 exec_lo, exec_lo, s27
	s_cbranch_execz .LBB4_1027
.LBB4_1560:                             ;   in Loop: Header=BB4_143 Depth=2
	v_cmp_ne_u16_e64 vcc_lo, 0, v148
	v_mov_b32_e32 v147, 0
	s_and_not1_b32 s11, s11, exec_lo
	s_delay_alu instid0(VALU_DEP_2) | instskip(NEXT) | instid1(SALU_CYCLE_1)
	s_and_b32 s26, vcc_lo, exec_lo
	s_or_b32 s11, s11, s26
	s_or_b32 exec_lo, exec_lo, s27
	s_and_saveexec_b32 s26, s11
	s_cbranch_execnz .LBB4_1028
	s_branch .LBB4_1029
.LBB4_1561:                             ;   in Loop: Header=BB4_143 Depth=2
	s_mov_b32 s11, -1
	s_mov_b32 s28, exec_lo
                                        ; implicit-def: $sgpr26
	v_cmpx_eq_u16_e64 0x80, v148
; %bb.1562:                             ;   in Loop: Header=BB4_143 Depth=2
	s_mov_b32 s26, 0x7f800001
	s_xor_b32 s11, exec_lo, -1
; %bb.1563:                             ;   in Loop: Header=BB4_143 Depth=2
	s_or_b32 exec_lo, exec_lo, s28
	s_delay_alu instid0(SALU_CYCLE_1)
	s_and_b32 s11, s11, exec_lo
                                        ; implicit-def: $vgpr148
	s_or_saveexec_b32 s27, s27
	v_mov_b32_e32 v146, s26
	s_xor_b32 exec_lo, exec_lo, s27
	s_cbranch_execz .LBB4_1031
.LBB4_1564:                             ;   in Loop: Header=BB4_143 Depth=2
	v_cmp_ne_u16_e64 vcc_lo, 0, v148
	v_mov_b32_e32 v146, 0
	s_and_not1_b32 s11, s11, exec_lo
	s_delay_alu instid0(VALU_DEP_2) | instskip(NEXT) | instid1(SALU_CYCLE_1)
	s_and_b32 s26, vcc_lo, exec_lo
	s_or_b32 s11, s11, s26
	s_or_b32 exec_lo, exec_lo, s27
	s_and_saveexec_b32 s26, s11
	s_cbranch_execnz .LBB4_1032
	s_branch .LBB4_1033
.LBB4_1565:                             ;   in Loop: Header=BB4_143 Depth=2
	s_mov_b32 s11, -1
	s_mov_b32 s28, exec_lo
                                        ; implicit-def: $sgpr26
	v_cmpx_eq_u16_e64 0x80, v147
; %bb.1566:                             ;   in Loop: Header=BB4_143 Depth=2
	s_mov_b32 s26, 0x7f800001
	s_xor_b32 s11, exec_lo, -1
; %bb.1567:                             ;   in Loop: Header=BB4_143 Depth=2
	s_or_b32 exec_lo, exec_lo, s28
	s_delay_alu instid0(SALU_CYCLE_1)
	s_and_b32 s11, s11, exec_lo
	s_or_saveexec_b32 s27, s27
	v_mov_b32_e32 v148, s26
	s_xor_b32 exec_lo, exec_lo, s27
	s_cbranch_execz .LBB4_1045
.LBB4_1568:                             ;   in Loop: Header=BB4_143 Depth=2
	v_cmp_ne_u16_e64 vcc_lo, 0, v147
	v_mov_b32_e32 v148, 0
	s_and_not1_b32 s11, s11, exec_lo
	s_delay_alu instid0(VALU_DEP_2) | instskip(NEXT) | instid1(SALU_CYCLE_1)
	s_and_b32 s26, vcc_lo, exec_lo
	s_or_b32 s11, s11, s26
	s_or_b32 exec_lo, exec_lo, s27
	s_and_saveexec_b32 s26, s11
	s_cbranch_execnz .LBB4_1046
	s_branch .LBB4_1047
.LBB4_1569:                             ;   in Loop: Header=BB4_143 Depth=2
	s_mov_b32 s11, -1
	s_mov_b32 s28, exec_lo
                                        ; implicit-def: $sgpr26
	v_cmpx_eq_u16_e64 0x80, v146
; %bb.1570:                             ;   in Loop: Header=BB4_143 Depth=2
	s_mov_b32 s26, 0x7f800001
	s_xor_b32 s11, exec_lo, -1
; %bb.1571:                             ;   in Loop: Header=BB4_143 Depth=2
	s_or_b32 exec_lo, exec_lo, s28
	s_delay_alu instid0(SALU_CYCLE_1)
	s_and_b32 s11, s11, exec_lo
	s_or_saveexec_b32 s27, s27
	v_mov_b32_e32 v149, s26
	s_xor_b32 exec_lo, exec_lo, s27
	s_cbranch_execz .LBB4_1049
.LBB4_1572:                             ;   in Loop: Header=BB4_143 Depth=2
	v_cmp_ne_u16_e64 vcc_lo, 0, v146
	v_mov_b32_e32 v149, 0
	s_and_not1_b32 s11, s11, exec_lo
	s_delay_alu instid0(VALU_DEP_2) | instskip(NEXT) | instid1(SALU_CYCLE_1)
	s_and_b32 s26, vcc_lo, exec_lo
	s_or_b32 s11, s11, s26
	s_or_b32 exec_lo, exec_lo, s27
	s_and_saveexec_b32 s26, s11
	s_cbranch_execnz .LBB4_1050
	s_branch .LBB4_1051
.LBB4_1573:                             ;   in Loop: Header=BB4_143 Depth=2
	s_mov_b32 s11, -1
	s_mov_b32 s28, exec_lo
                                        ; implicit-def: $sgpr26
	v_cmpx_eq_u16_e64 0x80, v147
; %bb.1574:                             ;   in Loop: Header=BB4_143 Depth=2
	s_mov_b32 s26, 0x7f800001
	s_xor_b32 s11, exec_lo, -1
; %bb.1575:                             ;   in Loop: Header=BB4_143 Depth=2
	s_or_b32 exec_lo, exec_lo, s28
	s_delay_alu instid0(SALU_CYCLE_1)
	s_and_b32 s11, s11, exec_lo
	s_or_saveexec_b32 s27, s27
	v_mov_b32_e32 v148, s26
	s_xor_b32 exec_lo, exec_lo, s27
	s_cbranch_execz .LBB4_1056
.LBB4_1576:                             ;   in Loop: Header=BB4_143 Depth=2
	v_cmp_ne_u16_e64 vcc_lo, 0, v147
	v_mov_b32_e32 v148, 0
	s_and_not1_b32 s11, s11, exec_lo
	s_delay_alu instid0(VALU_DEP_2) | instskip(NEXT) | instid1(SALU_CYCLE_1)
	s_and_b32 s26, vcc_lo, exec_lo
	s_or_b32 s11, s11, s26
	s_or_b32 exec_lo, exec_lo, s27
	s_and_saveexec_b32 s26, s11
	s_cbranch_execnz .LBB4_1057
	s_branch .LBB4_1058
.LBB4_1577:                             ;   in Loop: Header=BB4_143 Depth=2
	s_mov_b32 s11, -1
	s_mov_b32 s28, exec_lo
                                        ; implicit-def: $sgpr26
	v_cmpx_eq_u16_e64 0x80, v146
; %bb.1578:                             ;   in Loop: Header=BB4_143 Depth=2
	s_mov_b32 s26, 0x7f800001
	s_xor_b32 s11, exec_lo, -1
; %bb.1579:                             ;   in Loop: Header=BB4_143 Depth=2
	s_or_b32 exec_lo, exec_lo, s28
	s_delay_alu instid0(SALU_CYCLE_1)
	s_and_b32 s11, s11, exec_lo
	s_or_saveexec_b32 s27, s27
	v_mov_b32_e32 v17, s26
	s_xor_b32 exec_lo, exec_lo, s27
	s_cbranch_execz .LBB4_1060
.LBB4_1580:                             ;   in Loop: Header=BB4_143 Depth=2
	v_cmp_ne_u16_e64 vcc_lo, 0, v146
	v_mov_b32_e32 v17, 0
	s_and_not1_b32 s11, s11, exec_lo
	s_delay_alu instid0(VALU_DEP_2) | instskip(NEXT) | instid1(SALU_CYCLE_1)
	s_and_b32 s26, vcc_lo, exec_lo
	s_or_b32 s11, s11, s26
	s_or_b32 exec_lo, exec_lo, s27
	s_and_saveexec_b32 s26, s11
	s_cbranch_execnz .LBB4_1061
	s_branch .LBB4_1062
.LBB4_1581:                             ;   in Loop: Header=BB4_53 Depth=1
	s_or_b32 exec_lo, exec_lo, s24
.LBB4_1582:                             ;   in Loop: Header=BB4_53 Depth=1
	s_delay_alu instid0(SALU_CYCLE_1) | instskip(SKIP_3) | instid1(VALU_DEP_1)
	s_or_b32 exec_lo, exec_lo, s12
	v_dual_mov_b32 v16, 0 :: v_dual_and_b32 v11, 0x3ffffc00, v52
	s_mov_b32 s11, 0
	s_mov_b32 s24, exec_lo
                                        ; implicit-def: $vgpr17
                                        ; implicit-def: $vgpr18
                                        ; implicit-def: $vgpr10
	v_cmpx_ne_u32_e64 v11, v52
	s_cbranch_execz .LBB4_2311
; %bb.1583:                             ;   in Loop: Header=BB4_53 Depth=1
	v_lshlrev_b32_e32 v10, 5, v112
	v_bfe_u32 v15, v52, 9, 1
	s_mov_b32 s25, exec_lo
	s_delay_alu instid0(VALU_DEP_2) | instskip(NEXT) | instid1(VALU_DEP_1)
	v_sub_nc_u32_e32 v10, v86, v10
	v_ashrrev_i32_e32 v12, 31, v10
	s_delay_alu instid0(VALU_DEP_1) | instskip(NEXT) | instid1(VALU_DEP_1)
	v_lshrrev_b32_e32 v12, 27, v12
	v_add_nc_u32_e32 v12, v10, v12
	s_delay_alu instid0(VALU_DEP_1) | instskip(SKIP_1) | instid1(VALU_DEP_2)
	v_and_b32_e32 v13, 0xffffffe0, v12
	v_ashrrev_i32_e32 v12, 5, v12
	v_sub_nc_u32_e32 v24, v10, v13
	v_and_b32_e32 v13, 0x3ff, v52
	v_and_b32_e32 v10, 0x200, v52
	s_delay_alu instid0(VALU_DEP_3) | instskip(NEXT) | instid1(VALU_DEP_2)
	v_lshlrev_b32_e32 v14, 4, v24
	v_sub_nc_u32_e32 v25, v13, v10
	s_delay_alu instid0(VALU_DEP_2) | instskip(NEXT) | instid1(VALU_DEP_2)
	v_lshl_add_u32 v10, v12, 9, v14
	v_cmp_lt_i32_e64 s11, 15, v25
	s_delay_alu instid0(VALU_DEP_2) | instskip(NEXT) | instid1(VALU_DEP_2)
	v_sub_nc_u32_e32 v67, v13, v10
	v_add_co_ci_u32_e64 v14, vcc_lo, 0, v15, s11
	s_delay_alu instid0(VALU_DEP_1) | instskip(NEXT) | instid1(VALU_DEP_3)
	v_sub_nc_u32_e32 v66, v14, v12
	v_cmpx_lt_i32_e32 15, v67
	s_cbranch_execz .LBB4_2308
; %bb.1584:                             ;   in Loop: Header=BB4_53 Depth=1
	s_cbranch_execz .LBB4_1585
; %bb.6865:
	s_getpc_b64 s[34:35]
.Lpost_getpc72:
	s_add_u32 s34, s34, (.LBB4_6763-.Lpost_getpc72)&4294967295
	s_addc_u32 s35, s35, (.LBB4_6763-.Lpost_getpc72)>>32
	s_setpc_b64 s[34:35]
.LBB4_1585:                             ;   in Loop: Header=BB4_53 Depth=1
	ds_load_b128 v[12:15], v0
	ds_load_b64 v[16:17], v0
	v_add_nc_u32_e32 v10, v10, v11
	s_bitcmp1_b32 s23, 0
	s_mov_b32 s26, 0
	s_cselect_b32 s27, -1, 0
	s_delay_alu instid0(VALU_DEP_1) | instskip(SKIP_3) | instid1(VALU_DEP_2)
	v_ashrrev_i32_e32 v11, 31, v10
	s_waitcnt lgkmcnt(1)
	v_add_co_u32 v18, vcc_lo, v12, v10
	s_waitcnt vmcnt(0)
	v_add_co_ci_u32_e32 v19, vcc_lo, v13, v11, vcc_lo
	v_add_co_u32 v20, vcc_lo, v14, v10
	v_add_co_ci_u32_e32 v21, vcc_lo, v15, v11, vcc_lo
	s_waitcnt lgkmcnt(0)
	v_add_co_u32 v22, vcc_lo, v16, v10
	v_add_co_ci_u32_e32 v23, vcc_lo, v17, v11, vcc_lo
	s_branch .LBB4_1589
.LBB4_1586:                             ;   in Loop: Header=BB4_1589 Depth=2
	s_or_b32 exec_lo, exec_lo, s12
	s_delay_alu instid0(VALU_DEP_1) | instskip(NEXT) | instid1(VALU_DEP_2)
	v_lshrrev_b32_e32 v17, 20, v17
	v_min_i32_e32 v117, 15, v13
	v_cmp_gt_i32_e32 vcc_lo, 16, v13
	v_lshrrev_b32_e32 v118, 24, v119
	s_delay_alu instid0(VALU_DEP_3) | instskip(NEXT) | instid1(VALU_DEP_2)
	v_lshlrev_b32_e32 v117, 3, v117
	v_dual_cndmask_b32 v17, 7, v17 :: v_dual_and_b32 v118, 0x80, v118
	s_delay_alu instid0(VALU_DEP_2) | instskip(NEXT) | instid1(VALU_DEP_2)
	v_and_b32_e32 v117, 0xf8, v117
	v_and_b32_e32 v119, 7, v17
	v_or_b32_e32 v13, v13, v17
	s_delay_alu instid0(VALU_DEP_2) | instskip(NEXT) | instid1(VALU_DEP_2)
	v_or3_b32 v117, v118, v117, v119
	v_cmp_ne_u32_e32 vcc_lo, 0, v13
	s_delay_alu instid0(VALU_DEP_2) | instskip(NEXT) | instid1(VALU_DEP_1)
	v_lshlrev_b32_e32 v17, 8, v117
	v_cndmask_b32_e32 v13, 0, v17, vcc_lo
.LBB4_1587:                             ;   in Loop: Header=BB4_1589 Depth=2
	s_or_b32 exec_lo, exec_lo, s29
.LBB4_1588:                             ;   in Loop: Header=BB4_1589 Depth=2
	s_delay_alu instid0(SALU_CYCLE_1)
	s_or_b32 exec_lo, exec_lo, s28
	v_lshlrev_b32_e32 v17, 8, v71
	v_and_b32_e32 v70, 0xff, v70
	v_or_b32_e32 v11, v11, v112
	v_lshlrev_b32_e32 v69, 8, v69
	v_lshlrev_b32_e32 v71, 8, v113
	v_perm_b32 v14, v17, v14, 0xc0c0500
	v_lshlrev_b32_e32 v17, 16, v70
	v_and_b32_e32 v70, 0xff, v114
	v_lshlrev_b32_e32 v112, 8, v115
	v_lshlrev_b32_e32 v10, 24, v10
	v_perm_b32 v68, v69, v68, 0xc0c0500
	v_lshlrev_b32_e32 v12, 24, v12
	v_lshlrev_b32_e32 v69, 16, v70
	v_perm_b32 v15, v71, v15, 0xc0c0500
	v_perm_b32 v16, v112, v16, 0xc0c0500
	v_or_b32_e32 v13, v13, v116
	v_add_co_u32 v18, vcc_lo, v18, v100
	v_lshl_or_b32 v11, v11, 16, v14
	v_or3_b32 v10, v10, v17, v68
	v_or3_b32 v12, v12, v69, v15
	v_lshl_or_b32 v13, v13, 16, v16
	v_sub_nc_u32_e32 v67, v67, v85
	v_add_co_ci_u32_e32 v19, vcc_lo, v19, v101, vcc_lo
	v_add_co_u32 v20, vcc_lo, v20, v100
	v_add_co_ci_u32_e32 v21, vcc_lo, v21, v101, vcc_lo
	global_store_b128 v[22:23], v[10:13], off glc slc dlc
	v_cmp_gt_i32_e32 vcc_lo, 16, v67
	v_add_co_u32 v22, s12, v22, v100
	s_delay_alu instid0(VALU_DEP_1) | instskip(SKIP_2) | instid1(SALU_CYCLE_1)
	v_add_co_ci_u32_e64 v23, s12, v23, v101, s12
	v_sub_nc_u32_e32 v66, v66, v83
	s_or_b32 s26, vcc_lo, s26
	s_and_not1_b32 exec_lo, exec_lo, s26
	s_cbranch_execz .LBB4_2307
.LBB4_1589:                             ;   Parent Loop BB4_53 Depth=1
                                        ; =>  This Inner Loop Header: Depth=2
	global_load_b128 v[14:17], v[18:19], off slc dlc
	global_load_b128 v[10:13], v[20:21], off slc dlc
	s_and_b32 vcc_lo, exec_lo, s27
	s_waitcnt vmcnt(1)
	v_and_b32_e32 v68, 0xff, v14
	s_delay_alu instid0(VALU_DEP_1)
	v_cmp_lt_i16_e64 s12, 0x7f, v68
	s_cbranch_vccz .LBB4_1599
; %bb.1590:                             ;   in Loop: Header=BB4_1589 Depth=2
	s_mov_b32 s28, 0
                                        ; implicit-def: $sgpr29
	s_delay_alu instid0(VALU_DEP_1) | instskip(NEXT) | instid1(SALU_CYCLE_1)
	s_and_saveexec_b32 vcc_lo, s12
	s_xor_b32 s12, exec_lo, vcc_lo
	s_cbranch_execnz .LBB4_2051
; %bb.1591:                             ;   in Loop: Header=BB4_1589 Depth=2
	s_or_saveexec_b32 s12, s12
	v_mov_b32_e32 v69, s29
	s_xor_b32 exec_lo, exec_lo, s12
	s_cbranch_execnz .LBB4_2054
.LBB4_1592:                             ;   in Loop: Header=BB4_1589 Depth=2
	s_or_b32 exec_lo, exec_lo, s12
	s_and_saveexec_b32 s12, s28
	s_cbranch_execz .LBB4_1594
.LBB4_1593:                             ;   in Loop: Header=BB4_1589 Depth=2
	v_and_b32_e32 v69, 7, v14
	v_bfe_u32 v112, v14, 3, 4
	v_lshlrev_b32_e32 v113, 24, v14
	s_delay_alu instid0(VALU_DEP_3) | instskip(NEXT) | instid1(VALU_DEP_3)
	v_clz_i32_u32_e32 v70, v69
	v_cmp_eq_u32_e32 vcc_lo, 0, v112
	s_delay_alu instid0(VALU_DEP_2) | instskip(NEXT) | instid1(VALU_DEP_1)
	v_min_u32_e32 v70, 32, v70
	v_subrev_nc_u32_e32 v71, 28, v70
	v_sub_nc_u32_e32 v70, 29, v70
	s_delay_alu instid0(VALU_DEP_2) | instskip(NEXT) | instid1(VALU_DEP_1)
	v_lshlrev_b32_e32 v71, v71, v14
	v_dual_cndmask_b32 v70, v112, v70 :: v_dual_and_b32 v71, 7, v71
	s_delay_alu instid0(VALU_DEP_1) | instskip(NEXT) | instid1(VALU_DEP_2)
	v_lshl_add_u32 v70, v70, 23, 0x3b800000
	v_cndmask_b32_e32 v69, v69, v71, vcc_lo
	v_and_b32_e32 v71, 0x80000000, v113
	s_delay_alu instid0(VALU_DEP_2) | instskip(NEXT) | instid1(VALU_DEP_1)
	v_lshlrev_b32_e32 v69, 20, v69
	v_or3_b32 v69, v71, v70, v69
.LBB4_1594:                             ;   in Loop: Header=BB4_1589 Depth=2
	s_or_b32 exec_lo, exec_lo, s12
	s_waitcnt vmcnt(0)
	v_and_b32_e32 v71, 0xff, v10
	s_mov_b32 s12, 0
	s_mov_b32 s29, exec_lo
                                        ; implicit-def: $sgpr28
	s_delay_alu instid0(VALU_DEP_1)
	v_cmpx_lt_i16_e32 0x7f, v71
	s_xor_b32 s29, exec_lo, s29
	s_cbranch_execnz .LBB4_2055
; %bb.1595:                             ;   in Loop: Header=BB4_1589 Depth=2
	s_or_saveexec_b32 s29, s29
	v_mov_b32_e32 v70, s28
	s_xor_b32 exec_lo, exec_lo, s29
	s_cbranch_execnz .LBB4_2058
.LBB4_1596:                             ;   in Loop: Header=BB4_1589 Depth=2
	s_or_b32 exec_lo, exec_lo, s29
	s_and_saveexec_b32 s28, s12
	s_cbranch_execz .LBB4_1598
.LBB4_1597:                             ;   in Loop: Header=BB4_1589 Depth=2
	v_bfe_u32 v113, v10, 3, 4
	v_lshlrev_b32_e32 v114, 24, v10
	s_delay_alu instid0(VALU_DEP_2) | instskip(SKIP_1) | instid1(VALU_DEP_1)
	v_cmp_eq_u32_e32 vcc_lo, 0, v113
	v_and_b32_e32 v70, 7, v10
	v_clz_i32_u32_e32 v71, v70
	s_delay_alu instid0(VALU_DEP_1) | instskip(NEXT) | instid1(VALU_DEP_1)
	v_min_u32_e32 v71, 32, v71
	v_subrev_nc_u32_e32 v112, 28, v71
	v_sub_nc_u32_e32 v71, 29, v71
	s_delay_alu instid0(VALU_DEP_1) | instskip(NEXT) | instid1(VALU_DEP_1)
	v_dual_cndmask_b32 v71, v113, v71 :: v_dual_lshlrev_b32 v112, v112, v10
	v_and_b32_e32 v112, 7, v112
	s_delay_alu instid0(VALU_DEP_2) | instskip(NEXT) | instid1(VALU_DEP_2)
	v_lshl_add_u32 v71, v71, 23, 0x3b800000
	v_cndmask_b32_e32 v70, v70, v112, vcc_lo
	v_and_b32_e32 v112, 0x80000000, v114
	s_delay_alu instid0(VALU_DEP_2) | instskip(NEXT) | instid1(VALU_DEP_1)
	v_lshlrev_b32_e32 v70, 20, v70
	v_or3_b32 v70, v112, v71, v70
.LBB4_1598:                             ;   in Loop: Header=BB4_1589 Depth=2
	s_or_b32 exec_lo, exec_lo, s28
	s_delay_alu instid0(VALU_DEP_1) | instskip(SKIP_1) | instid1(VALU_DEP_1)
	v_dual_max_f32 v70, v70, v70 :: v_dual_max_f32 v69, v69, v69
	s_mov_b32 s12, 0
	v_max_f32_e32 v69, v69, v70
	s_branch .LBB4_1600
.LBB4_1599:                             ;   in Loop: Header=BB4_1589 Depth=2
	s_mov_b32 s12, -1
                                        ; implicit-def: $vgpr69
.LBB4_1600:                             ;   in Loop: Header=BB4_1589 Depth=2
	s_delay_alu instid0(SALU_CYCLE_1)
	s_and_b32 vcc_lo, exec_lo, s12
	s_cbranch_vccz .LBB4_1610
; %bb.1601:                             ;   in Loop: Header=BB4_1589 Depth=2
	s_mov_b32 s12, 0
	s_mov_b32 s29, exec_lo
                                        ; implicit-def: $sgpr28
	v_cmpx_lt_i16_e32 0x7f, v68
	s_xor_b32 s29, exec_lo, s29
	s_cbranch_execnz .LBB4_2059
; %bb.1602:                             ;   in Loop: Header=BB4_1589 Depth=2
	s_or_saveexec_b32 s29, s29
	v_mov_b32_e32 v69, s28
	s_xor_b32 exec_lo, exec_lo, s29
	s_cbranch_execnz .LBB4_2062
.LBB4_1603:                             ;   in Loop: Header=BB4_1589 Depth=2
	s_or_b32 exec_lo, exec_lo, s29
	s_and_saveexec_b32 s28, s12
	s_cbranch_execz .LBB4_1605
.LBB4_1604:                             ;   in Loop: Header=BB4_1589 Depth=2
	v_bfe_u32 v71, v14, 3, 4
	v_lshlrev_b32_e32 v112, 24, v14
	s_delay_alu instid0(VALU_DEP_2) | instskip(SKIP_1) | instid1(VALU_DEP_1)
	v_cmp_eq_u32_e32 vcc_lo, 0, v71
	v_and_b32_e32 v68, 7, v14
	v_clz_i32_u32_e32 v69, v68
	s_delay_alu instid0(VALU_DEP_1) | instskip(NEXT) | instid1(VALU_DEP_1)
	v_min_u32_e32 v69, 32, v69
	v_subrev_nc_u32_e32 v70, 28, v69
	v_sub_nc_u32_e32 v69, 29, v69
	s_delay_alu instid0(VALU_DEP_1) | instskip(NEXT) | instid1(VALU_DEP_1)
	v_dual_cndmask_b32 v69, v71, v69 :: v_dual_lshlrev_b32 v70, v70, v14
	v_and_b32_e32 v70, 7, v70
	s_delay_alu instid0(VALU_DEP_2) | instskip(NEXT) | instid1(VALU_DEP_2)
	v_lshl_add_u32 v69, v69, 23, 0x3b800000
	v_cndmask_b32_e32 v68, v68, v70, vcc_lo
	v_and_b32_e32 v70, 0x80000000, v112
	s_delay_alu instid0(VALU_DEP_2) | instskip(NEXT) | instid1(VALU_DEP_1)
	v_lshlrev_b32_e32 v68, 20, v68
	v_or3_b32 v69, v70, v69, v68
.LBB4_1605:                             ;   in Loop: Header=BB4_1589 Depth=2
	s_or_b32 exec_lo, exec_lo, s28
	s_waitcnt vmcnt(0)
	v_and_b32_e32 v70, 0xff, v10
	s_mov_b32 s12, 0
	s_mov_b32 s29, exec_lo
                                        ; implicit-def: $sgpr28
	s_delay_alu instid0(VALU_DEP_1)
	v_cmpx_lt_i16_e32 0x7f, v70
	s_xor_b32 s29, exec_lo, s29
	s_cbranch_execnz .LBB4_2063
; %bb.1606:                             ;   in Loop: Header=BB4_1589 Depth=2
	s_or_saveexec_b32 s29, s29
	v_mov_b32_e32 v68, s28
	s_xor_b32 exec_lo, exec_lo, s29
	s_cbranch_execnz .LBB4_2066
.LBB4_1607:                             ;   in Loop: Header=BB4_1589 Depth=2
	s_or_b32 exec_lo, exec_lo, s29
	s_and_saveexec_b32 s28, s12
	s_cbranch_execz .LBB4_1609
.LBB4_1608:                             ;   in Loop: Header=BB4_1589 Depth=2
	v_and_b32_e32 v68, 7, v10
	v_bfe_u32 v112, v10, 3, 4
	s_delay_alu instid0(VALU_DEP_2) | instskip(NEXT) | instid1(VALU_DEP_2)
	v_clz_i32_u32_e32 v70, v68
	v_cmp_eq_u32_e32 vcc_lo, 0, v112
	s_delay_alu instid0(VALU_DEP_2) | instskip(NEXT) | instid1(VALU_DEP_1)
	v_min_u32_e32 v70, 32, v70
	v_subrev_nc_u32_e32 v71, 28, v70
	v_sub_nc_u32_e32 v70, 29, v70
	s_delay_alu instid0(VALU_DEP_2) | instskip(NEXT) | instid1(VALU_DEP_1)
	v_lshlrev_b32_e32 v71, v71, v10
	v_dual_cndmask_b32 v70, v112, v70 :: v_dual_and_b32 v71, 7, v71
	v_lshlrev_b32_e32 v113, 24, v10
	s_delay_alu instid0(VALU_DEP_2) | instskip(NEXT) | instid1(VALU_DEP_2)
	v_lshl_add_u32 v70, v70, 23, 0x3b800000
	v_dual_cndmask_b32 v68, v68, v71 :: v_dual_and_b32 v71, 0x80000000, v113
	s_delay_alu instid0(VALU_DEP_1) | instskip(NEXT) | instid1(VALU_DEP_1)
	v_lshlrev_b32_e32 v68, 20, v68
	v_or3_b32 v68, v71, v70, v68
.LBB4_1609:                             ;   in Loop: Header=BB4_1589 Depth=2
	s_or_b32 exec_lo, exec_lo, s28
	s_delay_alu instid0(VALU_DEP_1) | instskip(NEXT) | instid1(VALU_DEP_1)
	v_dual_max_f32 v68, v68, v68 :: v_dual_max_f32 v69, v69, v69
	v_min_f32_e32 v69, v69, v68
.LBB4_1610:                             ;   in Loop: Header=BB4_1589 Depth=2
	s_delay_alu instid0(VALU_DEP_1) | instskip(NEXT) | instid1(VALU_DEP_1)
	v_and_b32_e32 v68, 0x7f800000, v69
	v_cmp_ne_u32_e32 vcc_lo, 0x7f800000, v68
	v_mov_b32_e32 v68, 0x80
	s_and_saveexec_b32 s28, vcc_lo
	s_cbranch_execz .LBB4_1618
; %bb.1611:                             ;   in Loop: Header=BB4_1589 Depth=2
	v_mov_b32_e32 v68, 0
	s_mov_b32 s29, exec_lo
	v_cmpx_ne_u32_e32 0, v69
	s_cbranch_execz .LBB4_1617
; %bb.1612:                             ;   in Loop: Header=BB4_1589 Depth=2
	v_bfe_u32 v68, v69, 23, 8
	s_delay_alu instid0(VALU_DEP_1) | instskip(SKIP_1) | instid1(VALU_DEP_2)
	v_sub_nc_u32_e32 v71, 0x78, v68
	v_cmp_gt_u32_e32 vcc_lo, 0x79, v68
	v_dual_cndmask_b32 v71, 0, v71 :: v_dual_and_b32 v70, 0x7fffff, v69
	s_delay_alu instid0(VALU_DEP_1) | instskip(SKIP_2) | instid1(VALU_DEP_4)
	v_or_b32_e32 v112, 0x800000, v70
	v_cmp_eq_u32_e32 vcc_lo, 0, v68
	v_add_nc_u32_e32 v68, 0xffffff89, v68
	v_cndmask_b32_e64 v71, v71, 0x77, vcc_lo
	s_delay_alu instid0(VALU_DEP_2) | instskip(SKIP_1) | instid1(VALU_DEP_3)
	v_cndmask_b32_e64 v68, v68, 0xffffff8a, vcc_lo
	v_cndmask_b32_e32 v70, v112, v70, vcc_lo
	v_lshl_add_u32 v112, 0x100000, v71, -1
	v_lshlrev_b32_e64 v115, v71, 0x80000
	s_delay_alu instid0(VALU_DEP_3) | instskip(SKIP_1) | instid1(VALU_DEP_4)
	v_lshrrev_b32_e32 v113, v71, v70
	v_add_nc_u32_e32 v71, v71, v68
	v_and_b32_e32 v70, v112, v70
	s_delay_alu instid0(VALU_DEP_3) | instskip(NEXT) | instid1(VALU_DEP_2)
	v_bfe_u32 v114, v113, 20, 1
	v_cmp_eq_u32_e64 s12, v70, v115
	s_delay_alu instid0(VALU_DEP_2) | instskip(NEXT) | instid1(VALU_DEP_1)
	v_add_nc_u32_e32 v112, -1, v114
	v_cndmask_b32_e64 v70, 0, v112, s12
	v_lshrrev_b32_e32 v112, 23, v113
	s_mov_b32 s12, exec_lo
	s_delay_alu instid0(VALU_DEP_2) | instskip(NEXT) | instid1(VALU_DEP_2)
	v_add_nc_u32_e32 v70, v70, v113
	v_xor_b32_e32 v112, 1, v112
	s_delay_alu instid0(VALU_DEP_2) | instskip(NEXT) | instid1(VALU_DEP_1)
	v_and_b32_e32 v68, 0xfffff, v70
	v_add_nc_u32_e32 v70, v68, v113
                                        ; implicit-def: $vgpr68
	s_delay_alu instid0(VALU_DEP_3)
	v_cmpx_ne_u32_e64 v71, v112
	s_xor_b32 s12, exec_lo, s12
; %bb.1613:                             ;   in Loop: Header=BB4_1589 Depth=2
	s_delay_alu instid0(VALU_DEP_2) | instskip(SKIP_2) | instid1(VALU_DEP_2)
	v_cmp_lt_u32_e32 vcc_lo, 0xffffff, v70
	v_sub_nc_u32_e32 v68, v71, v112
	v_cndmask_b32_e64 v71, 0, 1, vcc_lo
	v_add_co_ci_u32_e32 v68, vcc_lo, 0, v68, vcc_lo
	s_delay_alu instid0(VALU_DEP_2)
	v_lshrrev_b32_e32 v70, v71, v70
; %bb.1614:                             ;   in Loop: Header=BB4_1589 Depth=2
	s_and_not1_saveexec_b32 s12, s12
; %bb.1615:                             ;   in Loop: Header=BB4_1589 Depth=2
	s_delay_alu instid0(VALU_DEP_1)
	v_bfe_u32 v68, v70, 23, 1
; %bb.1616:                             ;   in Loop: Header=BB4_1589 Depth=2
	s_or_b32 exec_lo, exec_lo, s12
	v_lshrrev_b32_e32 v70, 20, v70
	s_delay_alu instid0(VALU_DEP_2) | instskip(SKIP_2) | instid1(VALU_DEP_2)
	v_cmp_gt_i32_e32 vcc_lo, 16, v68
	v_lshrrev_b32_e32 v69, 24, v69
	v_min_i32_e32 v71, 15, v68
	v_dual_cndmask_b32 v70, 7, v70 :: v_dual_and_b32 v69, 0x80, v69
	s_delay_alu instid0(VALU_DEP_1) | instskip(SKIP_1) | instid1(VALU_DEP_2)
	v_or_b32_e32 v68, v68, v70
	v_and_b32_e32 v112, 7, v70
	v_cmp_ne_u32_e32 vcc_lo, 0, v68
	v_lshlrev_b32_e32 v71, 3, v71
	s_delay_alu instid0(VALU_DEP_1) | instskip(NEXT) | instid1(VALU_DEP_1)
	v_or3_b32 v69, v71, v69, v112
	v_cndmask_b32_e32 v68, 0, v69, vcc_lo
.LBB4_1617:                             ;   in Loop: Header=BB4_1589 Depth=2
	s_or_b32 exec_lo, exec_lo, s29
.LBB4_1618:                             ;   in Loop: Header=BB4_1589 Depth=2
	s_delay_alu instid0(SALU_CYCLE_1) | instskip(SKIP_4) | instid1(VALU_DEP_2)
	s_or_b32 exec_lo, exec_lo, s28
	v_lshrrev_b16 v70, 8, v14
	s_waitcnt vmcnt(0)
	v_lshrrev_b16 v69, 8, v10
	s_and_b32 vcc_lo, exec_lo, s27
	v_cmp_lt_i16_e64 s12, 0x7f, v70
	s_cbranch_vccz .LBB4_1628
; %bb.1619:                             ;   in Loop: Header=BB4_1589 Depth=2
	s_mov_b32 s28, 0
                                        ; implicit-def: $sgpr29
	s_delay_alu instid0(VALU_DEP_1) | instskip(NEXT) | instid1(SALU_CYCLE_1)
	s_and_saveexec_b32 vcc_lo, s12
	s_xor_b32 s12, exec_lo, vcc_lo
	s_cbranch_execnz .LBB4_2067
; %bb.1620:                             ;   in Loop: Header=BB4_1589 Depth=2
	s_or_saveexec_b32 s12, s12
	v_mov_b32_e32 v71, s29
	s_xor_b32 exec_lo, exec_lo, s12
	s_cbranch_execnz .LBB4_2070
.LBB4_1621:                             ;   in Loop: Header=BB4_1589 Depth=2
	s_or_b32 exec_lo, exec_lo, s12
	s_and_saveexec_b32 s12, s28
	s_cbranch_execz .LBB4_1623
.LBB4_1622:                             ;   in Loop: Header=BB4_1589 Depth=2
	v_and_b32_e32 v71, 0xffff, v70
	v_lshlrev_b32_e32 v115, 16, v14
	s_delay_alu instid0(VALU_DEP_2) | instskip(NEXT) | instid1(VALU_DEP_1)
	v_and_b32_e32 v112, 7, v71
	v_clz_i32_u32_e32 v113, v112
	s_delay_alu instid0(VALU_DEP_1) | instskip(NEXT) | instid1(VALU_DEP_1)
	v_min_u32_e32 v113, 32, v113
	v_subrev_nc_u32_e32 v114, 28, v113
	v_sub_nc_u32_e32 v113, 29, v113
	s_delay_alu instid0(VALU_DEP_2) | instskip(SKIP_1) | instid1(VALU_DEP_2)
	v_lshlrev_b32_e32 v114, v114, v71
	v_bfe_u32 v71, v71, 3, 4
	v_and_b32_e32 v114, 7, v114
	s_delay_alu instid0(VALU_DEP_2) | instskip(NEXT) | instid1(VALU_DEP_2)
	v_cmp_eq_u32_e32 vcc_lo, 0, v71
	v_dual_cndmask_b32 v71, v71, v113 :: v_dual_cndmask_b32 v112, v112, v114
	v_and_b32_e32 v113, 0x80000000, v115
	s_delay_alu instid0(VALU_DEP_2) | instskip(NEXT) | instid1(VALU_DEP_3)
	v_lshl_add_u32 v71, v71, 23, 0x3b800000
	v_lshlrev_b32_e32 v112, 20, v112
	s_delay_alu instid0(VALU_DEP_1)
	v_or3_b32 v71, v113, v71, v112
.LBB4_1623:                             ;   in Loop: Header=BB4_1589 Depth=2
	s_or_b32 exec_lo, exec_lo, s12
	s_mov_b32 s12, 0
	s_mov_b32 s29, exec_lo
                                        ; implicit-def: $sgpr28
	v_cmpx_lt_i16_e32 0x7f, v69
	s_xor_b32 s29, exec_lo, s29
	s_cbranch_execnz .LBB4_2071
; %bb.1624:                             ;   in Loop: Header=BB4_1589 Depth=2
	s_or_saveexec_b32 s29, s29
	v_mov_b32_e32 v112, s28
	s_xor_b32 exec_lo, exec_lo, s29
	s_cbranch_execnz .LBB4_2074
.LBB4_1625:                             ;   in Loop: Header=BB4_1589 Depth=2
	s_or_b32 exec_lo, exec_lo, s29
	s_and_saveexec_b32 s28, s12
	s_cbranch_execz .LBB4_1627
.LBB4_1626:                             ;   in Loop: Header=BB4_1589 Depth=2
	v_and_b32_e32 v112, 0xffff, v69
	v_lshlrev_b32_e32 v116, 16, v10
	s_delay_alu instid0(VALU_DEP_2) | instskip(NEXT) | instid1(VALU_DEP_1)
	v_and_b32_e32 v113, 7, v112
	v_clz_i32_u32_e32 v114, v113
	s_delay_alu instid0(VALU_DEP_1) | instskip(NEXT) | instid1(VALU_DEP_1)
	v_min_u32_e32 v114, 32, v114
	v_subrev_nc_u32_e32 v115, 28, v114
	v_sub_nc_u32_e32 v114, 29, v114
	s_delay_alu instid0(VALU_DEP_2) | instskip(SKIP_1) | instid1(VALU_DEP_2)
	v_lshlrev_b32_e32 v115, v115, v112
	v_bfe_u32 v112, v112, 3, 4
	v_and_b32_e32 v115, 7, v115
	s_delay_alu instid0(VALU_DEP_2) | instskip(NEXT) | instid1(VALU_DEP_2)
	v_cmp_eq_u32_e32 vcc_lo, 0, v112
	v_dual_cndmask_b32 v112, v112, v114 :: v_dual_cndmask_b32 v113, v113, v115
	v_and_b32_e32 v114, 0x80000000, v116
	s_delay_alu instid0(VALU_DEP_2) | instskip(NEXT) | instid1(VALU_DEP_3)
	v_lshl_add_u32 v112, v112, 23, 0x3b800000
	v_lshlrev_b32_e32 v113, 20, v113
	s_delay_alu instid0(VALU_DEP_1)
	v_or3_b32 v112, v114, v112, v113
.LBB4_1627:                             ;   in Loop: Header=BB4_1589 Depth=2
	s_or_b32 exec_lo, exec_lo, s28
	s_delay_alu instid0(VALU_DEP_1) | instskip(SKIP_1) | instid1(VALU_DEP_1)
	v_dual_max_f32 v112, v112, v112 :: v_dual_max_f32 v71, v71, v71
	s_mov_b32 s12, 0
	v_max_f32_e32 v71, v71, v112
	s_branch .LBB4_1629
.LBB4_1628:                             ;   in Loop: Header=BB4_1589 Depth=2
	s_mov_b32 s12, -1
                                        ; implicit-def: $vgpr71
.LBB4_1629:                             ;   in Loop: Header=BB4_1589 Depth=2
	s_delay_alu instid0(SALU_CYCLE_1)
	s_and_b32 vcc_lo, exec_lo, s12
	s_cbranch_vccz .LBB4_1639
; %bb.1630:                             ;   in Loop: Header=BB4_1589 Depth=2
	s_mov_b32 s12, 0
	s_mov_b32 s29, exec_lo
                                        ; implicit-def: $sgpr28
	v_cmpx_lt_i16_e32 0x7f, v70
	s_xor_b32 s29, exec_lo, s29
	s_cbranch_execnz .LBB4_2075
; %bb.1631:                             ;   in Loop: Header=BB4_1589 Depth=2
	s_or_saveexec_b32 s29, s29
	v_mov_b32_e32 v71, s28
	s_xor_b32 exec_lo, exec_lo, s29
	s_cbranch_execnz .LBB4_2078
.LBB4_1632:                             ;   in Loop: Header=BB4_1589 Depth=2
	s_or_b32 exec_lo, exec_lo, s29
	s_and_saveexec_b32 s28, s12
	s_cbranch_execz .LBB4_1634
.LBB4_1633:                             ;   in Loop: Header=BB4_1589 Depth=2
	v_and_b32_e32 v70, 0xffff, v70
	v_lshlrev_b32_e32 v114, 16, v14
	s_delay_alu instid0(VALU_DEP_2) | instskip(NEXT) | instid1(VALU_DEP_1)
	v_and_b32_e32 v71, 7, v70
	v_clz_i32_u32_e32 v112, v71
	s_delay_alu instid0(VALU_DEP_1) | instskip(NEXT) | instid1(VALU_DEP_1)
	v_min_u32_e32 v112, 32, v112
	v_subrev_nc_u32_e32 v113, 28, v112
	v_sub_nc_u32_e32 v112, 29, v112
	s_delay_alu instid0(VALU_DEP_2) | instskip(SKIP_1) | instid1(VALU_DEP_2)
	v_lshlrev_b32_e32 v113, v113, v70
	v_bfe_u32 v70, v70, 3, 4
	v_and_b32_e32 v113, 7, v113
	s_delay_alu instid0(VALU_DEP_2) | instskip(NEXT) | instid1(VALU_DEP_2)
	v_cmp_eq_u32_e32 vcc_lo, 0, v70
	v_dual_cndmask_b32 v70, v70, v112 :: v_dual_cndmask_b32 v71, v71, v113
	v_and_b32_e32 v112, 0x80000000, v114
	s_delay_alu instid0(VALU_DEP_2) | instskip(NEXT) | instid1(VALU_DEP_3)
	v_lshl_add_u32 v70, v70, 23, 0x3b800000
	v_lshlrev_b32_e32 v71, 20, v71
	s_delay_alu instid0(VALU_DEP_1)
	v_or3_b32 v71, v112, v70, v71
.LBB4_1634:                             ;   in Loop: Header=BB4_1589 Depth=2
	s_or_b32 exec_lo, exec_lo, s28
	s_mov_b32 s12, 0
	s_mov_b32 s29, exec_lo
                                        ; implicit-def: $sgpr28
	v_cmpx_lt_i16_e32 0x7f, v69
	s_xor_b32 s29, exec_lo, s29
	s_cbranch_execnz .LBB4_2079
; %bb.1635:                             ;   in Loop: Header=BB4_1589 Depth=2
	s_or_saveexec_b32 s29, s29
	v_mov_b32_e32 v70, s28
	s_xor_b32 exec_lo, exec_lo, s29
	s_cbranch_execnz .LBB4_2082
.LBB4_1636:                             ;   in Loop: Header=BB4_1589 Depth=2
	s_or_b32 exec_lo, exec_lo, s29
	s_and_saveexec_b32 s28, s12
	s_cbranch_execz .LBB4_1638
.LBB4_1637:                             ;   in Loop: Header=BB4_1589 Depth=2
	v_and_b32_e32 v69, 0xffff, v69
	v_lshlrev_b32_e32 v114, 16, v10
	s_delay_alu instid0(VALU_DEP_2) | instskip(NEXT) | instid1(VALU_DEP_1)
	v_and_b32_e32 v70, 7, v69
	v_clz_i32_u32_e32 v112, v70
	s_delay_alu instid0(VALU_DEP_1) | instskip(NEXT) | instid1(VALU_DEP_1)
	v_min_u32_e32 v112, 32, v112
	v_subrev_nc_u32_e32 v113, 28, v112
	v_sub_nc_u32_e32 v112, 29, v112
	s_delay_alu instid0(VALU_DEP_2) | instskip(SKIP_1) | instid1(VALU_DEP_2)
	v_lshlrev_b32_e32 v113, v113, v69
	v_bfe_u32 v69, v69, 3, 4
	v_and_b32_e32 v113, 7, v113
	s_delay_alu instid0(VALU_DEP_2) | instskip(NEXT) | instid1(VALU_DEP_2)
	v_cmp_eq_u32_e32 vcc_lo, 0, v69
	v_dual_cndmask_b32 v69, v69, v112 :: v_dual_cndmask_b32 v70, v70, v113
	v_and_b32_e32 v112, 0x80000000, v114
	s_delay_alu instid0(VALU_DEP_2) | instskip(NEXT) | instid1(VALU_DEP_3)
	v_lshl_add_u32 v69, v69, 23, 0x3b800000
	v_lshlrev_b32_e32 v70, 20, v70
	s_delay_alu instid0(VALU_DEP_1)
	v_or3_b32 v70, v112, v69, v70
.LBB4_1638:                             ;   in Loop: Header=BB4_1589 Depth=2
	s_or_b32 exec_lo, exec_lo, s28
	s_delay_alu instid0(VALU_DEP_1) | instskip(NEXT) | instid1(VALU_DEP_1)
	v_dual_max_f32 v69, v70, v70 :: v_dual_max_f32 v70, v71, v71
	v_min_f32_e32 v71, v70, v69
.LBB4_1639:                             ;   in Loop: Header=BB4_1589 Depth=2
	s_delay_alu instid0(VALU_DEP_1) | instskip(NEXT) | instid1(VALU_DEP_1)
	v_and_b32_e32 v69, 0x7f800000, v71
	v_cmp_ne_u32_e32 vcc_lo, 0x7f800000, v69
	v_mov_b32_e32 v69, 0x80
	s_and_saveexec_b32 s28, vcc_lo
	s_cbranch_execz .LBB4_1647
; %bb.1640:                             ;   in Loop: Header=BB4_1589 Depth=2
	v_mov_b32_e32 v69, 0
	s_mov_b32 s29, exec_lo
	v_cmpx_ne_u32_e32 0, v71
	s_cbranch_execz .LBB4_1646
; %bb.1641:                             ;   in Loop: Header=BB4_1589 Depth=2
	v_bfe_u32 v69, v71, 23, 8
	v_and_b32_e32 v70, 0x7fffff, v71
	s_delay_alu instid0(VALU_DEP_2) | instskip(SKIP_1) | instid1(VALU_DEP_3)
	v_sub_nc_u32_e32 v112, 0x78, v69
	v_cmp_gt_u32_e32 vcc_lo, 0x79, v69
	v_or_b32_e32 v113, 0x800000, v70
	s_delay_alu instid0(VALU_DEP_3) | instskip(SKIP_2) | instid1(VALU_DEP_3)
	v_cndmask_b32_e32 v112, 0, v112, vcc_lo
	v_cmp_eq_u32_e32 vcc_lo, 0, v69
	v_add_nc_u32_e32 v69, 0xffffff89, v69
	v_cndmask_b32_e64 v112, v112, 0x77, vcc_lo
	v_cndmask_b32_e32 v70, v113, v70, vcc_lo
	s_delay_alu instid0(VALU_DEP_3) | instskip(NEXT) | instid1(VALU_DEP_3)
	v_cndmask_b32_e64 v69, v69, 0xffffff8a, vcc_lo
	v_lshl_add_u32 v113, 0x100000, v112, -1
	s_delay_alu instid0(VALU_DEP_3) | instskip(SKIP_1) | instid1(VALU_DEP_4)
	v_lshrrev_b32_e32 v114, v112, v70
	v_lshlrev_b32_e64 v116, v112, 0x80000
	v_add_nc_u32_e32 v112, v112, v69
	s_delay_alu instid0(VALU_DEP_4) | instskip(NEXT) | instid1(VALU_DEP_4)
	v_and_b32_e32 v70, v113, v70
	v_bfe_u32 v115, v114, 20, 1
	s_delay_alu instid0(VALU_DEP_2) | instskip(NEXT) | instid1(VALU_DEP_2)
	v_cmp_eq_u32_e64 s12, v70, v116
	v_add_nc_u32_e32 v113, -1, v115
	s_delay_alu instid0(VALU_DEP_1) | instskip(SKIP_2) | instid1(VALU_DEP_2)
	v_cndmask_b32_e64 v70, 0, v113, s12
	v_lshrrev_b32_e32 v113, 23, v114
	s_mov_b32 s12, exec_lo
	v_add_nc_u32_e32 v70, v70, v114
	s_delay_alu instid0(VALU_DEP_2) | instskip(NEXT) | instid1(VALU_DEP_2)
	v_xor_b32_e32 v113, 1, v113
	v_and_b32_e32 v69, 0xfffff, v70
	s_delay_alu instid0(VALU_DEP_1) | instskip(NEXT) | instid1(VALU_DEP_3)
	v_add_nc_u32_e32 v70, v69, v114
                                        ; implicit-def: $vgpr69
	v_cmpx_ne_u32_e64 v112, v113
	s_xor_b32 s12, exec_lo, s12
; %bb.1642:                             ;   in Loop: Header=BB4_1589 Depth=2
	s_delay_alu instid0(VALU_DEP_2) | instskip(SKIP_2) | instid1(VALU_DEP_2)
	v_cmp_lt_u32_e32 vcc_lo, 0xffffff, v70
	v_sub_nc_u32_e32 v69, v112, v113
	v_cndmask_b32_e64 v112, 0, 1, vcc_lo
	v_add_co_ci_u32_e32 v69, vcc_lo, 0, v69, vcc_lo
	s_delay_alu instid0(VALU_DEP_2)
	v_lshrrev_b32_e32 v70, v112, v70
; %bb.1643:                             ;   in Loop: Header=BB4_1589 Depth=2
	s_and_not1_saveexec_b32 s12, s12
; %bb.1644:                             ;   in Loop: Header=BB4_1589 Depth=2
	s_delay_alu instid0(VALU_DEP_1)
	v_bfe_u32 v69, v70, 23, 1
; %bb.1645:                             ;   in Loop: Header=BB4_1589 Depth=2
	s_or_b32 exec_lo, exec_lo, s12
	v_lshrrev_b32_e32 v70, 20, v70
	s_delay_alu instid0(VALU_DEP_2) | instskip(SKIP_2) | instid1(VALU_DEP_2)
	v_cmp_gt_i32_e32 vcc_lo, 16, v69
	v_lshrrev_b32_e32 v71, 24, v71
	v_min_i32_e32 v112, 15, v69
	v_dual_cndmask_b32 v70, 7, v70 :: v_dual_and_b32 v71, 0x80, v71
	s_delay_alu instid0(VALU_DEP_1) | instskip(SKIP_1) | instid1(VALU_DEP_2)
	v_or_b32_e32 v69, v69, v70
	v_and_b32_e32 v113, 7, v70
	v_cmp_ne_u32_e32 vcc_lo, 0, v69
	v_lshlrev_b32_e32 v112, 3, v112
	s_delay_alu instid0(VALU_DEP_1) | instskip(NEXT) | instid1(VALU_DEP_1)
	v_or3_b32 v70, v112, v71, v113
	v_cndmask_b32_e32 v69, 0, v70, vcc_lo
.LBB4_1646:                             ;   in Loop: Header=BB4_1589 Depth=2
	s_or_b32 exec_lo, exec_lo, s29
.LBB4_1647:                             ;   in Loop: Header=BB4_1589 Depth=2
	s_delay_alu instid0(SALU_CYCLE_1) | instskip(SKIP_3) | instid1(VALU_DEP_2)
	s_or_b32 exec_lo, exec_lo, s28
	v_lshrrev_b32_e32 v71, 16, v14
	v_lshrrev_b32_e32 v70, 16, v10
	s_and_b32 vcc_lo, exec_lo, s27
	v_and_b32_e32 v112, 0xff, v71
	s_delay_alu instid0(VALU_DEP_1)
	v_cmp_lt_i16_e64 s12, 0x7f, v112
	s_cbranch_vccz .LBB4_1657
; %bb.1648:                             ;   in Loop: Header=BB4_1589 Depth=2
	s_mov_b32 s28, 0
                                        ; implicit-def: $sgpr29
	s_delay_alu instid0(VALU_DEP_1) | instskip(NEXT) | instid1(SALU_CYCLE_1)
	s_and_saveexec_b32 vcc_lo, s12
	s_xor_b32 s12, exec_lo, vcc_lo
	s_cbranch_execnz .LBB4_2083
; %bb.1649:                             ;   in Loop: Header=BB4_1589 Depth=2
	s_or_saveexec_b32 s12, s12
	v_mov_b32_e32 v113, s29
	s_xor_b32 exec_lo, exec_lo, s12
	s_cbranch_execnz .LBB4_2086
.LBB4_1650:                             ;   in Loop: Header=BB4_1589 Depth=2
	s_or_b32 exec_lo, exec_lo, s12
	s_and_saveexec_b32 s12, s28
	s_cbranch_execz .LBB4_1652
.LBB4_1651:                             ;   in Loop: Header=BB4_1589 Depth=2
	v_bfe_u32 v113, v14, 16, 3
	v_bfe_u32 v116, v14, 19, 4
	v_lshlrev_b32_e32 v117, 24, v71
	s_delay_alu instid0(VALU_DEP_3) | instskip(NEXT) | instid1(VALU_DEP_3)
	v_clz_i32_u32_e32 v114, v113
	v_cmp_eq_u32_e32 vcc_lo, 0, v116
	s_delay_alu instid0(VALU_DEP_2) | instskip(NEXT) | instid1(VALU_DEP_1)
	v_min_u32_e32 v114, 32, v114
	v_subrev_nc_u32_e32 v115, 28, v114
	v_sub_nc_u32_e32 v114, 29, v114
	s_delay_alu instid0(VALU_DEP_1) | instskip(NEXT) | instid1(VALU_DEP_1)
	v_dual_cndmask_b32 v114, v116, v114 :: v_dual_lshlrev_b32 v115, v115, v71
	v_and_b32_e32 v115, 7, v115
	s_delay_alu instid0(VALU_DEP_2) | instskip(NEXT) | instid1(VALU_DEP_2)
	v_lshl_add_u32 v114, v114, 23, 0x3b800000
	v_cndmask_b32_e32 v113, v113, v115, vcc_lo
	v_and_b32_e32 v115, 0x80000000, v117
	s_delay_alu instid0(VALU_DEP_2) | instskip(NEXT) | instid1(VALU_DEP_1)
	v_lshlrev_b32_e32 v113, 20, v113
	v_or3_b32 v113, v115, v114, v113
.LBB4_1652:                             ;   in Loop: Header=BB4_1589 Depth=2
	s_or_b32 exec_lo, exec_lo, s12
	v_and_b32_e32 v115, 0xff, v70
	s_mov_b32 s12, 0
	s_mov_b32 s29, exec_lo
                                        ; implicit-def: $sgpr28
	s_delay_alu instid0(VALU_DEP_1)
	v_cmpx_lt_i16_e32 0x7f, v115
	s_xor_b32 s29, exec_lo, s29
	s_cbranch_execnz .LBB4_2087
; %bb.1653:                             ;   in Loop: Header=BB4_1589 Depth=2
	s_or_saveexec_b32 s29, s29
	v_mov_b32_e32 v114, s28
	s_xor_b32 exec_lo, exec_lo, s29
	s_cbranch_execnz .LBB4_2090
.LBB4_1654:                             ;   in Loop: Header=BB4_1589 Depth=2
	s_or_b32 exec_lo, exec_lo, s29
	s_and_saveexec_b32 s28, s12
	s_cbranch_execz .LBB4_1656
.LBB4_1655:                             ;   in Loop: Header=BB4_1589 Depth=2
	v_bfe_u32 v114, v10, 16, 3
	v_bfe_u32 v117, v10, 19, 4
	v_lshlrev_b32_e32 v118, 24, v70
	s_delay_alu instid0(VALU_DEP_3) | instskip(NEXT) | instid1(VALU_DEP_3)
	v_clz_i32_u32_e32 v115, v114
	v_cmp_eq_u32_e32 vcc_lo, 0, v117
	s_delay_alu instid0(VALU_DEP_2) | instskip(NEXT) | instid1(VALU_DEP_1)
	v_min_u32_e32 v115, 32, v115
	v_subrev_nc_u32_e32 v116, 28, v115
	v_sub_nc_u32_e32 v115, 29, v115
	s_delay_alu instid0(VALU_DEP_1) | instskip(NEXT) | instid1(VALU_DEP_1)
	v_dual_cndmask_b32 v115, v117, v115 :: v_dual_lshlrev_b32 v116, v116, v70
	v_and_b32_e32 v116, 7, v116
	s_delay_alu instid0(VALU_DEP_2) | instskip(NEXT) | instid1(VALU_DEP_2)
	v_lshl_add_u32 v115, v115, 23, 0x3b800000
	v_cndmask_b32_e32 v114, v114, v116, vcc_lo
	v_and_b32_e32 v116, 0x80000000, v118
	s_delay_alu instid0(VALU_DEP_2) | instskip(NEXT) | instid1(VALU_DEP_1)
	v_lshlrev_b32_e32 v114, 20, v114
	v_or3_b32 v114, v116, v115, v114
.LBB4_1656:                             ;   in Loop: Header=BB4_1589 Depth=2
	s_or_b32 exec_lo, exec_lo, s28
	s_delay_alu instid0(VALU_DEP_1) | instskip(SKIP_1) | instid1(VALU_DEP_1)
	v_dual_max_f32 v114, v114, v114 :: v_dual_max_f32 v113, v113, v113
	s_mov_b32 s12, 0
	v_max_f32_e32 v113, v113, v114
	s_branch .LBB4_1658
.LBB4_1657:                             ;   in Loop: Header=BB4_1589 Depth=2
	s_mov_b32 s12, -1
                                        ; implicit-def: $vgpr113
.LBB4_1658:                             ;   in Loop: Header=BB4_1589 Depth=2
	s_delay_alu instid0(SALU_CYCLE_1)
	s_and_b32 vcc_lo, exec_lo, s12
	s_cbranch_vccz .LBB4_1668
; %bb.1659:                             ;   in Loop: Header=BB4_1589 Depth=2
	s_mov_b32 s12, 0
	s_mov_b32 s29, exec_lo
                                        ; implicit-def: $sgpr28
	v_cmpx_lt_i16_e32 0x7f, v112
	s_xor_b32 s29, exec_lo, s29
	s_cbranch_execnz .LBB4_2091
; %bb.1660:                             ;   in Loop: Header=BB4_1589 Depth=2
	s_or_saveexec_b32 s29, s29
	v_mov_b32_e32 v113, s28
	s_xor_b32 exec_lo, exec_lo, s29
	s_cbranch_execnz .LBB4_2094
.LBB4_1661:                             ;   in Loop: Header=BB4_1589 Depth=2
	s_or_b32 exec_lo, exec_lo, s29
	s_and_saveexec_b32 s28, s12
	s_cbranch_execz .LBB4_1663
.LBB4_1662:                             ;   in Loop: Header=BB4_1589 Depth=2
	v_bfe_u32 v112, v14, 16, 3
	v_bfe_u32 v115, v14, 19, 4
	s_delay_alu instid0(VALU_DEP_2) | instskip(NEXT) | instid1(VALU_DEP_2)
	v_clz_i32_u32_e32 v113, v112
	v_cmp_eq_u32_e32 vcc_lo, 0, v115
	s_delay_alu instid0(VALU_DEP_2) | instskip(NEXT) | instid1(VALU_DEP_1)
	v_min_u32_e32 v113, 32, v113
	v_subrev_nc_u32_e32 v114, 28, v113
	v_sub_nc_u32_e32 v113, 29, v113
	s_delay_alu instid0(VALU_DEP_1) | instskip(NEXT) | instid1(VALU_DEP_1)
	v_dual_cndmask_b32 v113, v115, v113 :: v_dual_lshlrev_b32 v114, v114, v71
	v_and_b32_e32 v114, 7, v114
	v_lshlrev_b32_e32 v71, 24, v71
	s_delay_alu instid0(VALU_DEP_3) | instskip(NEXT) | instid1(VALU_DEP_2)
	v_lshl_add_u32 v113, v113, 23, 0x3b800000
	v_dual_cndmask_b32 v112, v112, v114 :: v_dual_and_b32 v71, 0x80000000, v71
	s_delay_alu instid0(VALU_DEP_1) | instskip(NEXT) | instid1(VALU_DEP_1)
	v_lshlrev_b32_e32 v112, 20, v112
	v_or3_b32 v113, v71, v113, v112
.LBB4_1663:                             ;   in Loop: Header=BB4_1589 Depth=2
	s_or_b32 exec_lo, exec_lo, s28
	v_and_b32_e32 v112, 0xff, v70
	s_mov_b32 s12, 0
	s_mov_b32 s29, exec_lo
                                        ; implicit-def: $sgpr28
	s_delay_alu instid0(VALU_DEP_1)
	v_cmpx_lt_i16_e32 0x7f, v112
	s_xor_b32 s29, exec_lo, s29
	s_cbranch_execnz .LBB4_2095
; %bb.1664:                             ;   in Loop: Header=BB4_1589 Depth=2
	s_or_saveexec_b32 s29, s29
	v_mov_b32_e32 v71, s28
	s_xor_b32 exec_lo, exec_lo, s29
	s_cbranch_execnz .LBB4_2098
.LBB4_1665:                             ;   in Loop: Header=BB4_1589 Depth=2
	s_or_b32 exec_lo, exec_lo, s29
	s_and_saveexec_b32 s28, s12
	s_cbranch_execz .LBB4_1667
.LBB4_1666:                             ;   in Loop: Header=BB4_1589 Depth=2
	v_bfe_u32 v71, v10, 16, 3
	v_bfe_u32 v115, v10, 19, 4
	s_delay_alu instid0(VALU_DEP_2) | instskip(NEXT) | instid1(VALU_DEP_2)
	v_clz_i32_u32_e32 v112, v71
	v_cmp_eq_u32_e32 vcc_lo, 0, v115
	s_delay_alu instid0(VALU_DEP_2) | instskip(NEXT) | instid1(VALU_DEP_1)
	v_min_u32_e32 v112, 32, v112
	v_subrev_nc_u32_e32 v114, 28, v112
	v_sub_nc_u32_e32 v112, 29, v112
	s_delay_alu instid0(VALU_DEP_2) | instskip(SKIP_1) | instid1(VALU_DEP_2)
	v_lshlrev_b32_e32 v114, v114, v70
	v_lshlrev_b32_e32 v70, 24, v70
	v_and_b32_e32 v114, 7, v114
	s_delay_alu instid0(VALU_DEP_2) | instskip(NEXT) | instid1(VALU_DEP_2)
	v_and_b32_e32 v70, 0x80000000, v70
	v_cndmask_b32_e32 v71, v71, v114, vcc_lo
	s_delay_alu instid0(VALU_DEP_1) | instskip(NEXT) | instid1(VALU_DEP_1)
	v_dual_cndmask_b32 v112, v115, v112 :: v_dual_lshlrev_b32 v71, 20, v71
	v_lshl_add_u32 v112, v112, 23, 0x3b800000
	s_delay_alu instid0(VALU_DEP_1)
	v_or3_b32 v71, v70, v112, v71
.LBB4_1667:                             ;   in Loop: Header=BB4_1589 Depth=2
	s_or_b32 exec_lo, exec_lo, s28
	s_delay_alu instid0(VALU_DEP_1) | instskip(NEXT) | instid1(VALU_DEP_1)
	v_dual_max_f32 v70, v71, v71 :: v_dual_max_f32 v71, v113, v113
	v_min_f32_e32 v113, v71, v70
.LBB4_1668:                             ;   in Loop: Header=BB4_1589 Depth=2
	s_delay_alu instid0(VALU_DEP_1) | instskip(NEXT) | instid1(VALU_DEP_1)
	v_and_b32_e32 v70, 0x7f800000, v113
	v_cmp_ne_u32_e32 vcc_lo, 0x7f800000, v70
	v_mov_b32_e32 v70, 0x80
	s_and_saveexec_b32 s28, vcc_lo
	s_cbranch_execz .LBB4_1676
; %bb.1669:                             ;   in Loop: Header=BB4_1589 Depth=2
	v_mov_b32_e32 v70, 0
	s_mov_b32 s29, exec_lo
	v_cmpx_ne_u32_e32 0, v113
	s_cbranch_execz .LBB4_1675
; %bb.1670:                             ;   in Loop: Header=BB4_1589 Depth=2
	v_bfe_u32 v70, v113, 23, 8
	s_delay_alu instid0(VALU_DEP_1) | instskip(SKIP_1) | instid1(VALU_DEP_2)
	v_sub_nc_u32_e32 v112, 0x78, v70
	v_cmp_gt_u32_e32 vcc_lo, 0x79, v70
	v_dual_cndmask_b32 v112, 0, v112 :: v_dual_and_b32 v71, 0x7fffff, v113
	s_delay_alu instid0(VALU_DEP_1) | instskip(SKIP_2) | instid1(VALU_DEP_4)
	v_or_b32_e32 v114, 0x800000, v71
	v_cmp_eq_u32_e32 vcc_lo, 0, v70
	v_add_nc_u32_e32 v70, 0xffffff89, v70
	v_cndmask_b32_e64 v112, v112, 0x77, vcc_lo
	s_delay_alu instid0(VALU_DEP_4) | instskip(NEXT) | instid1(VALU_DEP_3)
	v_cndmask_b32_e32 v71, v114, v71, vcc_lo
	v_cndmask_b32_e64 v70, v70, 0xffffff8a, vcc_lo
	s_delay_alu instid0(VALU_DEP_3) | instskip(NEXT) | instid1(VALU_DEP_3)
	v_lshl_add_u32 v114, 0x100000, v112, -1
	v_lshrrev_b32_e32 v115, v112, v71
	v_lshlrev_b32_e64 v117, v112, 0x80000
	s_delay_alu instid0(VALU_DEP_4) | instskip(NEXT) | instid1(VALU_DEP_4)
	v_add_nc_u32_e32 v112, v112, v70
	v_and_b32_e32 v71, v114, v71
	s_delay_alu instid0(VALU_DEP_4) | instskip(NEXT) | instid1(VALU_DEP_2)
	v_bfe_u32 v116, v115, 20, 1
	v_cmp_eq_u32_e64 s12, v71, v117
	s_delay_alu instid0(VALU_DEP_2) | instskip(NEXT) | instid1(VALU_DEP_1)
	v_add_nc_u32_e32 v114, -1, v116
	v_cndmask_b32_e64 v71, 0, v114, s12
	v_lshrrev_b32_e32 v114, 23, v115
	s_mov_b32 s12, exec_lo
	s_delay_alu instid0(VALU_DEP_2) | instskip(NEXT) | instid1(VALU_DEP_2)
	v_add_nc_u32_e32 v71, v71, v115
	v_xor_b32_e32 v114, 1, v114
	s_delay_alu instid0(VALU_DEP_2) | instskip(NEXT) | instid1(VALU_DEP_1)
	v_and_b32_e32 v70, 0xfffff, v71
	v_add_nc_u32_e32 v71, v70, v115
                                        ; implicit-def: $vgpr70
	s_delay_alu instid0(VALU_DEP_3)
	v_cmpx_ne_u32_e64 v112, v114
	s_xor_b32 s12, exec_lo, s12
; %bb.1671:                             ;   in Loop: Header=BB4_1589 Depth=2
	s_delay_alu instid0(VALU_DEP_2) | instskip(SKIP_2) | instid1(VALU_DEP_2)
	v_cmp_lt_u32_e32 vcc_lo, 0xffffff, v71
	v_sub_nc_u32_e32 v70, v112, v114
	v_cndmask_b32_e64 v112, 0, 1, vcc_lo
	v_add_co_ci_u32_e32 v70, vcc_lo, 0, v70, vcc_lo
	s_delay_alu instid0(VALU_DEP_2)
	v_lshrrev_b32_e32 v71, v112, v71
; %bb.1672:                             ;   in Loop: Header=BB4_1589 Depth=2
	s_and_not1_saveexec_b32 s12, s12
; %bb.1673:                             ;   in Loop: Header=BB4_1589 Depth=2
	s_delay_alu instid0(VALU_DEP_1)
	v_bfe_u32 v70, v71, 23, 1
; %bb.1674:                             ;   in Loop: Header=BB4_1589 Depth=2
	s_or_b32 exec_lo, exec_lo, s12
	v_lshrrev_b32_e32 v71, 20, v71
	s_delay_alu instid0(VALU_DEP_2) | instskip(SKIP_2) | instid1(VALU_DEP_2)
	v_cmp_gt_i32_e32 vcc_lo, 16, v70
	v_lshrrev_b32_e32 v112, 24, v113
	v_min_i32_e32 v113, 15, v70
	v_dual_cndmask_b32 v71, 7, v71 :: v_dual_and_b32 v112, 0x80, v112
	s_delay_alu instid0(VALU_DEP_1) | instskip(SKIP_1) | instid1(VALU_DEP_2)
	v_or_b32_e32 v70, v70, v71
	v_and_b32_e32 v114, 7, v71
	v_cmp_ne_u32_e32 vcc_lo, 0, v70
	v_lshlrev_b32_e32 v113, 3, v113
	s_delay_alu instid0(VALU_DEP_1) | instskip(NEXT) | instid1(VALU_DEP_1)
	v_or3_b32 v71, v113, v112, v114
	v_cndmask_b32_e32 v70, 0, v71, vcc_lo
.LBB4_1675:                             ;   in Loop: Header=BB4_1589 Depth=2
	s_or_b32 exec_lo, exec_lo, s29
.LBB4_1676:                             ;   in Loop: Header=BB4_1589 Depth=2
	s_delay_alu instid0(SALU_CYCLE_1) | instskip(SKIP_3) | instid1(VALU_DEP_2)
	s_or_b32 exec_lo, exec_lo, s28
	v_lshrrev_b32_e32 v112, 24, v14
	v_lshrrev_b32_e32 v71, 24, v10
	s_and_b32 vcc_lo, exec_lo, s27
	v_cmp_lt_i16_e64 s12, 0x7f, v112
	s_cbranch_vccz .LBB4_1686
; %bb.1677:                             ;   in Loop: Header=BB4_1589 Depth=2
	s_mov_b32 s28, 0
                                        ; implicit-def: $sgpr29
	s_delay_alu instid0(VALU_DEP_1) | instskip(NEXT) | instid1(SALU_CYCLE_1)
	s_and_saveexec_b32 vcc_lo, s12
	s_xor_b32 s12, exec_lo, vcc_lo
	s_cbranch_execnz .LBB4_2099
; %bb.1678:                             ;   in Loop: Header=BB4_1589 Depth=2
	s_or_saveexec_b32 s12, s12
	v_mov_b32_e32 v113, s29
	s_xor_b32 exec_lo, exec_lo, s12
	s_cbranch_execnz .LBB4_2102
.LBB4_1679:                             ;   in Loop: Header=BB4_1589 Depth=2
	s_or_b32 exec_lo, exec_lo, s12
	s_and_saveexec_b32 s12, s28
	s_cbranch_execz .LBB4_1681
.LBB4_1680:                             ;   in Loop: Header=BB4_1589 Depth=2
	v_bfe_u32 v113, v14, 24, 3
	v_bfe_u32 v116, v14, 27, 4
	s_delay_alu instid0(VALU_DEP_2) | instskip(NEXT) | instid1(VALU_DEP_2)
	v_clz_i32_u32_e32 v114, v113
	v_cmp_eq_u32_e32 vcc_lo, 0, v116
	s_delay_alu instid0(VALU_DEP_2) | instskip(NEXT) | instid1(VALU_DEP_1)
	v_min_u32_e32 v114, 32, v114
	v_subrev_nc_u32_e32 v115, 28, v114
	v_sub_nc_u32_e32 v114, 29, v114
	s_delay_alu instid0(VALU_DEP_1) | instskip(NEXT) | instid1(VALU_DEP_1)
	v_dual_cndmask_b32 v114, v116, v114 :: v_dual_lshlrev_b32 v115, v115, v112
	v_and_b32_e32 v115, 7, v115
	s_delay_alu instid0(VALU_DEP_2) | instskip(NEXT) | instid1(VALU_DEP_2)
	v_lshl_add_u32 v114, v114, 23, 0x3b800000
	v_cndmask_b32_e32 v113, v113, v115, vcc_lo
	v_and_b32_e32 v115, 0x80000000, v14
	s_delay_alu instid0(VALU_DEP_2) | instskip(NEXT) | instid1(VALU_DEP_1)
	v_lshlrev_b32_e32 v113, 20, v113
	v_or3_b32 v113, v115, v114, v113
.LBB4_1681:                             ;   in Loop: Header=BB4_1589 Depth=2
	s_or_b32 exec_lo, exec_lo, s12
	s_mov_b32 s12, 0
	s_mov_b32 s29, exec_lo
                                        ; implicit-def: $sgpr28
	v_cmpx_lt_i16_e32 0x7f, v71
	s_xor_b32 s29, exec_lo, s29
	s_cbranch_execnz .LBB4_2103
; %bb.1682:                             ;   in Loop: Header=BB4_1589 Depth=2
	s_or_saveexec_b32 s29, s29
	v_mov_b32_e32 v114, s28
	s_xor_b32 exec_lo, exec_lo, s29
	s_cbranch_execnz .LBB4_2106
.LBB4_1683:                             ;   in Loop: Header=BB4_1589 Depth=2
	s_or_b32 exec_lo, exec_lo, s29
	s_and_saveexec_b32 s28, s12
	s_cbranch_execz .LBB4_1685
.LBB4_1684:                             ;   in Loop: Header=BB4_1589 Depth=2
	v_bfe_u32 v114, v10, 24, 3
	v_bfe_u32 v117, v10, 27, 4
	s_delay_alu instid0(VALU_DEP_2) | instskip(NEXT) | instid1(VALU_DEP_2)
	v_clz_i32_u32_e32 v115, v114
	v_cmp_eq_u32_e32 vcc_lo, 0, v117
	s_delay_alu instid0(VALU_DEP_2) | instskip(NEXT) | instid1(VALU_DEP_1)
	v_min_u32_e32 v115, 32, v115
	v_subrev_nc_u32_e32 v116, 28, v115
	v_sub_nc_u32_e32 v115, 29, v115
	s_delay_alu instid0(VALU_DEP_2) | instskip(NEXT) | instid1(VALU_DEP_1)
	v_lshlrev_b32_e32 v116, v116, v71
	v_dual_cndmask_b32 v115, v117, v115 :: v_dual_and_b32 v116, 7, v116
	s_delay_alu instid0(VALU_DEP_1) | instskip(NEXT) | instid1(VALU_DEP_2)
	v_lshl_add_u32 v115, v115, 23, 0x3b800000
	v_cndmask_b32_e32 v114, v114, v116, vcc_lo
	v_and_b32_e32 v116, 0x80000000, v10
	s_delay_alu instid0(VALU_DEP_2) | instskip(NEXT) | instid1(VALU_DEP_1)
	v_lshlrev_b32_e32 v114, 20, v114
	v_or3_b32 v114, v116, v115, v114
.LBB4_1685:                             ;   in Loop: Header=BB4_1589 Depth=2
	s_or_b32 exec_lo, exec_lo, s28
	s_delay_alu instid0(VALU_DEP_1) | instskip(SKIP_1) | instid1(VALU_DEP_1)
	v_dual_max_f32 v114, v114, v114 :: v_dual_max_f32 v113, v113, v113
	s_mov_b32 s12, 0
	v_max_f32_e32 v113, v113, v114
	s_branch .LBB4_1687
.LBB4_1686:                             ;   in Loop: Header=BB4_1589 Depth=2
	s_mov_b32 s12, -1
                                        ; implicit-def: $vgpr113
.LBB4_1687:                             ;   in Loop: Header=BB4_1589 Depth=2
	s_delay_alu instid0(SALU_CYCLE_1)
	s_and_b32 vcc_lo, exec_lo, s12
	s_cbranch_vccz .LBB4_1697
; %bb.1688:                             ;   in Loop: Header=BB4_1589 Depth=2
	s_mov_b32 s12, 0
	s_mov_b32 s29, exec_lo
                                        ; implicit-def: $sgpr28
	v_cmpx_lt_i16_e32 0x7f, v112
	s_xor_b32 s29, exec_lo, s29
	s_cbranch_execnz .LBB4_2107
; %bb.1689:                             ;   in Loop: Header=BB4_1589 Depth=2
	s_or_saveexec_b32 s29, s29
	v_mov_b32_e32 v113, s28
	s_xor_b32 exec_lo, exec_lo, s29
	s_cbranch_execnz .LBB4_2110
.LBB4_1690:                             ;   in Loop: Header=BB4_1589 Depth=2
	s_or_b32 exec_lo, exec_lo, s29
	s_and_saveexec_b32 s28, s12
	s_cbranch_execz .LBB4_1692
.LBB4_1691:                             ;   in Loop: Header=BB4_1589 Depth=2
	v_bfe_u32 v113, v14, 24, 3
	s_delay_alu instid0(VALU_DEP_1) | instskip(NEXT) | instid1(VALU_DEP_1)
	v_clz_i32_u32_e32 v114, v113
	v_min_u32_e32 v114, 32, v114
	s_delay_alu instid0(VALU_DEP_1) | instskip(SKIP_1) | instid1(VALU_DEP_2)
	v_subrev_nc_u32_e32 v115, 28, v114
	v_sub_nc_u32_e32 v114, 29, v114
	v_lshlrev_b32_e32 v112, v115, v112
	v_bfe_u32 v115, v14, 27, 4
	v_and_b32_e32 v14, 0x80000000, v14
	s_delay_alu instid0(VALU_DEP_3) | instskip(NEXT) | instid1(VALU_DEP_3)
	v_and_b32_e32 v112, 7, v112
	v_cmp_eq_u32_e32 vcc_lo, 0, v115
	v_cndmask_b32_e32 v114, v115, v114, vcc_lo
	s_delay_alu instid0(VALU_DEP_3) | instskip(NEXT) | instid1(VALU_DEP_2)
	v_cndmask_b32_e32 v112, v113, v112, vcc_lo
	v_lshl_add_u32 v113, v114, 23, 0x3b800000
	s_delay_alu instid0(VALU_DEP_2) | instskip(NEXT) | instid1(VALU_DEP_1)
	v_lshlrev_b32_e32 v112, 20, v112
	v_or3_b32 v113, v14, v113, v112
.LBB4_1692:                             ;   in Loop: Header=BB4_1589 Depth=2
	s_or_b32 exec_lo, exec_lo, s28
	s_mov_b32 s12, 0
	s_mov_b32 s29, exec_lo
                                        ; implicit-def: $sgpr28
	v_cmpx_lt_i16_e32 0x7f, v71
	s_xor_b32 s29, exec_lo, s29
	s_cbranch_execnz .LBB4_2111
; %bb.1693:                             ;   in Loop: Header=BB4_1589 Depth=2
	s_or_saveexec_b32 s29, s29
	v_mov_b32_e32 v14, s28
	s_xor_b32 exec_lo, exec_lo, s29
	s_cbranch_execnz .LBB4_2114
.LBB4_1694:                             ;   in Loop: Header=BB4_1589 Depth=2
	s_or_b32 exec_lo, exec_lo, s29
	s_and_saveexec_b32 s28, s12
	s_cbranch_execz .LBB4_1696
.LBB4_1695:                             ;   in Loop: Header=BB4_1589 Depth=2
	v_bfe_u32 v14, v10, 24, 3
	s_delay_alu instid0(VALU_DEP_1) | instskip(NEXT) | instid1(VALU_DEP_1)
	v_clz_i32_u32_e32 v112, v14
	v_min_u32_e32 v112, 32, v112
	s_delay_alu instid0(VALU_DEP_1) | instskip(SKIP_1) | instid1(VALU_DEP_2)
	v_subrev_nc_u32_e32 v114, 28, v112
	v_sub_nc_u32_e32 v112, 29, v112
	v_lshlrev_b32_e32 v71, v114, v71
	v_bfe_u32 v114, v10, 27, 4
	v_and_b32_e32 v10, 0x80000000, v10
	s_delay_alu instid0(VALU_DEP_2) | instskip(NEXT) | instid1(VALU_DEP_4)
	v_cmp_eq_u32_e32 vcc_lo, 0, v114
	v_dual_cndmask_b32 v112, v114, v112 :: v_dual_and_b32 v71, 7, v71
	s_delay_alu instid0(VALU_DEP_1) | instskip(NEXT) | instid1(VALU_DEP_2)
	v_cndmask_b32_e32 v14, v14, v71, vcc_lo
	v_lshl_add_u32 v71, v112, 23, 0x3b800000
	s_delay_alu instid0(VALU_DEP_2) | instskip(NEXT) | instid1(VALU_DEP_1)
	v_lshlrev_b32_e32 v14, 20, v14
	v_or3_b32 v14, v10, v71, v14
.LBB4_1696:                             ;   in Loop: Header=BB4_1589 Depth=2
	s_or_b32 exec_lo, exec_lo, s28
	s_delay_alu instid0(VALU_DEP_1) | instskip(SKIP_1) | instid1(VALU_DEP_1)
	v_max_f32_e32 v10, v14, v14
	v_max_f32_e32 v14, v113, v113
	v_min_f32_e32 v113, v14, v10
.LBB4_1697:                             ;   in Loop: Header=BB4_1589 Depth=2
	s_delay_alu instid0(VALU_DEP_1) | instskip(NEXT) | instid1(VALU_DEP_1)
	v_and_b32_e32 v10, 0x7f800000, v113
	v_cmp_ne_u32_e32 vcc_lo, 0x7f800000, v10
	v_mov_b32_e32 v10, 0x80
	s_and_saveexec_b32 s28, vcc_lo
	s_cbranch_execz .LBB4_1705
; %bb.1698:                             ;   in Loop: Header=BB4_1589 Depth=2
	v_mov_b32_e32 v10, 0
	s_mov_b32 s29, exec_lo
	v_cmpx_ne_u32_e32 0, v113
	s_cbranch_execz .LBB4_1704
; %bb.1699:                             ;   in Loop: Header=BB4_1589 Depth=2
	v_bfe_u32 v10, v113, 23, 8
	s_delay_alu instid0(VALU_DEP_1) | instskip(SKIP_1) | instid1(VALU_DEP_2)
	v_sub_nc_u32_e32 v71, 0x78, v10
	v_cmp_gt_u32_e32 vcc_lo, 0x79, v10
	v_dual_cndmask_b32 v71, 0, v71 :: v_dual_and_b32 v14, 0x7fffff, v113
	s_delay_alu instid0(VALU_DEP_1) | instskip(SKIP_2) | instid1(VALU_DEP_4)
	v_or_b32_e32 v112, 0x800000, v14
	v_cmp_eq_u32_e32 vcc_lo, 0, v10
	v_add_nc_u32_e32 v10, 0xffffff89, v10
	v_cndmask_b32_e64 v71, v71, 0x77, vcc_lo
	s_delay_alu instid0(VALU_DEP_4) | instskip(NEXT) | instid1(VALU_DEP_3)
	v_cndmask_b32_e32 v14, v112, v14, vcc_lo
	v_cndmask_b32_e64 v10, v10, 0xffffff8a, vcc_lo
	s_delay_alu instid0(VALU_DEP_3) | instskip(NEXT) | instid1(VALU_DEP_3)
	v_lshl_add_u32 v112, 0x100000, v71, -1
	v_lshrrev_b32_e32 v114, v71, v14
	v_lshlrev_b32_e64 v116, v71, 0x80000
	s_delay_alu instid0(VALU_DEP_4) | instskip(NEXT) | instid1(VALU_DEP_4)
	v_add_nc_u32_e32 v71, v71, v10
	v_and_b32_e32 v14, v112, v14
	s_delay_alu instid0(VALU_DEP_4) | instskip(NEXT) | instid1(VALU_DEP_2)
	v_bfe_u32 v115, v114, 20, 1
	v_cmp_eq_u32_e64 s12, v14, v116
	s_delay_alu instid0(VALU_DEP_2) | instskip(NEXT) | instid1(VALU_DEP_1)
	v_add_nc_u32_e32 v112, -1, v115
	v_cndmask_b32_e64 v14, 0, v112, s12
	v_lshrrev_b32_e32 v112, 23, v114
	s_mov_b32 s12, exec_lo
	s_delay_alu instid0(VALU_DEP_2) | instskip(NEXT) | instid1(VALU_DEP_2)
	v_add_nc_u32_e32 v14, v14, v114
	v_xor_b32_e32 v112, 1, v112
	s_delay_alu instid0(VALU_DEP_2) | instskip(NEXT) | instid1(VALU_DEP_1)
	v_and_b32_e32 v10, 0xfffff, v14
	v_add_nc_u32_e32 v14, v10, v114
                                        ; implicit-def: $vgpr10
	s_delay_alu instid0(VALU_DEP_3)
	v_cmpx_ne_u32_e64 v71, v112
	s_xor_b32 s12, exec_lo, s12
; %bb.1700:                             ;   in Loop: Header=BB4_1589 Depth=2
	s_delay_alu instid0(VALU_DEP_2) | instskip(SKIP_2) | instid1(VALU_DEP_2)
	v_cmp_lt_u32_e32 vcc_lo, 0xffffff, v14
	v_sub_nc_u32_e32 v10, v71, v112
	v_cndmask_b32_e64 v71, 0, 1, vcc_lo
	v_add_co_ci_u32_e32 v10, vcc_lo, 0, v10, vcc_lo
	s_delay_alu instid0(VALU_DEP_2)
	v_lshrrev_b32_e32 v14, v71, v14
; %bb.1701:                             ;   in Loop: Header=BB4_1589 Depth=2
	s_and_not1_saveexec_b32 s12, s12
; %bb.1702:                             ;   in Loop: Header=BB4_1589 Depth=2
	s_delay_alu instid0(VALU_DEP_1)
	v_bfe_u32 v10, v14, 23, 1
; %bb.1703:                             ;   in Loop: Header=BB4_1589 Depth=2
	s_or_b32 exec_lo, exec_lo, s12
	v_lshrrev_b32_e32 v14, 20, v14
	s_delay_alu instid0(VALU_DEP_2) | instskip(SKIP_2) | instid1(VALU_DEP_2)
	v_cmp_gt_i32_e32 vcc_lo, 16, v10
	v_lshrrev_b32_e32 v71, 24, v113
	v_min_i32_e32 v112, 15, v10
	v_dual_cndmask_b32 v14, 7, v14 :: v_dual_and_b32 v71, 0x80, v71
	s_delay_alu instid0(VALU_DEP_2) | instskip(NEXT) | instid1(VALU_DEP_2)
	v_lshlrev_b32_e32 v112, 3, v112
	v_and_b32_e32 v113, 7, v14
	v_or_b32_e32 v10, v10, v14
	s_delay_alu instid0(VALU_DEP_2) | instskip(NEXT) | instid1(VALU_DEP_2)
	v_or3_b32 v14, v112, v71, v113
	v_cmp_ne_u32_e32 vcc_lo, 0, v10
	s_delay_alu instid0(VALU_DEP_2)
	v_cndmask_b32_e32 v10, 0, v14, vcc_lo
.LBB4_1704:                             ;   in Loop: Header=BB4_1589 Depth=2
	s_or_b32 exec_lo, exec_lo, s29
.LBB4_1705:                             ;   in Loop: Header=BB4_1589 Depth=2
	s_delay_alu instid0(SALU_CYCLE_1) | instskip(SKIP_2) | instid1(VALU_DEP_1)
	s_or_b32 exec_lo, exec_lo, s28
	v_and_b32_e32 v14, 0xff, v15
	s_and_b32 vcc_lo, exec_lo, s27
	v_cmp_lt_i16_e64 s12, 0x7f, v14
	s_cbranch_vccz .LBB4_1715
; %bb.1706:                             ;   in Loop: Header=BB4_1589 Depth=2
	s_mov_b32 s28, 0
                                        ; implicit-def: $sgpr29
	s_delay_alu instid0(VALU_DEP_1) | instskip(NEXT) | instid1(SALU_CYCLE_1)
	s_and_saveexec_b32 vcc_lo, s12
	s_xor_b32 s12, exec_lo, vcc_lo
	s_cbranch_execnz .LBB4_2115
; %bb.1707:                             ;   in Loop: Header=BB4_1589 Depth=2
	s_or_saveexec_b32 s12, s12
	v_mov_b32_e32 v71, s29
	s_xor_b32 exec_lo, exec_lo, s12
	s_cbranch_execnz .LBB4_2118
.LBB4_1708:                             ;   in Loop: Header=BB4_1589 Depth=2
	s_or_b32 exec_lo, exec_lo, s12
	s_and_saveexec_b32 s12, s28
	s_cbranch_execz .LBB4_1710
.LBB4_1709:                             ;   in Loop: Header=BB4_1589 Depth=2
	v_bfe_u32 v114, v15, 3, 4
	v_lshlrev_b32_e32 v115, 24, v15
	s_delay_alu instid0(VALU_DEP_2) | instskip(SKIP_1) | instid1(VALU_DEP_1)
	v_cmp_eq_u32_e32 vcc_lo, 0, v114
	v_and_b32_e32 v71, 7, v15
	v_clz_i32_u32_e32 v112, v71
	s_delay_alu instid0(VALU_DEP_1) | instskip(NEXT) | instid1(VALU_DEP_1)
	v_min_u32_e32 v112, 32, v112
	v_subrev_nc_u32_e32 v113, 28, v112
	v_sub_nc_u32_e32 v112, 29, v112
	s_delay_alu instid0(VALU_DEP_1) | instskip(NEXT) | instid1(VALU_DEP_1)
	v_dual_cndmask_b32 v112, v114, v112 :: v_dual_lshlrev_b32 v113, v113, v15
	v_and_b32_e32 v113, 7, v113
	s_delay_alu instid0(VALU_DEP_2) | instskip(NEXT) | instid1(VALU_DEP_2)
	v_lshl_add_u32 v112, v112, 23, 0x3b800000
	v_cndmask_b32_e32 v71, v71, v113, vcc_lo
	v_and_b32_e32 v113, 0x80000000, v115
	s_delay_alu instid0(VALU_DEP_2) | instskip(NEXT) | instid1(VALU_DEP_1)
	v_lshlrev_b32_e32 v71, 20, v71
	v_or3_b32 v71, v113, v112, v71
.LBB4_1710:                             ;   in Loop: Header=BB4_1589 Depth=2
	s_or_b32 exec_lo, exec_lo, s12
	v_and_b32_e32 v113, 0xff, v11
	s_mov_b32 s12, 0
	s_mov_b32 s29, exec_lo
                                        ; implicit-def: $sgpr28
	s_delay_alu instid0(VALU_DEP_1)
	v_cmpx_lt_i16_e32 0x7f, v113
	s_xor_b32 s29, exec_lo, s29
	s_cbranch_execnz .LBB4_2119
; %bb.1711:                             ;   in Loop: Header=BB4_1589 Depth=2
	s_or_saveexec_b32 s29, s29
	v_mov_b32_e32 v112, s28
	s_xor_b32 exec_lo, exec_lo, s29
	s_cbranch_execnz .LBB4_2122
.LBB4_1712:                             ;   in Loop: Header=BB4_1589 Depth=2
	s_or_b32 exec_lo, exec_lo, s29
	s_and_saveexec_b32 s28, s12
	s_cbranch_execz .LBB4_1714
.LBB4_1713:                             ;   in Loop: Header=BB4_1589 Depth=2
	v_bfe_u32 v115, v11, 3, 4
	v_lshlrev_b32_e32 v116, 24, v11
	s_delay_alu instid0(VALU_DEP_2) | instskip(SKIP_1) | instid1(VALU_DEP_1)
	v_cmp_eq_u32_e32 vcc_lo, 0, v115
	v_and_b32_e32 v112, 7, v11
	v_clz_i32_u32_e32 v113, v112
	s_delay_alu instid0(VALU_DEP_1) | instskip(NEXT) | instid1(VALU_DEP_1)
	v_min_u32_e32 v113, 32, v113
	v_subrev_nc_u32_e32 v114, 28, v113
	v_sub_nc_u32_e32 v113, 29, v113
	s_delay_alu instid0(VALU_DEP_1) | instskip(NEXT) | instid1(VALU_DEP_1)
	v_dual_cndmask_b32 v113, v115, v113 :: v_dual_lshlrev_b32 v114, v114, v11
	v_and_b32_e32 v114, 7, v114
	s_delay_alu instid0(VALU_DEP_2) | instskip(NEXT) | instid1(VALU_DEP_2)
	v_lshl_add_u32 v113, v113, 23, 0x3b800000
	v_cndmask_b32_e32 v112, v112, v114, vcc_lo
	v_and_b32_e32 v114, 0x80000000, v116
	s_delay_alu instid0(VALU_DEP_2) | instskip(NEXT) | instid1(VALU_DEP_1)
	v_lshlrev_b32_e32 v112, 20, v112
	v_or3_b32 v112, v114, v113, v112
.LBB4_1714:                             ;   in Loop: Header=BB4_1589 Depth=2
	s_or_b32 exec_lo, exec_lo, s28
	s_delay_alu instid0(VALU_DEP_1) | instskip(SKIP_1) | instid1(VALU_DEP_1)
	v_dual_max_f32 v112, v112, v112 :: v_dual_max_f32 v71, v71, v71
	s_mov_b32 s12, 0
	v_max_f32_e32 v71, v71, v112
	s_branch .LBB4_1716
.LBB4_1715:                             ;   in Loop: Header=BB4_1589 Depth=2
	s_mov_b32 s12, -1
                                        ; implicit-def: $vgpr71
.LBB4_1716:                             ;   in Loop: Header=BB4_1589 Depth=2
	s_delay_alu instid0(SALU_CYCLE_1)
	s_and_b32 vcc_lo, exec_lo, s12
	s_cbranch_vccz .LBB4_1726
; %bb.1717:                             ;   in Loop: Header=BB4_1589 Depth=2
	s_mov_b32 s12, 0
	s_mov_b32 s29, exec_lo
                                        ; implicit-def: $sgpr28
	v_cmpx_lt_i16_e32 0x7f, v14
	s_xor_b32 s29, exec_lo, s29
	s_cbranch_execnz .LBB4_2123
; %bb.1718:                             ;   in Loop: Header=BB4_1589 Depth=2
	s_or_saveexec_b32 s29, s29
	v_mov_b32_e32 v71, s28
	s_xor_b32 exec_lo, exec_lo, s29
	s_cbranch_execnz .LBB4_2126
.LBB4_1719:                             ;   in Loop: Header=BB4_1589 Depth=2
	s_or_b32 exec_lo, exec_lo, s29
	s_and_saveexec_b32 s28, s12
	s_cbranch_execz .LBB4_1721
.LBB4_1720:                             ;   in Loop: Header=BB4_1589 Depth=2
	v_and_b32_e32 v14, 7, v15
	v_bfe_u32 v113, v15, 3, 4
	v_lshlrev_b32_e32 v114, 24, v15
	s_delay_alu instid0(VALU_DEP_3) | instskip(NEXT) | instid1(VALU_DEP_3)
	v_clz_i32_u32_e32 v71, v14
	v_cmp_eq_u32_e32 vcc_lo, 0, v113
	s_delay_alu instid0(VALU_DEP_2) | instskip(NEXT) | instid1(VALU_DEP_1)
	v_min_u32_e32 v71, 32, v71
	v_subrev_nc_u32_e32 v112, 28, v71
	v_sub_nc_u32_e32 v71, 29, v71
	s_delay_alu instid0(VALU_DEP_2) | instskip(NEXT) | instid1(VALU_DEP_1)
	v_lshlrev_b32_e32 v112, v112, v15
	v_dual_cndmask_b32 v71, v113, v71 :: v_dual_and_b32 v112, 7, v112
	s_delay_alu instid0(VALU_DEP_1) | instskip(NEXT) | instid1(VALU_DEP_2)
	v_lshl_add_u32 v71, v71, 23, 0x3b800000
	v_cndmask_b32_e32 v14, v14, v112, vcc_lo
	v_and_b32_e32 v112, 0x80000000, v114
	s_delay_alu instid0(VALU_DEP_2) | instskip(NEXT) | instid1(VALU_DEP_1)
	v_lshlrev_b32_e32 v14, 20, v14
	v_or3_b32 v71, v112, v71, v14
.LBB4_1721:                             ;   in Loop: Header=BB4_1589 Depth=2
	s_or_b32 exec_lo, exec_lo, s28
	v_and_b32_e32 v112, 0xff, v11
	s_mov_b32 s12, 0
	s_mov_b32 s29, exec_lo
                                        ; implicit-def: $sgpr28
	s_delay_alu instid0(VALU_DEP_1)
	v_cmpx_lt_i16_e32 0x7f, v112
	s_xor_b32 s29, exec_lo, s29
	s_cbranch_execnz .LBB4_2127
; %bb.1722:                             ;   in Loop: Header=BB4_1589 Depth=2
	s_or_saveexec_b32 s29, s29
	v_mov_b32_e32 v14, s28
	s_xor_b32 exec_lo, exec_lo, s29
	s_cbranch_execnz .LBB4_2130
.LBB4_1723:                             ;   in Loop: Header=BB4_1589 Depth=2
	s_or_b32 exec_lo, exec_lo, s29
	s_and_saveexec_b32 s28, s12
	s_cbranch_execz .LBB4_1725
.LBB4_1724:                             ;   in Loop: Header=BB4_1589 Depth=2
	v_and_b32_e32 v14, 7, v11
	v_bfe_u32 v114, v11, 3, 4
	s_delay_alu instid0(VALU_DEP_2) | instskip(NEXT) | instid1(VALU_DEP_2)
	v_clz_i32_u32_e32 v112, v14
	v_cmp_eq_u32_e32 vcc_lo, 0, v114
	s_delay_alu instid0(VALU_DEP_2) | instskip(NEXT) | instid1(VALU_DEP_1)
	v_min_u32_e32 v112, 32, v112
	v_subrev_nc_u32_e32 v113, 28, v112
	v_sub_nc_u32_e32 v112, 29, v112
	s_delay_alu instid0(VALU_DEP_1) | instskip(NEXT) | instid1(VALU_DEP_1)
	v_dual_cndmask_b32 v112, v114, v112 :: v_dual_lshlrev_b32 v113, v113, v11
	v_and_b32_e32 v113, 7, v113
	v_lshlrev_b32_e32 v115, 24, v11
	s_delay_alu instid0(VALU_DEP_3) | instskip(NEXT) | instid1(VALU_DEP_2)
	v_lshl_add_u32 v112, v112, 23, 0x3b800000
	v_dual_cndmask_b32 v14, v14, v113 :: v_dual_and_b32 v113, 0x80000000, v115
	s_delay_alu instid0(VALU_DEP_1) | instskip(NEXT) | instid1(VALU_DEP_1)
	v_lshlrev_b32_e32 v14, 20, v14
	v_or3_b32 v14, v113, v112, v14
.LBB4_1725:                             ;   in Loop: Header=BB4_1589 Depth=2
	s_or_b32 exec_lo, exec_lo, s28
	s_delay_alu instid0(VALU_DEP_1) | instskip(NEXT) | instid1(VALU_DEP_1)
	v_dual_max_f32 v14, v14, v14 :: v_dual_max_f32 v71, v71, v71
	v_min_f32_e32 v71, v71, v14
.LBB4_1726:                             ;   in Loop: Header=BB4_1589 Depth=2
	s_delay_alu instid0(VALU_DEP_1) | instskip(NEXT) | instid1(VALU_DEP_1)
	v_and_b32_e32 v14, 0x7f800000, v71
	v_cmp_ne_u32_e32 vcc_lo, 0x7f800000, v14
	v_mov_b32_e32 v14, 0x80
	s_and_saveexec_b32 s28, vcc_lo
	s_cbranch_execz .LBB4_1734
; %bb.1727:                             ;   in Loop: Header=BB4_1589 Depth=2
	v_mov_b32_e32 v14, 0
	s_mov_b32 s29, exec_lo
	v_cmpx_ne_u32_e32 0, v71
	s_cbranch_execz .LBB4_1733
; %bb.1728:                             ;   in Loop: Header=BB4_1589 Depth=2
	v_bfe_u32 v14, v71, 23, 8
	s_delay_alu instid0(VALU_DEP_1) | instskip(SKIP_1) | instid1(VALU_DEP_2)
	v_sub_nc_u32_e32 v113, 0x78, v14
	v_cmp_gt_u32_e32 vcc_lo, 0x79, v14
	v_dual_cndmask_b32 v113, 0, v113 :: v_dual_and_b32 v112, 0x7fffff, v71
	s_delay_alu instid0(VALU_DEP_1) | instskip(SKIP_2) | instid1(VALU_DEP_4)
	v_or_b32_e32 v114, 0x800000, v112
	v_cmp_eq_u32_e32 vcc_lo, 0, v14
	v_add_nc_u32_e32 v14, 0xffffff89, v14
	v_cndmask_b32_e64 v113, v113, 0x77, vcc_lo
	s_delay_alu instid0(VALU_DEP_2) | instskip(SKIP_1) | instid1(VALU_DEP_3)
	v_cndmask_b32_e64 v14, v14, 0xffffff8a, vcc_lo
	v_cndmask_b32_e32 v112, v114, v112, vcc_lo
	v_lshl_add_u32 v114, 0x100000, v113, -1
	v_lshlrev_b32_e64 v117, v113, 0x80000
	s_delay_alu instid0(VALU_DEP_3) | instskip(SKIP_1) | instid1(VALU_DEP_4)
	v_lshrrev_b32_e32 v115, v113, v112
	v_add_nc_u32_e32 v113, v113, v14
	v_and_b32_e32 v112, v114, v112
	s_delay_alu instid0(VALU_DEP_3) | instskip(NEXT) | instid1(VALU_DEP_2)
	v_bfe_u32 v116, v115, 20, 1
	v_cmp_eq_u32_e64 s12, v112, v117
	s_delay_alu instid0(VALU_DEP_2) | instskip(NEXT) | instid1(VALU_DEP_1)
	v_add_nc_u32_e32 v114, -1, v116
	v_cndmask_b32_e64 v112, 0, v114, s12
	v_lshrrev_b32_e32 v114, 23, v115
	s_mov_b32 s12, exec_lo
	s_delay_alu instid0(VALU_DEP_2) | instskip(NEXT) | instid1(VALU_DEP_2)
	v_add_nc_u32_e32 v112, v112, v115
	v_xor_b32_e32 v114, 1, v114
	s_delay_alu instid0(VALU_DEP_2) | instskip(NEXT) | instid1(VALU_DEP_1)
	v_and_b32_e32 v14, 0xfffff, v112
	v_add_nc_u32_e32 v112, v14, v115
                                        ; implicit-def: $vgpr14
	s_delay_alu instid0(VALU_DEP_3)
	v_cmpx_ne_u32_e64 v113, v114
	s_xor_b32 s12, exec_lo, s12
; %bb.1729:                             ;   in Loop: Header=BB4_1589 Depth=2
	s_delay_alu instid0(VALU_DEP_2) | instskip(SKIP_2) | instid1(VALU_DEP_2)
	v_cmp_lt_u32_e32 vcc_lo, 0xffffff, v112
	v_sub_nc_u32_e32 v14, v113, v114
	v_cndmask_b32_e64 v113, 0, 1, vcc_lo
	v_add_co_ci_u32_e32 v14, vcc_lo, 0, v14, vcc_lo
	s_delay_alu instid0(VALU_DEP_2)
	v_lshrrev_b32_e32 v112, v113, v112
; %bb.1730:                             ;   in Loop: Header=BB4_1589 Depth=2
	s_and_not1_saveexec_b32 s12, s12
; %bb.1731:                             ;   in Loop: Header=BB4_1589 Depth=2
	s_delay_alu instid0(VALU_DEP_1)
	v_bfe_u32 v14, v112, 23, 1
; %bb.1732:                             ;   in Loop: Header=BB4_1589 Depth=2
	s_or_b32 exec_lo, exec_lo, s12
	v_lshrrev_b32_e32 v112, 20, v112
	s_delay_alu instid0(VALU_DEP_2) | instskip(SKIP_2) | instid1(VALU_DEP_2)
	v_cmp_gt_i32_e32 vcc_lo, 16, v14
	v_lshrrev_b32_e32 v71, 24, v71
	v_min_i32_e32 v113, 15, v14
	v_dual_cndmask_b32 v112, 7, v112 :: v_dual_and_b32 v71, 0x80, v71
	s_delay_alu instid0(VALU_DEP_1) | instskip(SKIP_1) | instid1(VALU_DEP_2)
	v_or_b32_e32 v14, v14, v112
	v_and_b32_e32 v114, 7, v112
	v_cmp_ne_u32_e32 vcc_lo, 0, v14
	v_lshlrev_b32_e32 v113, 3, v113
	s_delay_alu instid0(VALU_DEP_1) | instskip(NEXT) | instid1(VALU_DEP_1)
	v_or3_b32 v71, v113, v71, v114
	v_cndmask_b32_e32 v14, 0, v71, vcc_lo
.LBB4_1733:                             ;   in Loop: Header=BB4_1589 Depth=2
	s_or_b32 exec_lo, exec_lo, s29
.LBB4_1734:                             ;   in Loop: Header=BB4_1589 Depth=2
	s_delay_alu instid0(SALU_CYCLE_1) | instskip(SKIP_3) | instid1(VALU_DEP_2)
	s_or_b32 exec_lo, exec_lo, s28
	v_lshrrev_b16 v112, 8, v15
	v_lshrrev_b16 v71, 8, v11
	s_and_b32 vcc_lo, exec_lo, s27
	v_cmp_lt_i16_e64 s12, 0x7f, v112
	s_cbranch_vccz .LBB4_1744
; %bb.1735:                             ;   in Loop: Header=BB4_1589 Depth=2
	s_mov_b32 s28, 0
                                        ; implicit-def: $sgpr29
	s_delay_alu instid0(VALU_DEP_1) | instskip(NEXT) | instid1(SALU_CYCLE_1)
	s_and_saveexec_b32 vcc_lo, s12
	s_xor_b32 s12, exec_lo, vcc_lo
	s_cbranch_execnz .LBB4_2131
; %bb.1736:                             ;   in Loop: Header=BB4_1589 Depth=2
	s_or_saveexec_b32 s12, s12
	v_mov_b32_e32 v113, s29
	s_xor_b32 exec_lo, exec_lo, s12
	s_cbranch_execnz .LBB4_2134
.LBB4_1737:                             ;   in Loop: Header=BB4_1589 Depth=2
	s_or_b32 exec_lo, exec_lo, s12
	s_and_saveexec_b32 s12, s28
	s_cbranch_execz .LBB4_1739
.LBB4_1738:                             ;   in Loop: Header=BB4_1589 Depth=2
	v_and_b32_e32 v113, 0xffff, v112
	s_delay_alu instid0(VALU_DEP_1) | instskip(NEXT) | instid1(VALU_DEP_1)
	v_and_b32_e32 v114, 7, v113
	v_clz_i32_u32_e32 v115, v114
	s_delay_alu instid0(VALU_DEP_1) | instskip(NEXT) | instid1(VALU_DEP_1)
	v_min_u32_e32 v115, 32, v115
	v_subrev_nc_u32_e32 v116, 28, v115
	v_sub_nc_u32_e32 v115, 29, v115
	s_delay_alu instid0(VALU_DEP_2) | instskip(SKIP_1) | instid1(VALU_DEP_2)
	v_lshlrev_b32_e32 v116, v116, v113
	v_bfe_u32 v113, v113, 3, 4
	v_and_b32_e32 v116, 7, v116
	s_delay_alu instid0(VALU_DEP_2) | instskip(SKIP_1) | instid1(VALU_DEP_3)
	v_cmp_eq_u32_e32 vcc_lo, 0, v113
	v_cndmask_b32_e32 v113, v113, v115, vcc_lo
	v_dual_cndmask_b32 v114, v114, v116 :: v_dual_lshlrev_b32 v117, 16, v15
	s_delay_alu instid0(VALU_DEP_2) | instskip(NEXT) | instid1(VALU_DEP_2)
	v_lshl_add_u32 v113, v113, 23, 0x3b800000
	v_and_b32_e32 v115, 0x80000000, v117
	s_delay_alu instid0(VALU_DEP_3) | instskip(NEXT) | instid1(VALU_DEP_1)
	v_lshlrev_b32_e32 v114, 20, v114
	v_or3_b32 v113, v115, v113, v114
.LBB4_1739:                             ;   in Loop: Header=BB4_1589 Depth=2
	s_or_b32 exec_lo, exec_lo, s12
	s_mov_b32 s12, 0
	s_mov_b32 s29, exec_lo
                                        ; implicit-def: $sgpr28
	v_cmpx_lt_i16_e32 0x7f, v71
	s_xor_b32 s29, exec_lo, s29
	s_cbranch_execnz .LBB4_2135
; %bb.1740:                             ;   in Loop: Header=BB4_1589 Depth=2
	s_or_saveexec_b32 s29, s29
	v_mov_b32_e32 v114, s28
	s_xor_b32 exec_lo, exec_lo, s29
	s_cbranch_execnz .LBB4_2138
.LBB4_1741:                             ;   in Loop: Header=BB4_1589 Depth=2
	s_or_b32 exec_lo, exec_lo, s29
	s_and_saveexec_b32 s28, s12
	s_cbranch_execz .LBB4_1743
.LBB4_1742:                             ;   in Loop: Header=BB4_1589 Depth=2
	v_and_b32_e32 v114, 0xffff, v71
	v_lshlrev_b32_e32 v118, 16, v11
	s_delay_alu instid0(VALU_DEP_2) | instskip(NEXT) | instid1(VALU_DEP_1)
	v_and_b32_e32 v115, 7, v114
	v_clz_i32_u32_e32 v116, v115
	s_delay_alu instid0(VALU_DEP_1) | instskip(NEXT) | instid1(VALU_DEP_1)
	v_min_u32_e32 v116, 32, v116
	v_subrev_nc_u32_e32 v117, 28, v116
	v_sub_nc_u32_e32 v116, 29, v116
	s_delay_alu instid0(VALU_DEP_2) | instskip(SKIP_1) | instid1(VALU_DEP_2)
	v_lshlrev_b32_e32 v117, v117, v114
	v_bfe_u32 v114, v114, 3, 4
	v_and_b32_e32 v117, 7, v117
	s_delay_alu instid0(VALU_DEP_2) | instskip(NEXT) | instid1(VALU_DEP_2)
	v_cmp_eq_u32_e32 vcc_lo, 0, v114
	v_dual_cndmask_b32 v114, v114, v116 :: v_dual_cndmask_b32 v115, v115, v117
	v_and_b32_e32 v116, 0x80000000, v118
	s_delay_alu instid0(VALU_DEP_2) | instskip(NEXT) | instid1(VALU_DEP_3)
	v_lshl_add_u32 v114, v114, 23, 0x3b800000
	v_lshlrev_b32_e32 v115, 20, v115
	s_delay_alu instid0(VALU_DEP_1)
	v_or3_b32 v114, v116, v114, v115
.LBB4_1743:                             ;   in Loop: Header=BB4_1589 Depth=2
	s_or_b32 exec_lo, exec_lo, s28
	s_delay_alu instid0(VALU_DEP_1) | instskip(SKIP_1) | instid1(VALU_DEP_1)
	v_dual_max_f32 v114, v114, v114 :: v_dual_max_f32 v113, v113, v113
	s_mov_b32 s12, 0
	v_max_f32_e32 v113, v113, v114
	s_branch .LBB4_1745
.LBB4_1744:                             ;   in Loop: Header=BB4_1589 Depth=2
	s_mov_b32 s12, -1
                                        ; implicit-def: $vgpr113
.LBB4_1745:                             ;   in Loop: Header=BB4_1589 Depth=2
	s_delay_alu instid0(SALU_CYCLE_1)
	s_and_b32 vcc_lo, exec_lo, s12
	s_cbranch_vccz .LBB4_1755
; %bb.1746:                             ;   in Loop: Header=BB4_1589 Depth=2
	s_mov_b32 s12, 0
	s_mov_b32 s29, exec_lo
                                        ; implicit-def: $sgpr28
	v_cmpx_lt_i16_e32 0x7f, v112
	s_xor_b32 s29, exec_lo, s29
	s_cbranch_execnz .LBB4_2139
; %bb.1747:                             ;   in Loop: Header=BB4_1589 Depth=2
	s_or_saveexec_b32 s29, s29
	v_mov_b32_e32 v113, s28
	s_xor_b32 exec_lo, exec_lo, s29
	s_cbranch_execnz .LBB4_2142
.LBB4_1748:                             ;   in Loop: Header=BB4_1589 Depth=2
	s_or_b32 exec_lo, exec_lo, s29
	s_and_saveexec_b32 s28, s12
	s_cbranch_execz .LBB4_1750
.LBB4_1749:                             ;   in Loop: Header=BB4_1589 Depth=2
	v_and_b32_e32 v112, 0xffff, v112
	v_lshlrev_b32_e32 v116, 16, v15
	s_delay_alu instid0(VALU_DEP_2) | instskip(NEXT) | instid1(VALU_DEP_1)
	v_and_b32_e32 v113, 7, v112
	v_clz_i32_u32_e32 v114, v113
	s_delay_alu instid0(VALU_DEP_1) | instskip(NEXT) | instid1(VALU_DEP_1)
	v_min_u32_e32 v114, 32, v114
	v_subrev_nc_u32_e32 v115, 28, v114
	v_sub_nc_u32_e32 v114, 29, v114
	s_delay_alu instid0(VALU_DEP_2) | instskip(SKIP_1) | instid1(VALU_DEP_2)
	v_lshlrev_b32_e32 v115, v115, v112
	v_bfe_u32 v112, v112, 3, 4
	v_and_b32_e32 v115, 7, v115
	s_delay_alu instid0(VALU_DEP_2) | instskip(NEXT) | instid1(VALU_DEP_2)
	v_cmp_eq_u32_e32 vcc_lo, 0, v112
	v_dual_cndmask_b32 v112, v112, v114 :: v_dual_cndmask_b32 v113, v113, v115
	v_and_b32_e32 v114, 0x80000000, v116
	s_delay_alu instid0(VALU_DEP_2) | instskip(NEXT) | instid1(VALU_DEP_3)
	v_lshl_add_u32 v112, v112, 23, 0x3b800000
	v_lshlrev_b32_e32 v113, 20, v113
	s_delay_alu instid0(VALU_DEP_1)
	v_or3_b32 v113, v114, v112, v113
.LBB4_1750:                             ;   in Loop: Header=BB4_1589 Depth=2
	s_or_b32 exec_lo, exec_lo, s28
	s_mov_b32 s12, 0
	s_mov_b32 s29, exec_lo
                                        ; implicit-def: $sgpr28
	v_cmpx_lt_i16_e32 0x7f, v71
	s_xor_b32 s29, exec_lo, s29
	s_cbranch_execnz .LBB4_2143
; %bb.1751:                             ;   in Loop: Header=BB4_1589 Depth=2
	s_or_saveexec_b32 s29, s29
	v_mov_b32_e32 v112, s28
	s_xor_b32 exec_lo, exec_lo, s29
	s_cbranch_execnz .LBB4_2146
.LBB4_1752:                             ;   in Loop: Header=BB4_1589 Depth=2
	s_or_b32 exec_lo, exec_lo, s29
	s_and_saveexec_b32 s28, s12
	s_cbranch_execz .LBB4_1754
.LBB4_1753:                             ;   in Loop: Header=BB4_1589 Depth=2
	v_and_b32_e32 v71, 0xffff, v71
	v_lshlrev_b32_e32 v116, 16, v11
	s_delay_alu instid0(VALU_DEP_2) | instskip(NEXT) | instid1(VALU_DEP_1)
	v_and_b32_e32 v112, 7, v71
	v_clz_i32_u32_e32 v114, v112
	s_delay_alu instid0(VALU_DEP_1) | instskip(NEXT) | instid1(VALU_DEP_1)
	v_min_u32_e32 v114, 32, v114
	v_subrev_nc_u32_e32 v115, 28, v114
	v_sub_nc_u32_e32 v114, 29, v114
	s_delay_alu instid0(VALU_DEP_2) | instskip(SKIP_1) | instid1(VALU_DEP_2)
	v_lshlrev_b32_e32 v115, v115, v71
	v_bfe_u32 v71, v71, 3, 4
	v_and_b32_e32 v115, 7, v115
	s_delay_alu instid0(VALU_DEP_2) | instskip(NEXT) | instid1(VALU_DEP_2)
	v_cmp_eq_u32_e32 vcc_lo, 0, v71
	v_dual_cndmask_b32 v71, v71, v114 :: v_dual_cndmask_b32 v112, v112, v115
	v_and_b32_e32 v114, 0x80000000, v116
	s_delay_alu instid0(VALU_DEP_2) | instskip(NEXT) | instid1(VALU_DEP_3)
	v_lshl_add_u32 v71, v71, 23, 0x3b800000
	v_lshlrev_b32_e32 v112, 20, v112
	s_delay_alu instid0(VALU_DEP_1)
	v_or3_b32 v112, v114, v71, v112
.LBB4_1754:                             ;   in Loop: Header=BB4_1589 Depth=2
	s_or_b32 exec_lo, exec_lo, s28
	s_delay_alu instid0(VALU_DEP_1) | instskip(NEXT) | instid1(VALU_DEP_1)
	v_dual_max_f32 v71, v112, v112 :: v_dual_max_f32 v112, v113, v113
	v_min_f32_e32 v113, v112, v71
.LBB4_1755:                             ;   in Loop: Header=BB4_1589 Depth=2
	s_delay_alu instid0(VALU_DEP_1) | instskip(NEXT) | instid1(VALU_DEP_1)
	v_and_b32_e32 v71, 0x7f800000, v113
	v_cmp_ne_u32_e32 vcc_lo, 0x7f800000, v71
	v_mov_b32_e32 v71, 0x80
	s_and_saveexec_b32 s28, vcc_lo
	s_cbranch_execz .LBB4_1763
; %bb.1756:                             ;   in Loop: Header=BB4_1589 Depth=2
	v_mov_b32_e32 v71, 0
	s_mov_b32 s29, exec_lo
	v_cmpx_ne_u32_e32 0, v113
	s_cbranch_execz .LBB4_1762
; %bb.1757:                             ;   in Loop: Header=BB4_1589 Depth=2
	v_bfe_u32 v71, v113, 23, 8
	v_and_b32_e32 v112, 0x7fffff, v113
	s_delay_alu instid0(VALU_DEP_2) | instskip(SKIP_1) | instid1(VALU_DEP_3)
	v_sub_nc_u32_e32 v114, 0x78, v71
	v_cmp_gt_u32_e32 vcc_lo, 0x79, v71
	v_or_b32_e32 v115, 0x800000, v112
	s_delay_alu instid0(VALU_DEP_3) | instskip(SKIP_2) | instid1(VALU_DEP_3)
	v_cndmask_b32_e32 v114, 0, v114, vcc_lo
	v_cmp_eq_u32_e32 vcc_lo, 0, v71
	v_add_nc_u32_e32 v71, 0xffffff89, v71
	v_cndmask_b32_e64 v114, v114, 0x77, vcc_lo
	v_cndmask_b32_e32 v112, v115, v112, vcc_lo
	s_delay_alu instid0(VALU_DEP_3) | instskip(NEXT) | instid1(VALU_DEP_3)
	v_cndmask_b32_e64 v71, v71, 0xffffff8a, vcc_lo
	v_lshl_add_u32 v115, 0x100000, v114, -1
	s_delay_alu instid0(VALU_DEP_3) | instskip(SKIP_1) | instid1(VALU_DEP_4)
	v_lshrrev_b32_e32 v116, v114, v112
	v_lshlrev_b32_e64 v118, v114, 0x80000
	v_add_nc_u32_e32 v114, v114, v71
	s_delay_alu instid0(VALU_DEP_4) | instskip(NEXT) | instid1(VALU_DEP_4)
	v_and_b32_e32 v112, v115, v112
	v_bfe_u32 v117, v116, 20, 1
	s_delay_alu instid0(VALU_DEP_2) | instskip(NEXT) | instid1(VALU_DEP_2)
	v_cmp_eq_u32_e64 s12, v112, v118
	v_add_nc_u32_e32 v115, -1, v117
	s_delay_alu instid0(VALU_DEP_1) | instskip(SKIP_2) | instid1(VALU_DEP_2)
	v_cndmask_b32_e64 v112, 0, v115, s12
	v_lshrrev_b32_e32 v115, 23, v116
	s_mov_b32 s12, exec_lo
	v_add_nc_u32_e32 v112, v112, v116
	s_delay_alu instid0(VALU_DEP_2) | instskip(NEXT) | instid1(VALU_DEP_2)
	v_xor_b32_e32 v115, 1, v115
	v_and_b32_e32 v71, 0xfffff, v112
	s_delay_alu instid0(VALU_DEP_1) | instskip(NEXT) | instid1(VALU_DEP_3)
	v_add_nc_u32_e32 v112, v71, v116
                                        ; implicit-def: $vgpr71
	v_cmpx_ne_u32_e64 v114, v115
	s_xor_b32 s12, exec_lo, s12
; %bb.1758:                             ;   in Loop: Header=BB4_1589 Depth=2
	s_delay_alu instid0(VALU_DEP_2) | instskip(SKIP_2) | instid1(VALU_DEP_2)
	v_cmp_lt_u32_e32 vcc_lo, 0xffffff, v112
	v_sub_nc_u32_e32 v71, v114, v115
	v_cndmask_b32_e64 v114, 0, 1, vcc_lo
	v_add_co_ci_u32_e32 v71, vcc_lo, 0, v71, vcc_lo
	s_delay_alu instid0(VALU_DEP_2)
	v_lshrrev_b32_e32 v112, v114, v112
; %bb.1759:                             ;   in Loop: Header=BB4_1589 Depth=2
	s_and_not1_saveexec_b32 s12, s12
; %bb.1760:                             ;   in Loop: Header=BB4_1589 Depth=2
	s_delay_alu instid0(VALU_DEP_1)
	v_bfe_u32 v71, v112, 23, 1
; %bb.1761:                             ;   in Loop: Header=BB4_1589 Depth=2
	s_or_b32 exec_lo, exec_lo, s12
	v_lshrrev_b32_e32 v112, 20, v112
	s_delay_alu instid0(VALU_DEP_2) | instskip(SKIP_2) | instid1(VALU_DEP_2)
	v_cmp_gt_i32_e32 vcc_lo, 16, v71
	v_lshrrev_b32_e32 v113, 24, v113
	v_min_i32_e32 v114, 15, v71
	v_dual_cndmask_b32 v112, 7, v112 :: v_dual_and_b32 v113, 0x80, v113
	s_delay_alu instid0(VALU_DEP_1) | instskip(SKIP_1) | instid1(VALU_DEP_2)
	v_or_b32_e32 v71, v71, v112
	v_and_b32_e32 v115, 7, v112
	v_cmp_ne_u32_e32 vcc_lo, 0, v71
	v_lshlrev_b32_e32 v114, 3, v114
	s_delay_alu instid0(VALU_DEP_1) | instskip(NEXT) | instid1(VALU_DEP_1)
	v_or3_b32 v112, v114, v113, v115
	v_cndmask_b32_e32 v71, 0, v112, vcc_lo
.LBB4_1762:                             ;   in Loop: Header=BB4_1589 Depth=2
	s_or_b32 exec_lo, exec_lo, s29
.LBB4_1763:                             ;   in Loop: Header=BB4_1589 Depth=2
	s_delay_alu instid0(SALU_CYCLE_1) | instskip(SKIP_3) | instid1(VALU_DEP_2)
	s_or_b32 exec_lo, exec_lo, s28
	v_lshrrev_b32_e32 v113, 16, v15
	v_lshrrev_b32_e32 v112, 16, v11
	s_and_b32 vcc_lo, exec_lo, s27
	v_and_b32_e32 v114, 0xff, v113
	s_delay_alu instid0(VALU_DEP_1)
	v_cmp_lt_i16_e64 s12, 0x7f, v114
	s_cbranch_vccz .LBB4_1773
; %bb.1764:                             ;   in Loop: Header=BB4_1589 Depth=2
	s_mov_b32 s28, 0
                                        ; implicit-def: $sgpr29
	s_delay_alu instid0(VALU_DEP_1) | instskip(NEXT) | instid1(SALU_CYCLE_1)
	s_and_saveexec_b32 vcc_lo, s12
	s_xor_b32 s12, exec_lo, vcc_lo
	s_cbranch_execnz .LBB4_2147
; %bb.1765:                             ;   in Loop: Header=BB4_1589 Depth=2
	s_or_saveexec_b32 s12, s12
	v_mov_b32_e32 v115, s29
	s_xor_b32 exec_lo, exec_lo, s12
	s_cbranch_execnz .LBB4_2150
.LBB4_1766:                             ;   in Loop: Header=BB4_1589 Depth=2
	s_or_b32 exec_lo, exec_lo, s12
	s_and_saveexec_b32 s12, s28
	s_cbranch_execz .LBB4_1768
.LBB4_1767:                             ;   in Loop: Header=BB4_1589 Depth=2
	v_bfe_u32 v115, v15, 16, 3
	v_bfe_u32 v118, v15, 19, 4
	v_lshlrev_b32_e32 v119, 24, v113
	s_delay_alu instid0(VALU_DEP_3) | instskip(NEXT) | instid1(VALU_DEP_3)
	v_clz_i32_u32_e32 v116, v115
	v_cmp_eq_u32_e32 vcc_lo, 0, v118
	s_delay_alu instid0(VALU_DEP_2) | instskip(NEXT) | instid1(VALU_DEP_1)
	v_min_u32_e32 v116, 32, v116
	v_subrev_nc_u32_e32 v117, 28, v116
	v_sub_nc_u32_e32 v116, 29, v116
	s_delay_alu instid0(VALU_DEP_1) | instskip(NEXT) | instid1(VALU_DEP_1)
	v_dual_cndmask_b32 v116, v118, v116 :: v_dual_lshlrev_b32 v117, v117, v113
	v_and_b32_e32 v117, 7, v117
	s_delay_alu instid0(VALU_DEP_2) | instskip(NEXT) | instid1(VALU_DEP_2)
	v_lshl_add_u32 v116, v116, 23, 0x3b800000
	v_cndmask_b32_e32 v115, v115, v117, vcc_lo
	v_and_b32_e32 v117, 0x80000000, v119
	s_delay_alu instid0(VALU_DEP_2) | instskip(NEXT) | instid1(VALU_DEP_1)
	v_lshlrev_b32_e32 v115, 20, v115
	v_or3_b32 v115, v117, v116, v115
.LBB4_1768:                             ;   in Loop: Header=BB4_1589 Depth=2
	s_or_b32 exec_lo, exec_lo, s12
	v_and_b32_e32 v117, 0xff, v112
	s_mov_b32 s12, 0
	s_mov_b32 s29, exec_lo
                                        ; implicit-def: $sgpr28
	s_delay_alu instid0(VALU_DEP_1)
	v_cmpx_lt_i16_e32 0x7f, v117
	s_xor_b32 s29, exec_lo, s29
	s_cbranch_execnz .LBB4_2151
; %bb.1769:                             ;   in Loop: Header=BB4_1589 Depth=2
	s_or_saveexec_b32 s29, s29
	v_mov_b32_e32 v116, s28
	s_xor_b32 exec_lo, exec_lo, s29
	s_cbranch_execnz .LBB4_2154
.LBB4_1770:                             ;   in Loop: Header=BB4_1589 Depth=2
	s_or_b32 exec_lo, exec_lo, s29
	s_and_saveexec_b32 s28, s12
	s_cbranch_execz .LBB4_1772
.LBB4_1771:                             ;   in Loop: Header=BB4_1589 Depth=2
	v_bfe_u32 v116, v11, 16, 3
	v_bfe_u32 v119, v11, 19, 4
	v_lshlrev_b32_e32 v128, 24, v112
	s_delay_alu instid0(VALU_DEP_3) | instskip(NEXT) | instid1(VALU_DEP_3)
	v_clz_i32_u32_e32 v117, v116
	v_cmp_eq_u32_e32 vcc_lo, 0, v119
	s_delay_alu instid0(VALU_DEP_2) | instskip(NEXT) | instid1(VALU_DEP_1)
	v_min_u32_e32 v117, 32, v117
	v_subrev_nc_u32_e32 v118, 28, v117
	v_sub_nc_u32_e32 v117, 29, v117
	s_delay_alu instid0(VALU_DEP_1) | instskip(NEXT) | instid1(VALU_DEP_1)
	v_dual_cndmask_b32 v117, v119, v117 :: v_dual_lshlrev_b32 v118, v118, v112
	v_and_b32_e32 v118, 7, v118
	s_delay_alu instid0(VALU_DEP_2) | instskip(NEXT) | instid1(VALU_DEP_2)
	v_lshl_add_u32 v117, v117, 23, 0x3b800000
	v_cndmask_b32_e32 v116, v116, v118, vcc_lo
	v_and_b32_e32 v118, 0x80000000, v128
	s_delay_alu instid0(VALU_DEP_2) | instskip(NEXT) | instid1(VALU_DEP_1)
	v_lshlrev_b32_e32 v116, 20, v116
	v_or3_b32 v116, v118, v117, v116
.LBB4_1772:                             ;   in Loop: Header=BB4_1589 Depth=2
	s_or_b32 exec_lo, exec_lo, s28
	s_delay_alu instid0(VALU_DEP_1) | instskip(SKIP_1) | instid1(VALU_DEP_1)
	v_dual_max_f32 v116, v116, v116 :: v_dual_max_f32 v115, v115, v115
	s_mov_b32 s12, 0
	v_max_f32_e32 v115, v115, v116
	s_branch .LBB4_1774
.LBB4_1773:                             ;   in Loop: Header=BB4_1589 Depth=2
	s_mov_b32 s12, -1
                                        ; implicit-def: $vgpr115
.LBB4_1774:                             ;   in Loop: Header=BB4_1589 Depth=2
	s_delay_alu instid0(SALU_CYCLE_1)
	s_and_b32 vcc_lo, exec_lo, s12
	s_cbranch_vccz .LBB4_1784
; %bb.1775:                             ;   in Loop: Header=BB4_1589 Depth=2
	s_mov_b32 s12, 0
	s_mov_b32 s29, exec_lo
                                        ; implicit-def: $sgpr28
	v_cmpx_lt_i16_e32 0x7f, v114
	s_xor_b32 s29, exec_lo, s29
	s_cbranch_execnz .LBB4_2155
; %bb.1776:                             ;   in Loop: Header=BB4_1589 Depth=2
	s_or_saveexec_b32 s29, s29
	v_mov_b32_e32 v115, s28
	s_xor_b32 exec_lo, exec_lo, s29
	s_cbranch_execnz .LBB4_2158
.LBB4_1777:                             ;   in Loop: Header=BB4_1589 Depth=2
	s_or_b32 exec_lo, exec_lo, s29
	s_and_saveexec_b32 s28, s12
	s_cbranch_execz .LBB4_1779
.LBB4_1778:                             ;   in Loop: Header=BB4_1589 Depth=2
	v_bfe_u32 v114, v15, 16, 3
	v_bfe_u32 v117, v15, 19, 4
	s_delay_alu instid0(VALU_DEP_2) | instskip(NEXT) | instid1(VALU_DEP_2)
	v_clz_i32_u32_e32 v115, v114
	v_cmp_eq_u32_e32 vcc_lo, 0, v117
	s_delay_alu instid0(VALU_DEP_2) | instskip(NEXT) | instid1(VALU_DEP_1)
	v_min_u32_e32 v115, 32, v115
	v_subrev_nc_u32_e32 v116, 28, v115
	v_sub_nc_u32_e32 v115, 29, v115
	s_delay_alu instid0(VALU_DEP_1) | instskip(NEXT) | instid1(VALU_DEP_1)
	v_dual_cndmask_b32 v115, v117, v115 :: v_dual_lshlrev_b32 v116, v116, v113
	v_and_b32_e32 v116, 7, v116
	v_lshlrev_b32_e32 v113, 24, v113
	s_delay_alu instid0(VALU_DEP_3) | instskip(NEXT) | instid1(VALU_DEP_2)
	v_lshl_add_u32 v115, v115, 23, 0x3b800000
	v_dual_cndmask_b32 v114, v114, v116 :: v_dual_and_b32 v113, 0x80000000, v113
	s_delay_alu instid0(VALU_DEP_1) | instskip(NEXT) | instid1(VALU_DEP_1)
	v_lshlrev_b32_e32 v114, 20, v114
	v_or3_b32 v115, v113, v115, v114
.LBB4_1779:                             ;   in Loop: Header=BB4_1589 Depth=2
	s_or_b32 exec_lo, exec_lo, s28
	v_and_b32_e32 v114, 0xff, v112
	s_mov_b32 s12, 0
	s_mov_b32 s29, exec_lo
                                        ; implicit-def: $sgpr28
	s_delay_alu instid0(VALU_DEP_1)
	v_cmpx_lt_i16_e32 0x7f, v114
	s_xor_b32 s29, exec_lo, s29
	s_cbranch_execnz .LBB4_2159
; %bb.1780:                             ;   in Loop: Header=BB4_1589 Depth=2
	s_or_saveexec_b32 s29, s29
	v_mov_b32_e32 v113, s28
	s_xor_b32 exec_lo, exec_lo, s29
	s_cbranch_execnz .LBB4_2162
.LBB4_1781:                             ;   in Loop: Header=BB4_1589 Depth=2
	s_or_b32 exec_lo, exec_lo, s29
	s_and_saveexec_b32 s28, s12
	s_cbranch_execz .LBB4_1783
.LBB4_1782:                             ;   in Loop: Header=BB4_1589 Depth=2
	v_bfe_u32 v113, v11, 16, 3
	v_bfe_u32 v117, v11, 19, 4
	s_delay_alu instid0(VALU_DEP_2) | instskip(NEXT) | instid1(VALU_DEP_2)
	v_clz_i32_u32_e32 v114, v113
	v_cmp_eq_u32_e32 vcc_lo, 0, v117
	s_delay_alu instid0(VALU_DEP_2) | instskip(NEXT) | instid1(VALU_DEP_1)
	v_min_u32_e32 v114, 32, v114
	v_subrev_nc_u32_e32 v116, 28, v114
	v_sub_nc_u32_e32 v114, 29, v114
	s_delay_alu instid0(VALU_DEP_2) | instskip(SKIP_1) | instid1(VALU_DEP_2)
	v_lshlrev_b32_e32 v116, v116, v112
	v_lshlrev_b32_e32 v112, 24, v112
	v_and_b32_e32 v116, 7, v116
	s_delay_alu instid0(VALU_DEP_2) | instskip(NEXT) | instid1(VALU_DEP_2)
	v_and_b32_e32 v112, 0x80000000, v112
	v_cndmask_b32_e32 v113, v113, v116, vcc_lo
	s_delay_alu instid0(VALU_DEP_1) | instskip(NEXT) | instid1(VALU_DEP_1)
	v_dual_cndmask_b32 v114, v117, v114 :: v_dual_lshlrev_b32 v113, 20, v113
	v_lshl_add_u32 v114, v114, 23, 0x3b800000
	s_delay_alu instid0(VALU_DEP_1)
	v_or3_b32 v113, v112, v114, v113
.LBB4_1783:                             ;   in Loop: Header=BB4_1589 Depth=2
	s_or_b32 exec_lo, exec_lo, s28
	s_delay_alu instid0(VALU_DEP_1) | instskip(NEXT) | instid1(VALU_DEP_1)
	v_dual_max_f32 v112, v113, v113 :: v_dual_max_f32 v113, v115, v115
	v_min_f32_e32 v115, v113, v112
.LBB4_1784:                             ;   in Loop: Header=BB4_1589 Depth=2
	s_delay_alu instid0(VALU_DEP_1) | instskip(NEXT) | instid1(VALU_DEP_1)
	v_and_b32_e32 v112, 0x7f800000, v115
	v_cmp_ne_u32_e32 vcc_lo, 0x7f800000, v112
	v_mov_b32_e32 v112, 0x80
	s_and_saveexec_b32 s28, vcc_lo
	s_cbranch_execz .LBB4_1792
; %bb.1785:                             ;   in Loop: Header=BB4_1589 Depth=2
	v_mov_b32_e32 v112, 0
	s_mov_b32 s29, exec_lo
	v_cmpx_ne_u32_e32 0, v115
	s_cbranch_execz .LBB4_1791
; %bb.1786:                             ;   in Loop: Header=BB4_1589 Depth=2
	v_bfe_u32 v112, v115, 23, 8
	s_delay_alu instid0(VALU_DEP_1) | instskip(SKIP_1) | instid1(VALU_DEP_2)
	v_sub_nc_u32_e32 v114, 0x78, v112
	v_cmp_gt_u32_e32 vcc_lo, 0x79, v112
	v_dual_cndmask_b32 v114, 0, v114 :: v_dual_and_b32 v113, 0x7fffff, v115
	s_delay_alu instid0(VALU_DEP_1) | instskip(SKIP_2) | instid1(VALU_DEP_4)
	v_or_b32_e32 v116, 0x800000, v113
	v_cmp_eq_u32_e32 vcc_lo, 0, v112
	v_add_nc_u32_e32 v112, 0xffffff89, v112
	v_cndmask_b32_e64 v114, v114, 0x77, vcc_lo
	s_delay_alu instid0(VALU_DEP_4) | instskip(NEXT) | instid1(VALU_DEP_3)
	v_cndmask_b32_e32 v113, v116, v113, vcc_lo
	v_cndmask_b32_e64 v112, v112, 0xffffff8a, vcc_lo
	s_delay_alu instid0(VALU_DEP_3) | instskip(NEXT) | instid1(VALU_DEP_3)
	v_lshl_add_u32 v116, 0x100000, v114, -1
	v_lshrrev_b32_e32 v117, v114, v113
	v_lshlrev_b32_e64 v119, v114, 0x80000
	s_delay_alu instid0(VALU_DEP_4) | instskip(NEXT) | instid1(VALU_DEP_4)
	v_add_nc_u32_e32 v114, v114, v112
	v_and_b32_e32 v113, v116, v113
	s_delay_alu instid0(VALU_DEP_4) | instskip(NEXT) | instid1(VALU_DEP_2)
	v_bfe_u32 v118, v117, 20, 1
	v_cmp_eq_u32_e64 s12, v113, v119
	s_delay_alu instid0(VALU_DEP_2) | instskip(NEXT) | instid1(VALU_DEP_1)
	v_add_nc_u32_e32 v116, -1, v118
	v_cndmask_b32_e64 v113, 0, v116, s12
	v_lshrrev_b32_e32 v116, 23, v117
	s_mov_b32 s12, exec_lo
	s_delay_alu instid0(VALU_DEP_2) | instskip(NEXT) | instid1(VALU_DEP_2)
	v_add_nc_u32_e32 v113, v113, v117
	v_xor_b32_e32 v116, 1, v116
	s_delay_alu instid0(VALU_DEP_2) | instskip(NEXT) | instid1(VALU_DEP_1)
	v_and_b32_e32 v112, 0xfffff, v113
	v_add_nc_u32_e32 v113, v112, v117
                                        ; implicit-def: $vgpr112
	s_delay_alu instid0(VALU_DEP_3)
	v_cmpx_ne_u32_e64 v114, v116
	s_xor_b32 s12, exec_lo, s12
; %bb.1787:                             ;   in Loop: Header=BB4_1589 Depth=2
	s_delay_alu instid0(VALU_DEP_2) | instskip(SKIP_2) | instid1(VALU_DEP_2)
	v_cmp_lt_u32_e32 vcc_lo, 0xffffff, v113
	v_sub_nc_u32_e32 v112, v114, v116
	v_cndmask_b32_e64 v114, 0, 1, vcc_lo
	v_add_co_ci_u32_e32 v112, vcc_lo, 0, v112, vcc_lo
	s_delay_alu instid0(VALU_DEP_2)
	v_lshrrev_b32_e32 v113, v114, v113
; %bb.1788:                             ;   in Loop: Header=BB4_1589 Depth=2
	s_and_not1_saveexec_b32 s12, s12
; %bb.1789:                             ;   in Loop: Header=BB4_1589 Depth=2
	s_delay_alu instid0(VALU_DEP_1)
	v_bfe_u32 v112, v113, 23, 1
; %bb.1790:                             ;   in Loop: Header=BB4_1589 Depth=2
	s_or_b32 exec_lo, exec_lo, s12
	v_lshrrev_b32_e32 v113, 20, v113
	s_delay_alu instid0(VALU_DEP_2) | instskip(SKIP_2) | instid1(VALU_DEP_2)
	v_cmp_gt_i32_e32 vcc_lo, 16, v112
	v_min_i32_e32 v114, 15, v112
	v_lshrrev_b32_e32 v115, 24, v115
	v_dual_cndmask_b32 v113, 7, v113 :: v_dual_lshlrev_b32 v114, 3, v114
	s_delay_alu instid0(VALU_DEP_1) | instskip(SKIP_1) | instid1(VALU_DEP_3)
	v_or_b32_e32 v112, v112, v113
	v_and_b32_e32 v116, 7, v113
	v_and_b32_e32 v114, 0xf8, v114
	s_delay_alu instid0(VALU_DEP_3) | instskip(SKIP_1) | instid1(VALU_DEP_1)
	v_cmp_ne_u32_e32 vcc_lo, 0, v112
	v_and_b32_e32 v115, 0x80, v115
	v_or3_b32 v113, v114, v115, v116
	s_delay_alu instid0(VALU_DEP_1)
	v_cndmask_b32_e32 v112, 0, v113, vcc_lo
.LBB4_1791:                             ;   in Loop: Header=BB4_1589 Depth=2
	s_or_b32 exec_lo, exec_lo, s29
.LBB4_1792:                             ;   in Loop: Header=BB4_1589 Depth=2
	s_delay_alu instid0(SALU_CYCLE_1) | instskip(SKIP_3) | instid1(VALU_DEP_2)
	s_or_b32 exec_lo, exec_lo, s28
	v_lshrrev_b32_e32 v114, 24, v15
	v_lshrrev_b32_e32 v113, 24, v11
	s_and_b32 vcc_lo, exec_lo, s27
	v_cmp_lt_i16_e64 s12, 0x7f, v114
	s_cbranch_vccz .LBB4_1802
; %bb.1793:                             ;   in Loop: Header=BB4_1589 Depth=2
	s_mov_b32 s28, 0
                                        ; implicit-def: $sgpr29
	s_delay_alu instid0(VALU_DEP_1) | instskip(NEXT) | instid1(SALU_CYCLE_1)
	s_and_saveexec_b32 vcc_lo, s12
	s_xor_b32 s12, exec_lo, vcc_lo
	s_cbranch_execnz .LBB4_2163
; %bb.1794:                             ;   in Loop: Header=BB4_1589 Depth=2
	s_or_saveexec_b32 s12, s12
	v_mov_b32_e32 v115, s29
	s_xor_b32 exec_lo, exec_lo, s12
	s_cbranch_execnz .LBB4_2166
.LBB4_1795:                             ;   in Loop: Header=BB4_1589 Depth=2
	s_or_b32 exec_lo, exec_lo, s12
	s_and_saveexec_b32 s12, s28
	s_cbranch_execz .LBB4_1797
.LBB4_1796:                             ;   in Loop: Header=BB4_1589 Depth=2
	v_bfe_u32 v115, v15, 24, 3
	v_bfe_u32 v118, v15, 27, 4
	s_delay_alu instid0(VALU_DEP_2) | instskip(NEXT) | instid1(VALU_DEP_2)
	v_clz_i32_u32_e32 v116, v115
	v_cmp_eq_u32_e32 vcc_lo, 0, v118
	s_delay_alu instid0(VALU_DEP_2) | instskip(NEXT) | instid1(VALU_DEP_1)
	v_min_u32_e32 v116, 32, v116
	v_subrev_nc_u32_e32 v117, 28, v116
	v_sub_nc_u32_e32 v116, 29, v116
	s_delay_alu instid0(VALU_DEP_1) | instskip(NEXT) | instid1(VALU_DEP_1)
	v_dual_cndmask_b32 v116, v118, v116 :: v_dual_lshlrev_b32 v117, v117, v114
	v_and_b32_e32 v117, 7, v117
	s_delay_alu instid0(VALU_DEP_2) | instskip(NEXT) | instid1(VALU_DEP_2)
	v_lshl_add_u32 v116, v116, 23, 0x3b800000
	v_cndmask_b32_e32 v115, v115, v117, vcc_lo
	v_and_b32_e32 v117, 0x80000000, v15
	s_delay_alu instid0(VALU_DEP_2) | instskip(NEXT) | instid1(VALU_DEP_1)
	v_lshlrev_b32_e32 v115, 20, v115
	v_or3_b32 v115, v117, v116, v115
.LBB4_1797:                             ;   in Loop: Header=BB4_1589 Depth=2
	s_or_b32 exec_lo, exec_lo, s12
	s_mov_b32 s12, 0
	s_mov_b32 s29, exec_lo
                                        ; implicit-def: $sgpr28
	v_cmpx_lt_i16_e32 0x7f, v113
	s_xor_b32 s29, exec_lo, s29
	s_cbranch_execnz .LBB4_2167
; %bb.1798:                             ;   in Loop: Header=BB4_1589 Depth=2
	s_or_saveexec_b32 s29, s29
	v_mov_b32_e32 v116, s28
	s_xor_b32 exec_lo, exec_lo, s29
	s_cbranch_execnz .LBB4_2170
.LBB4_1799:                             ;   in Loop: Header=BB4_1589 Depth=2
	s_or_b32 exec_lo, exec_lo, s29
	s_and_saveexec_b32 s28, s12
	s_cbranch_execz .LBB4_1801
.LBB4_1800:                             ;   in Loop: Header=BB4_1589 Depth=2
	v_bfe_u32 v116, v11, 24, 3
	v_bfe_u32 v119, v11, 27, 4
	s_delay_alu instid0(VALU_DEP_2) | instskip(NEXT) | instid1(VALU_DEP_2)
	v_clz_i32_u32_e32 v117, v116
	v_cmp_eq_u32_e32 vcc_lo, 0, v119
	s_delay_alu instid0(VALU_DEP_2) | instskip(NEXT) | instid1(VALU_DEP_1)
	v_min_u32_e32 v117, 32, v117
	v_subrev_nc_u32_e32 v118, 28, v117
	v_sub_nc_u32_e32 v117, 29, v117
	s_delay_alu instid0(VALU_DEP_2) | instskip(NEXT) | instid1(VALU_DEP_1)
	v_lshlrev_b32_e32 v118, v118, v113
	v_dual_cndmask_b32 v117, v119, v117 :: v_dual_and_b32 v118, 7, v118
	s_delay_alu instid0(VALU_DEP_1) | instskip(NEXT) | instid1(VALU_DEP_2)
	v_lshl_add_u32 v117, v117, 23, 0x3b800000
	v_cndmask_b32_e32 v116, v116, v118, vcc_lo
	v_and_b32_e32 v118, 0x80000000, v11
	s_delay_alu instid0(VALU_DEP_2) | instskip(NEXT) | instid1(VALU_DEP_1)
	v_lshlrev_b32_e32 v116, 20, v116
	v_or3_b32 v116, v118, v117, v116
.LBB4_1801:                             ;   in Loop: Header=BB4_1589 Depth=2
	s_or_b32 exec_lo, exec_lo, s28
	s_delay_alu instid0(VALU_DEP_1) | instskip(SKIP_1) | instid1(VALU_DEP_1)
	v_dual_max_f32 v116, v116, v116 :: v_dual_max_f32 v115, v115, v115
	s_mov_b32 s12, 0
	v_max_f32_e32 v115, v115, v116
	s_branch .LBB4_1803
.LBB4_1802:                             ;   in Loop: Header=BB4_1589 Depth=2
	s_mov_b32 s12, -1
                                        ; implicit-def: $vgpr115
.LBB4_1803:                             ;   in Loop: Header=BB4_1589 Depth=2
	s_delay_alu instid0(SALU_CYCLE_1)
	s_and_b32 vcc_lo, exec_lo, s12
	s_cbranch_vccz .LBB4_1813
; %bb.1804:                             ;   in Loop: Header=BB4_1589 Depth=2
	s_mov_b32 s12, 0
	s_mov_b32 s29, exec_lo
                                        ; implicit-def: $sgpr28
	v_cmpx_lt_i16_e32 0x7f, v114
	s_xor_b32 s29, exec_lo, s29
	s_cbranch_execnz .LBB4_2171
; %bb.1805:                             ;   in Loop: Header=BB4_1589 Depth=2
	s_or_saveexec_b32 s29, s29
	v_mov_b32_e32 v115, s28
	s_xor_b32 exec_lo, exec_lo, s29
	s_cbranch_execnz .LBB4_2174
.LBB4_1806:                             ;   in Loop: Header=BB4_1589 Depth=2
	s_or_b32 exec_lo, exec_lo, s29
	s_and_saveexec_b32 s28, s12
	s_cbranch_execz .LBB4_1808
.LBB4_1807:                             ;   in Loop: Header=BB4_1589 Depth=2
	v_bfe_u32 v115, v15, 24, 3
	s_delay_alu instid0(VALU_DEP_1) | instskip(NEXT) | instid1(VALU_DEP_1)
	v_clz_i32_u32_e32 v116, v115
	v_min_u32_e32 v116, 32, v116
	s_delay_alu instid0(VALU_DEP_1) | instskip(SKIP_1) | instid1(VALU_DEP_2)
	v_subrev_nc_u32_e32 v117, 28, v116
	v_sub_nc_u32_e32 v116, 29, v116
	v_lshlrev_b32_e32 v114, v117, v114
	v_bfe_u32 v117, v15, 27, 4
	v_and_b32_e32 v15, 0x80000000, v15
	s_delay_alu instid0(VALU_DEP_3) | instskip(NEXT) | instid1(VALU_DEP_3)
	v_and_b32_e32 v114, 7, v114
	v_cmp_eq_u32_e32 vcc_lo, 0, v117
	v_cndmask_b32_e32 v116, v117, v116, vcc_lo
	s_delay_alu instid0(VALU_DEP_3) | instskip(NEXT) | instid1(VALU_DEP_2)
	v_cndmask_b32_e32 v114, v115, v114, vcc_lo
	v_lshl_add_u32 v115, v116, 23, 0x3b800000
	s_delay_alu instid0(VALU_DEP_2) | instskip(NEXT) | instid1(VALU_DEP_1)
	v_lshlrev_b32_e32 v114, 20, v114
	v_or3_b32 v115, v15, v115, v114
.LBB4_1808:                             ;   in Loop: Header=BB4_1589 Depth=2
	s_or_b32 exec_lo, exec_lo, s28
	s_mov_b32 s12, 0
	s_mov_b32 s29, exec_lo
                                        ; implicit-def: $sgpr28
	v_cmpx_lt_i16_e32 0x7f, v113
	s_xor_b32 s29, exec_lo, s29
	s_cbranch_execnz .LBB4_2175
; %bb.1809:                             ;   in Loop: Header=BB4_1589 Depth=2
	s_or_saveexec_b32 s29, s29
	v_mov_b32_e32 v15, s28
	s_xor_b32 exec_lo, exec_lo, s29
	s_cbranch_execnz .LBB4_2178
.LBB4_1810:                             ;   in Loop: Header=BB4_1589 Depth=2
	s_or_b32 exec_lo, exec_lo, s29
	s_and_saveexec_b32 s28, s12
	s_cbranch_execz .LBB4_1812
.LBB4_1811:                             ;   in Loop: Header=BB4_1589 Depth=2
	v_bfe_u32 v15, v11, 24, 3
	s_delay_alu instid0(VALU_DEP_1) | instskip(NEXT) | instid1(VALU_DEP_1)
	v_clz_i32_u32_e32 v114, v15
	v_min_u32_e32 v114, 32, v114
	s_delay_alu instid0(VALU_DEP_1) | instskip(SKIP_1) | instid1(VALU_DEP_2)
	v_subrev_nc_u32_e32 v116, 28, v114
	v_sub_nc_u32_e32 v114, 29, v114
	v_lshlrev_b32_e32 v113, v116, v113
	v_bfe_u32 v116, v11, 27, 4
	v_and_b32_e32 v11, 0x80000000, v11
	s_delay_alu instid0(VALU_DEP_2) | instskip(NEXT) | instid1(VALU_DEP_4)
	v_cmp_eq_u32_e32 vcc_lo, 0, v116
	v_dual_cndmask_b32 v114, v116, v114 :: v_dual_and_b32 v113, 7, v113
	s_delay_alu instid0(VALU_DEP_1) | instskip(NEXT) | instid1(VALU_DEP_2)
	v_cndmask_b32_e32 v15, v15, v113, vcc_lo
	v_lshl_add_u32 v113, v114, 23, 0x3b800000
	s_delay_alu instid0(VALU_DEP_2) | instskip(NEXT) | instid1(VALU_DEP_1)
	v_lshlrev_b32_e32 v15, 20, v15
	v_or3_b32 v15, v11, v113, v15
.LBB4_1812:                             ;   in Loop: Header=BB4_1589 Depth=2
	s_or_b32 exec_lo, exec_lo, s28
	s_delay_alu instid0(VALU_DEP_1) | instskip(SKIP_1) | instid1(VALU_DEP_1)
	v_max_f32_e32 v11, v15, v15
	v_max_f32_e32 v15, v115, v115
	v_min_f32_e32 v115, v15, v11
.LBB4_1813:                             ;   in Loop: Header=BB4_1589 Depth=2
	s_delay_alu instid0(VALU_DEP_1) | instskip(NEXT) | instid1(VALU_DEP_1)
	v_and_b32_e32 v11, 0x7f800000, v115
	v_cmp_ne_u32_e32 vcc_lo, 0x7f800000, v11
	v_mov_b32_e32 v11, 0x8000
	s_and_saveexec_b32 s28, vcc_lo
	s_cbranch_execz .LBB4_1821
; %bb.1814:                             ;   in Loop: Header=BB4_1589 Depth=2
	v_mov_b32_e32 v11, 0
	s_mov_b32 s29, exec_lo
	v_cmpx_ne_u32_e32 0, v115
	s_cbranch_execz .LBB4_1820
; %bb.1815:                             ;   in Loop: Header=BB4_1589 Depth=2
	v_bfe_u32 v11, v115, 23, 8
	v_and_b32_e32 v15, 0x7fffff, v115
	s_delay_alu instid0(VALU_DEP_2) | instskip(SKIP_1) | instid1(VALU_DEP_3)
	v_sub_nc_u32_e32 v113, 0x78, v11
	v_cmp_gt_u32_e32 vcc_lo, 0x79, v11
	v_or_b32_e32 v114, 0x800000, v15
	s_delay_alu instid0(VALU_DEP_3) | instskip(SKIP_2) | instid1(VALU_DEP_3)
	v_cndmask_b32_e32 v113, 0, v113, vcc_lo
	v_cmp_eq_u32_e32 vcc_lo, 0, v11
	v_add_nc_u32_e32 v11, 0xffffff89, v11
	v_cndmask_b32_e64 v113, v113, 0x77, vcc_lo
	v_cndmask_b32_e32 v15, v114, v15, vcc_lo
	s_delay_alu instid0(VALU_DEP_3) | instskip(NEXT) | instid1(VALU_DEP_3)
	v_cndmask_b32_e64 v11, v11, 0xffffff8a, vcc_lo
	v_lshl_add_u32 v114, 0x100000, v113, -1
	s_delay_alu instid0(VALU_DEP_3) | instskip(SKIP_1) | instid1(VALU_DEP_4)
	v_lshrrev_b32_e32 v116, v113, v15
	v_lshlrev_b32_e64 v118, v113, 0x80000
	v_add_nc_u32_e32 v113, v113, v11
	s_delay_alu instid0(VALU_DEP_4) | instskip(NEXT) | instid1(VALU_DEP_4)
	v_and_b32_e32 v15, v114, v15
	v_bfe_u32 v117, v116, 20, 1
	s_delay_alu instid0(VALU_DEP_2) | instskip(NEXT) | instid1(VALU_DEP_2)
	v_cmp_eq_u32_e64 s12, v15, v118
	v_add_nc_u32_e32 v114, -1, v117
	s_delay_alu instid0(VALU_DEP_1) | instskip(SKIP_2) | instid1(VALU_DEP_2)
	v_cndmask_b32_e64 v15, 0, v114, s12
	v_lshrrev_b32_e32 v114, 23, v116
	s_mov_b32 s12, exec_lo
	v_add_nc_u32_e32 v15, v15, v116
	s_delay_alu instid0(VALU_DEP_2) | instskip(NEXT) | instid1(VALU_DEP_2)
	v_xor_b32_e32 v114, 1, v114
	v_and_b32_e32 v11, 0xfffff, v15
	s_delay_alu instid0(VALU_DEP_1) | instskip(NEXT) | instid1(VALU_DEP_3)
	v_add_nc_u32_e32 v15, v11, v116
                                        ; implicit-def: $vgpr11
	v_cmpx_ne_u32_e64 v113, v114
	s_xor_b32 s12, exec_lo, s12
; %bb.1816:                             ;   in Loop: Header=BB4_1589 Depth=2
	s_delay_alu instid0(VALU_DEP_2) | instskip(SKIP_2) | instid1(VALU_DEP_2)
	v_cmp_lt_u32_e32 vcc_lo, 0xffffff, v15
	v_sub_nc_u32_e32 v11, v113, v114
	v_cndmask_b32_e64 v113, 0, 1, vcc_lo
	v_add_co_ci_u32_e32 v11, vcc_lo, 0, v11, vcc_lo
	s_delay_alu instid0(VALU_DEP_2)
	v_lshrrev_b32_e32 v15, v113, v15
; %bb.1817:                             ;   in Loop: Header=BB4_1589 Depth=2
	s_and_not1_saveexec_b32 s12, s12
; %bb.1818:                             ;   in Loop: Header=BB4_1589 Depth=2
	s_delay_alu instid0(VALU_DEP_1)
	v_bfe_u32 v11, v15, 23, 1
; %bb.1819:                             ;   in Loop: Header=BB4_1589 Depth=2
	s_or_b32 exec_lo, exec_lo, s12
	v_lshrrev_b32_e32 v15, 20, v15
	s_delay_alu instid0(VALU_DEP_2) | instskip(SKIP_2) | instid1(VALU_DEP_3)
	v_min_i32_e32 v113, 15, v11
	v_cmp_gt_i32_e32 vcc_lo, 16, v11
	v_lshrrev_b32_e32 v114, 24, v115
	v_lshlrev_b32_e32 v113, 3, v113
	s_delay_alu instid0(VALU_DEP_2) | instskip(NEXT) | instid1(VALU_DEP_2)
	v_dual_cndmask_b32 v15, 7, v15 :: v_dual_and_b32 v114, 0x80, v114
	v_and_b32_e32 v113, 0xf8, v113
	s_delay_alu instid0(VALU_DEP_2) | instskip(SKIP_1) | instid1(VALU_DEP_2)
	v_and_b32_e32 v115, 7, v15
	v_or_b32_e32 v11, v11, v15
	v_or3_b32 v113, v114, v113, v115
	s_delay_alu instid0(VALU_DEP_2) | instskip(NEXT) | instid1(VALU_DEP_2)
	v_cmp_ne_u32_e32 vcc_lo, 0, v11
	v_lshlrev_b32_e32 v15, 8, v113
	s_delay_alu instid0(VALU_DEP_1)
	v_cndmask_b32_e32 v11, 0, v15, vcc_lo
.LBB4_1820:                             ;   in Loop: Header=BB4_1589 Depth=2
	s_or_b32 exec_lo, exec_lo, s29
.LBB4_1821:                             ;   in Loop: Header=BB4_1589 Depth=2
	s_delay_alu instid0(SALU_CYCLE_1) | instskip(SKIP_2) | instid1(VALU_DEP_1)
	s_or_b32 exec_lo, exec_lo, s28
	v_and_b32_e32 v15, 0xff, v16
	s_and_b32 vcc_lo, exec_lo, s27
	v_cmp_lt_i16_e64 s12, 0x7f, v15
	s_cbranch_vccz .LBB4_1831
; %bb.1822:                             ;   in Loop: Header=BB4_1589 Depth=2
	s_mov_b32 s28, 0
                                        ; implicit-def: $sgpr29
	s_delay_alu instid0(VALU_DEP_1) | instskip(NEXT) | instid1(SALU_CYCLE_1)
	s_and_saveexec_b32 vcc_lo, s12
	s_xor_b32 s12, exec_lo, vcc_lo
	s_cbranch_execnz .LBB4_2179
; %bb.1823:                             ;   in Loop: Header=BB4_1589 Depth=2
	s_or_saveexec_b32 s12, s12
	v_mov_b32_e32 v113, s29
	s_xor_b32 exec_lo, exec_lo, s12
	s_cbranch_execnz .LBB4_2182
.LBB4_1824:                             ;   in Loop: Header=BB4_1589 Depth=2
	s_or_b32 exec_lo, exec_lo, s12
	s_and_saveexec_b32 s12, s28
	s_cbranch_execz .LBB4_1826
.LBB4_1825:                             ;   in Loop: Header=BB4_1589 Depth=2
	v_bfe_u32 v116, v16, 3, 4
	v_lshlrev_b32_e32 v117, 24, v16
	s_delay_alu instid0(VALU_DEP_2) | instskip(SKIP_1) | instid1(VALU_DEP_1)
	v_cmp_eq_u32_e32 vcc_lo, 0, v116
	v_and_b32_e32 v113, 7, v16
	v_clz_i32_u32_e32 v114, v113
	s_delay_alu instid0(VALU_DEP_1) | instskip(NEXT) | instid1(VALU_DEP_1)
	v_min_u32_e32 v114, 32, v114
	v_subrev_nc_u32_e32 v115, 28, v114
	v_sub_nc_u32_e32 v114, 29, v114
	s_delay_alu instid0(VALU_DEP_1) | instskip(NEXT) | instid1(VALU_DEP_1)
	v_dual_cndmask_b32 v114, v116, v114 :: v_dual_lshlrev_b32 v115, v115, v16
	v_and_b32_e32 v115, 7, v115
	s_delay_alu instid0(VALU_DEP_2) | instskip(NEXT) | instid1(VALU_DEP_2)
	v_lshl_add_u32 v114, v114, 23, 0x3b800000
	v_cndmask_b32_e32 v113, v113, v115, vcc_lo
	v_and_b32_e32 v115, 0x80000000, v117
	s_delay_alu instid0(VALU_DEP_2) | instskip(NEXT) | instid1(VALU_DEP_1)
	v_lshlrev_b32_e32 v113, 20, v113
	v_or3_b32 v113, v115, v114, v113
.LBB4_1826:                             ;   in Loop: Header=BB4_1589 Depth=2
	s_or_b32 exec_lo, exec_lo, s12
	v_and_b32_e32 v115, 0xff, v12
	s_mov_b32 s12, 0
	s_mov_b32 s29, exec_lo
                                        ; implicit-def: $sgpr28
	s_delay_alu instid0(VALU_DEP_1)
	v_cmpx_lt_i16_e32 0x7f, v115
	s_xor_b32 s29, exec_lo, s29
	s_cbranch_execnz .LBB4_2183
; %bb.1827:                             ;   in Loop: Header=BB4_1589 Depth=2
	s_or_saveexec_b32 s29, s29
	v_mov_b32_e32 v114, s28
	s_xor_b32 exec_lo, exec_lo, s29
	s_cbranch_execnz .LBB4_2186
.LBB4_1828:                             ;   in Loop: Header=BB4_1589 Depth=2
	s_or_b32 exec_lo, exec_lo, s29
	s_and_saveexec_b32 s28, s12
	s_cbranch_execz .LBB4_1830
.LBB4_1829:                             ;   in Loop: Header=BB4_1589 Depth=2
	v_bfe_u32 v117, v12, 3, 4
	v_lshlrev_b32_e32 v118, 24, v12
	s_delay_alu instid0(VALU_DEP_2) | instskip(SKIP_1) | instid1(VALU_DEP_1)
	v_cmp_eq_u32_e32 vcc_lo, 0, v117
	v_and_b32_e32 v114, 7, v12
	v_clz_i32_u32_e32 v115, v114
	s_delay_alu instid0(VALU_DEP_1) | instskip(NEXT) | instid1(VALU_DEP_1)
	v_min_u32_e32 v115, 32, v115
	v_subrev_nc_u32_e32 v116, 28, v115
	v_sub_nc_u32_e32 v115, 29, v115
	s_delay_alu instid0(VALU_DEP_1) | instskip(NEXT) | instid1(VALU_DEP_1)
	v_dual_cndmask_b32 v115, v117, v115 :: v_dual_lshlrev_b32 v116, v116, v12
	v_and_b32_e32 v116, 7, v116
	s_delay_alu instid0(VALU_DEP_2) | instskip(NEXT) | instid1(VALU_DEP_2)
	v_lshl_add_u32 v115, v115, 23, 0x3b800000
	v_cndmask_b32_e32 v114, v114, v116, vcc_lo
	v_and_b32_e32 v116, 0x80000000, v118
	s_delay_alu instid0(VALU_DEP_2) | instskip(NEXT) | instid1(VALU_DEP_1)
	v_lshlrev_b32_e32 v114, 20, v114
	v_or3_b32 v114, v116, v115, v114
.LBB4_1830:                             ;   in Loop: Header=BB4_1589 Depth=2
	s_or_b32 exec_lo, exec_lo, s28
	s_delay_alu instid0(VALU_DEP_1) | instskip(SKIP_1) | instid1(VALU_DEP_1)
	v_dual_max_f32 v114, v114, v114 :: v_dual_max_f32 v113, v113, v113
	s_mov_b32 s12, 0
	v_max_f32_e32 v113, v113, v114
	s_branch .LBB4_1832
.LBB4_1831:                             ;   in Loop: Header=BB4_1589 Depth=2
	s_mov_b32 s12, -1
                                        ; implicit-def: $vgpr113
.LBB4_1832:                             ;   in Loop: Header=BB4_1589 Depth=2
	s_delay_alu instid0(SALU_CYCLE_1)
	s_and_b32 vcc_lo, exec_lo, s12
	s_cbranch_vccz .LBB4_1842
; %bb.1833:                             ;   in Loop: Header=BB4_1589 Depth=2
	s_mov_b32 s12, 0
	s_mov_b32 s29, exec_lo
                                        ; implicit-def: $sgpr28
	v_cmpx_lt_i16_e32 0x7f, v15
	s_xor_b32 s29, exec_lo, s29
	s_cbranch_execnz .LBB4_2187
; %bb.1834:                             ;   in Loop: Header=BB4_1589 Depth=2
	s_or_saveexec_b32 s29, s29
	v_mov_b32_e32 v113, s28
	s_xor_b32 exec_lo, exec_lo, s29
	s_cbranch_execnz .LBB4_2190
.LBB4_1835:                             ;   in Loop: Header=BB4_1589 Depth=2
	s_or_b32 exec_lo, exec_lo, s29
	s_and_saveexec_b32 s28, s12
	s_cbranch_execz .LBB4_1837
.LBB4_1836:                             ;   in Loop: Header=BB4_1589 Depth=2
	v_and_b32_e32 v15, 7, v16
	v_bfe_u32 v115, v16, 3, 4
	s_delay_alu instid0(VALU_DEP_2) | instskip(NEXT) | instid1(VALU_DEP_2)
	v_clz_i32_u32_e32 v113, v15
	v_cmp_eq_u32_e32 vcc_lo, 0, v115
	s_delay_alu instid0(VALU_DEP_2) | instskip(NEXT) | instid1(VALU_DEP_1)
	v_min_u32_e32 v113, 32, v113
	v_subrev_nc_u32_e32 v114, 28, v113
	v_sub_nc_u32_e32 v113, 29, v113
	s_delay_alu instid0(VALU_DEP_1) | instskip(NEXT) | instid1(VALU_DEP_1)
	v_dual_cndmask_b32 v113, v115, v113 :: v_dual_lshlrev_b32 v114, v114, v16
	v_and_b32_e32 v114, 7, v114
	v_lshlrev_b32_e32 v116, 24, v16
	s_delay_alu instid0(VALU_DEP_3) | instskip(NEXT) | instid1(VALU_DEP_2)
	v_lshl_add_u32 v113, v113, 23, 0x3b800000
	v_dual_cndmask_b32 v15, v15, v114 :: v_dual_and_b32 v114, 0x80000000, v116
	s_delay_alu instid0(VALU_DEP_1) | instskip(NEXT) | instid1(VALU_DEP_1)
	v_lshlrev_b32_e32 v15, 20, v15
	v_or3_b32 v113, v114, v113, v15
.LBB4_1837:                             ;   in Loop: Header=BB4_1589 Depth=2
	s_or_b32 exec_lo, exec_lo, s28
	v_and_b32_e32 v114, 0xff, v12
	s_mov_b32 s12, 0
	s_mov_b32 s29, exec_lo
                                        ; implicit-def: $sgpr28
	s_delay_alu instid0(VALU_DEP_1)
	v_cmpx_lt_i16_e32 0x7f, v114
	s_xor_b32 s29, exec_lo, s29
	s_cbranch_execnz .LBB4_2191
; %bb.1838:                             ;   in Loop: Header=BB4_1589 Depth=2
	s_or_saveexec_b32 s29, s29
	v_mov_b32_e32 v15, s28
	s_xor_b32 exec_lo, exec_lo, s29
	s_cbranch_execnz .LBB4_2194
.LBB4_1839:                             ;   in Loop: Header=BB4_1589 Depth=2
	s_or_b32 exec_lo, exec_lo, s29
	s_and_saveexec_b32 s28, s12
	s_cbranch_execz .LBB4_1841
.LBB4_1840:                             ;   in Loop: Header=BB4_1589 Depth=2
	v_bfe_u32 v116, v12, 3, 4
	v_lshlrev_b32_e32 v117, 24, v12
	s_delay_alu instid0(VALU_DEP_2) | instskip(SKIP_1) | instid1(VALU_DEP_1)
	v_cmp_eq_u32_e32 vcc_lo, 0, v116
	v_and_b32_e32 v15, 7, v12
	v_clz_i32_u32_e32 v114, v15
	s_delay_alu instid0(VALU_DEP_1) | instskip(NEXT) | instid1(VALU_DEP_1)
	v_min_u32_e32 v114, 32, v114
	v_subrev_nc_u32_e32 v115, 28, v114
	v_sub_nc_u32_e32 v114, 29, v114
	s_delay_alu instid0(VALU_DEP_1) | instskip(NEXT) | instid1(VALU_DEP_1)
	v_dual_cndmask_b32 v114, v116, v114 :: v_dual_lshlrev_b32 v115, v115, v12
	v_and_b32_e32 v115, 7, v115
	s_delay_alu instid0(VALU_DEP_2) | instskip(NEXT) | instid1(VALU_DEP_2)
	v_lshl_add_u32 v114, v114, 23, 0x3b800000
	v_cndmask_b32_e32 v15, v15, v115, vcc_lo
	v_and_b32_e32 v115, 0x80000000, v117
	s_delay_alu instid0(VALU_DEP_2) | instskip(NEXT) | instid1(VALU_DEP_1)
	v_lshlrev_b32_e32 v15, 20, v15
	v_or3_b32 v15, v115, v114, v15
.LBB4_1841:                             ;   in Loop: Header=BB4_1589 Depth=2
	s_or_b32 exec_lo, exec_lo, s28
	s_delay_alu instid0(VALU_DEP_1) | instskip(SKIP_1) | instid1(VALU_DEP_1)
	v_max_f32_e32 v15, v15, v15
	v_max_f32_e32 v113, v113, v113
	v_min_f32_e32 v113, v113, v15
.LBB4_1842:                             ;   in Loop: Header=BB4_1589 Depth=2
	s_delay_alu instid0(VALU_DEP_1) | instskip(NEXT) | instid1(VALU_DEP_1)
	v_and_b32_e32 v15, 0x7f800000, v113
	v_cmp_ne_u32_e32 vcc_lo, 0x7f800000, v15
	v_mov_b32_e32 v15, 0x80
	s_and_saveexec_b32 s28, vcc_lo
	s_cbranch_execz .LBB4_1850
; %bb.1843:                             ;   in Loop: Header=BB4_1589 Depth=2
	v_mov_b32_e32 v15, 0
	s_mov_b32 s29, exec_lo
	v_cmpx_ne_u32_e32 0, v113
	s_cbranch_execz .LBB4_1849
; %bb.1844:                             ;   in Loop: Header=BB4_1589 Depth=2
	v_bfe_u32 v15, v113, 23, 8
	s_delay_alu instid0(VALU_DEP_1) | instskip(SKIP_1) | instid1(VALU_DEP_2)
	v_sub_nc_u32_e32 v115, 0x78, v15
	v_cmp_gt_u32_e32 vcc_lo, 0x79, v15
	v_dual_cndmask_b32 v115, 0, v115 :: v_dual_and_b32 v114, 0x7fffff, v113
	s_delay_alu instid0(VALU_DEP_1) | instskip(SKIP_2) | instid1(VALU_DEP_4)
	v_or_b32_e32 v116, 0x800000, v114
	v_cmp_eq_u32_e32 vcc_lo, 0, v15
	v_add_nc_u32_e32 v15, 0xffffff89, v15
	v_cndmask_b32_e64 v115, v115, 0x77, vcc_lo
	s_delay_alu instid0(VALU_DEP_4) | instskip(NEXT) | instid1(VALU_DEP_3)
	v_cndmask_b32_e32 v114, v116, v114, vcc_lo
	v_cndmask_b32_e64 v15, v15, 0xffffff8a, vcc_lo
	s_delay_alu instid0(VALU_DEP_3) | instskip(NEXT) | instid1(VALU_DEP_3)
	v_lshl_add_u32 v116, 0x100000, v115, -1
	v_lshrrev_b32_e32 v117, v115, v114
	v_lshlrev_b32_e64 v119, v115, 0x80000
	s_delay_alu instid0(VALU_DEP_4) | instskip(NEXT) | instid1(VALU_DEP_4)
	v_add_nc_u32_e32 v115, v115, v15
	v_and_b32_e32 v114, v116, v114
	s_delay_alu instid0(VALU_DEP_4) | instskip(NEXT) | instid1(VALU_DEP_2)
	v_bfe_u32 v118, v117, 20, 1
	v_cmp_eq_u32_e64 s12, v114, v119
	s_delay_alu instid0(VALU_DEP_2) | instskip(NEXT) | instid1(VALU_DEP_1)
	v_add_nc_u32_e32 v116, -1, v118
	v_cndmask_b32_e64 v114, 0, v116, s12
	v_lshrrev_b32_e32 v116, 23, v117
	s_mov_b32 s12, exec_lo
	s_delay_alu instid0(VALU_DEP_2) | instskip(NEXT) | instid1(VALU_DEP_2)
	v_add_nc_u32_e32 v114, v114, v117
	v_xor_b32_e32 v116, 1, v116
	s_delay_alu instid0(VALU_DEP_2) | instskip(NEXT) | instid1(VALU_DEP_1)
	v_and_b32_e32 v15, 0xfffff, v114
	v_add_nc_u32_e32 v114, v15, v117
                                        ; implicit-def: $vgpr15
	s_delay_alu instid0(VALU_DEP_3)
	v_cmpx_ne_u32_e64 v115, v116
	s_xor_b32 s12, exec_lo, s12
; %bb.1845:                             ;   in Loop: Header=BB4_1589 Depth=2
	s_delay_alu instid0(VALU_DEP_2) | instskip(SKIP_2) | instid1(VALU_DEP_2)
	v_cmp_lt_u32_e32 vcc_lo, 0xffffff, v114
	v_sub_nc_u32_e32 v15, v115, v116
	v_cndmask_b32_e64 v115, 0, 1, vcc_lo
	v_add_co_ci_u32_e32 v15, vcc_lo, 0, v15, vcc_lo
	s_delay_alu instid0(VALU_DEP_2)
	v_lshrrev_b32_e32 v114, v115, v114
; %bb.1846:                             ;   in Loop: Header=BB4_1589 Depth=2
	s_and_not1_saveexec_b32 s12, s12
; %bb.1847:                             ;   in Loop: Header=BB4_1589 Depth=2
	s_delay_alu instid0(VALU_DEP_1)
	v_bfe_u32 v15, v114, 23, 1
; %bb.1848:                             ;   in Loop: Header=BB4_1589 Depth=2
	s_or_b32 exec_lo, exec_lo, s12
	v_lshrrev_b32_e32 v114, 20, v114
	s_delay_alu instid0(VALU_DEP_2) | instskip(SKIP_2) | instid1(VALU_DEP_2)
	v_cmp_gt_i32_e32 vcc_lo, 16, v15
	v_lshrrev_b32_e32 v113, 24, v113
	v_min_i32_e32 v115, 15, v15
	v_dual_cndmask_b32 v114, 7, v114 :: v_dual_and_b32 v113, 0x80, v113
	s_delay_alu instid0(VALU_DEP_2) | instskip(NEXT) | instid1(VALU_DEP_2)
	v_lshlrev_b32_e32 v115, 3, v115
	v_or_b32_e32 v15, v15, v114
	s_delay_alu instid0(VALU_DEP_1) | instskip(SKIP_1) | instid1(VALU_DEP_1)
	v_cmp_ne_u32_e32 vcc_lo, 0, v15
	v_and_b32_e32 v116, 7, v114
	v_or3_b32 v113, v115, v113, v116
	s_delay_alu instid0(VALU_DEP_1)
	v_cndmask_b32_e32 v15, 0, v113, vcc_lo
.LBB4_1849:                             ;   in Loop: Header=BB4_1589 Depth=2
	s_or_b32 exec_lo, exec_lo, s29
.LBB4_1850:                             ;   in Loop: Header=BB4_1589 Depth=2
	s_delay_alu instid0(SALU_CYCLE_1) | instskip(SKIP_3) | instid1(VALU_DEP_2)
	s_or_b32 exec_lo, exec_lo, s28
	v_lshrrev_b16 v114, 8, v16
	v_lshrrev_b16 v113, 8, v12
	s_and_b32 vcc_lo, exec_lo, s27
	v_cmp_lt_i16_e64 s12, 0x7f, v114
	s_cbranch_vccz .LBB4_1860
; %bb.1851:                             ;   in Loop: Header=BB4_1589 Depth=2
	s_mov_b32 s28, 0
                                        ; implicit-def: $sgpr29
	s_delay_alu instid0(VALU_DEP_1) | instskip(NEXT) | instid1(SALU_CYCLE_1)
	s_and_saveexec_b32 vcc_lo, s12
	s_xor_b32 s12, exec_lo, vcc_lo
	s_cbranch_execnz .LBB4_2195
; %bb.1852:                             ;   in Loop: Header=BB4_1589 Depth=2
	s_or_saveexec_b32 s12, s12
	v_mov_b32_e32 v115, s29
	s_xor_b32 exec_lo, exec_lo, s12
	s_cbranch_execnz .LBB4_2198
.LBB4_1853:                             ;   in Loop: Header=BB4_1589 Depth=2
	s_or_b32 exec_lo, exec_lo, s12
	s_and_saveexec_b32 s12, s28
	s_cbranch_execz .LBB4_1855
.LBB4_1854:                             ;   in Loop: Header=BB4_1589 Depth=2
	v_and_b32_e32 v115, 0xffff, v114
	s_delay_alu instid0(VALU_DEP_1) | instskip(NEXT) | instid1(VALU_DEP_1)
	v_and_b32_e32 v116, 7, v115
	v_clz_i32_u32_e32 v117, v116
	s_delay_alu instid0(VALU_DEP_1) | instskip(NEXT) | instid1(VALU_DEP_1)
	v_min_u32_e32 v117, 32, v117
	v_subrev_nc_u32_e32 v118, 28, v117
	v_sub_nc_u32_e32 v117, 29, v117
	s_delay_alu instid0(VALU_DEP_2) | instskip(SKIP_1) | instid1(VALU_DEP_2)
	v_lshlrev_b32_e32 v118, v118, v115
	v_bfe_u32 v115, v115, 3, 4
	v_and_b32_e32 v118, 7, v118
	s_delay_alu instid0(VALU_DEP_2) | instskip(SKIP_1) | instid1(VALU_DEP_3)
	v_cmp_eq_u32_e32 vcc_lo, 0, v115
	v_cndmask_b32_e32 v115, v115, v117, vcc_lo
	v_dual_cndmask_b32 v116, v116, v118 :: v_dual_lshlrev_b32 v119, 16, v16
	s_delay_alu instid0(VALU_DEP_2) | instskip(NEXT) | instid1(VALU_DEP_2)
	v_lshl_add_u32 v115, v115, 23, 0x3b800000
	v_and_b32_e32 v117, 0x80000000, v119
	s_delay_alu instid0(VALU_DEP_3) | instskip(NEXT) | instid1(VALU_DEP_1)
	v_lshlrev_b32_e32 v116, 20, v116
	v_or3_b32 v115, v117, v115, v116
.LBB4_1855:                             ;   in Loop: Header=BB4_1589 Depth=2
	s_or_b32 exec_lo, exec_lo, s12
	s_mov_b32 s12, 0
	s_mov_b32 s29, exec_lo
                                        ; implicit-def: $sgpr28
	v_cmpx_lt_i16_e32 0x7f, v113
	s_xor_b32 s29, exec_lo, s29
	s_cbranch_execnz .LBB4_2199
; %bb.1856:                             ;   in Loop: Header=BB4_1589 Depth=2
	s_or_saveexec_b32 s29, s29
	v_mov_b32_e32 v116, s28
	s_xor_b32 exec_lo, exec_lo, s29
	s_cbranch_execnz .LBB4_2202
.LBB4_1857:                             ;   in Loop: Header=BB4_1589 Depth=2
	s_or_b32 exec_lo, exec_lo, s29
	s_and_saveexec_b32 s28, s12
	s_cbranch_execz .LBB4_1859
.LBB4_1858:                             ;   in Loop: Header=BB4_1589 Depth=2
	v_and_b32_e32 v116, 0xffff, v113
	v_lshlrev_b32_e32 v128, 16, v12
	s_delay_alu instid0(VALU_DEP_2) | instskip(NEXT) | instid1(VALU_DEP_1)
	v_and_b32_e32 v117, 7, v116
	v_clz_i32_u32_e32 v118, v117
	s_delay_alu instid0(VALU_DEP_1) | instskip(NEXT) | instid1(VALU_DEP_1)
	v_min_u32_e32 v118, 32, v118
	v_subrev_nc_u32_e32 v119, 28, v118
	v_sub_nc_u32_e32 v118, 29, v118
	s_delay_alu instid0(VALU_DEP_2) | instskip(SKIP_1) | instid1(VALU_DEP_2)
	v_lshlrev_b32_e32 v119, v119, v116
	v_bfe_u32 v116, v116, 3, 4
	v_and_b32_e32 v119, 7, v119
	s_delay_alu instid0(VALU_DEP_2) | instskip(NEXT) | instid1(VALU_DEP_2)
	v_cmp_eq_u32_e32 vcc_lo, 0, v116
	v_dual_cndmask_b32 v116, v116, v118 :: v_dual_cndmask_b32 v117, v117, v119
	v_and_b32_e32 v118, 0x80000000, v128
	s_delay_alu instid0(VALU_DEP_2) | instskip(NEXT) | instid1(VALU_DEP_3)
	v_lshl_add_u32 v116, v116, 23, 0x3b800000
	v_lshlrev_b32_e32 v117, 20, v117
	s_delay_alu instid0(VALU_DEP_1)
	v_or3_b32 v116, v118, v116, v117
.LBB4_1859:                             ;   in Loop: Header=BB4_1589 Depth=2
	s_or_b32 exec_lo, exec_lo, s28
	s_delay_alu instid0(VALU_DEP_1) | instskip(SKIP_1) | instid1(VALU_DEP_1)
	v_dual_max_f32 v116, v116, v116 :: v_dual_max_f32 v115, v115, v115
	s_mov_b32 s12, 0
	v_max_f32_e32 v115, v115, v116
	s_branch .LBB4_1861
.LBB4_1860:                             ;   in Loop: Header=BB4_1589 Depth=2
	s_mov_b32 s12, -1
                                        ; implicit-def: $vgpr115
.LBB4_1861:                             ;   in Loop: Header=BB4_1589 Depth=2
	s_delay_alu instid0(SALU_CYCLE_1)
	s_and_b32 vcc_lo, exec_lo, s12
	s_cbranch_vccz .LBB4_1871
; %bb.1862:                             ;   in Loop: Header=BB4_1589 Depth=2
	s_mov_b32 s12, 0
	s_mov_b32 s29, exec_lo
                                        ; implicit-def: $sgpr28
	v_cmpx_lt_i16_e32 0x7f, v114
	s_xor_b32 s29, exec_lo, s29
	s_cbranch_execnz .LBB4_2203
; %bb.1863:                             ;   in Loop: Header=BB4_1589 Depth=2
	s_or_saveexec_b32 s29, s29
	v_mov_b32_e32 v115, s28
	s_xor_b32 exec_lo, exec_lo, s29
	s_cbranch_execnz .LBB4_2206
.LBB4_1864:                             ;   in Loop: Header=BB4_1589 Depth=2
	s_or_b32 exec_lo, exec_lo, s29
	s_and_saveexec_b32 s28, s12
	s_cbranch_execz .LBB4_1866
.LBB4_1865:                             ;   in Loop: Header=BB4_1589 Depth=2
	v_and_b32_e32 v114, 0xffff, v114
	v_lshlrev_b32_e32 v118, 16, v16
	s_delay_alu instid0(VALU_DEP_2) | instskip(NEXT) | instid1(VALU_DEP_1)
	v_and_b32_e32 v115, 7, v114
	v_clz_i32_u32_e32 v116, v115
	s_delay_alu instid0(VALU_DEP_1) | instskip(NEXT) | instid1(VALU_DEP_1)
	v_min_u32_e32 v116, 32, v116
	v_subrev_nc_u32_e32 v117, 28, v116
	v_sub_nc_u32_e32 v116, 29, v116
	s_delay_alu instid0(VALU_DEP_2) | instskip(SKIP_1) | instid1(VALU_DEP_2)
	v_lshlrev_b32_e32 v117, v117, v114
	v_bfe_u32 v114, v114, 3, 4
	v_and_b32_e32 v117, 7, v117
	s_delay_alu instid0(VALU_DEP_2) | instskip(NEXT) | instid1(VALU_DEP_2)
	v_cmp_eq_u32_e32 vcc_lo, 0, v114
	v_dual_cndmask_b32 v114, v114, v116 :: v_dual_cndmask_b32 v115, v115, v117
	v_and_b32_e32 v116, 0x80000000, v118
	s_delay_alu instid0(VALU_DEP_2) | instskip(NEXT) | instid1(VALU_DEP_3)
	v_lshl_add_u32 v114, v114, 23, 0x3b800000
	v_lshlrev_b32_e32 v115, 20, v115
	s_delay_alu instid0(VALU_DEP_1)
	v_or3_b32 v115, v116, v114, v115
.LBB4_1866:                             ;   in Loop: Header=BB4_1589 Depth=2
	s_or_b32 exec_lo, exec_lo, s28
	s_mov_b32 s12, 0
	s_mov_b32 s29, exec_lo
                                        ; implicit-def: $sgpr28
	v_cmpx_lt_i16_e32 0x7f, v113
	s_xor_b32 s29, exec_lo, s29
	s_cbranch_execnz .LBB4_2207
; %bb.1867:                             ;   in Loop: Header=BB4_1589 Depth=2
	s_or_saveexec_b32 s29, s29
	v_mov_b32_e32 v114, s28
	s_xor_b32 exec_lo, exec_lo, s29
	s_cbranch_execnz .LBB4_2210
.LBB4_1868:                             ;   in Loop: Header=BB4_1589 Depth=2
	s_or_b32 exec_lo, exec_lo, s29
	s_and_saveexec_b32 s28, s12
	s_cbranch_execz .LBB4_1870
.LBB4_1869:                             ;   in Loop: Header=BB4_1589 Depth=2
	v_and_b32_e32 v113, 0xffff, v113
	v_lshlrev_b32_e32 v118, 16, v12
	s_delay_alu instid0(VALU_DEP_2) | instskip(NEXT) | instid1(VALU_DEP_1)
	v_and_b32_e32 v114, 7, v113
	v_clz_i32_u32_e32 v116, v114
	s_delay_alu instid0(VALU_DEP_1) | instskip(NEXT) | instid1(VALU_DEP_1)
	v_min_u32_e32 v116, 32, v116
	v_subrev_nc_u32_e32 v117, 28, v116
	v_sub_nc_u32_e32 v116, 29, v116
	s_delay_alu instid0(VALU_DEP_2) | instskip(SKIP_1) | instid1(VALU_DEP_2)
	v_lshlrev_b32_e32 v117, v117, v113
	v_bfe_u32 v113, v113, 3, 4
	v_and_b32_e32 v117, 7, v117
	s_delay_alu instid0(VALU_DEP_2) | instskip(NEXT) | instid1(VALU_DEP_2)
	v_cmp_eq_u32_e32 vcc_lo, 0, v113
	v_dual_cndmask_b32 v113, v113, v116 :: v_dual_cndmask_b32 v114, v114, v117
	v_and_b32_e32 v116, 0x80000000, v118
	s_delay_alu instid0(VALU_DEP_2) | instskip(NEXT) | instid1(VALU_DEP_3)
	v_lshl_add_u32 v113, v113, 23, 0x3b800000
	v_lshlrev_b32_e32 v114, 20, v114
	s_delay_alu instid0(VALU_DEP_1)
	v_or3_b32 v114, v116, v113, v114
.LBB4_1870:                             ;   in Loop: Header=BB4_1589 Depth=2
	s_or_b32 exec_lo, exec_lo, s28
	s_delay_alu instid0(VALU_DEP_1) | instskip(NEXT) | instid1(VALU_DEP_1)
	v_dual_max_f32 v113, v114, v114 :: v_dual_max_f32 v114, v115, v115
	v_min_f32_e32 v115, v114, v113
.LBB4_1871:                             ;   in Loop: Header=BB4_1589 Depth=2
	s_delay_alu instid0(VALU_DEP_1) | instskip(NEXT) | instid1(VALU_DEP_1)
	v_and_b32_e32 v113, 0x7f800000, v115
	v_cmp_ne_u32_e32 vcc_lo, 0x7f800000, v113
	v_mov_b32_e32 v113, 0x80
	s_and_saveexec_b32 s28, vcc_lo
	s_cbranch_execz .LBB4_1879
; %bb.1872:                             ;   in Loop: Header=BB4_1589 Depth=2
	v_mov_b32_e32 v113, 0
	s_mov_b32 s29, exec_lo
	v_cmpx_ne_u32_e32 0, v115
	s_cbranch_execz .LBB4_1878
; %bb.1873:                             ;   in Loop: Header=BB4_1589 Depth=2
	v_bfe_u32 v113, v115, 23, 8
	v_and_b32_e32 v114, 0x7fffff, v115
	s_delay_alu instid0(VALU_DEP_2) | instskip(SKIP_1) | instid1(VALU_DEP_3)
	v_sub_nc_u32_e32 v116, 0x78, v113
	v_cmp_gt_u32_e32 vcc_lo, 0x79, v113
	v_or_b32_e32 v117, 0x800000, v114
	s_delay_alu instid0(VALU_DEP_3) | instskip(SKIP_2) | instid1(VALU_DEP_3)
	v_cndmask_b32_e32 v116, 0, v116, vcc_lo
	v_cmp_eq_u32_e32 vcc_lo, 0, v113
	v_add_nc_u32_e32 v113, 0xffffff89, v113
	v_cndmask_b32_e64 v116, v116, 0x77, vcc_lo
	v_cndmask_b32_e32 v114, v117, v114, vcc_lo
	s_delay_alu instid0(VALU_DEP_3) | instskip(NEXT) | instid1(VALU_DEP_3)
	v_cndmask_b32_e64 v113, v113, 0xffffff8a, vcc_lo
	v_lshl_add_u32 v117, 0x100000, v116, -1
	s_delay_alu instid0(VALU_DEP_3) | instskip(SKIP_1) | instid1(VALU_DEP_4)
	v_lshrrev_b32_e32 v118, v116, v114
	v_lshlrev_b32_e64 v128, v116, 0x80000
	v_add_nc_u32_e32 v116, v116, v113
	s_delay_alu instid0(VALU_DEP_4) | instskip(NEXT) | instid1(VALU_DEP_4)
	v_and_b32_e32 v114, v117, v114
	v_bfe_u32 v119, v118, 20, 1
	s_delay_alu instid0(VALU_DEP_2) | instskip(NEXT) | instid1(VALU_DEP_2)
	v_cmp_eq_u32_e64 s12, v114, v128
	v_add_nc_u32_e32 v117, -1, v119
	s_delay_alu instid0(VALU_DEP_1) | instskip(SKIP_2) | instid1(VALU_DEP_2)
	v_cndmask_b32_e64 v114, 0, v117, s12
	v_lshrrev_b32_e32 v117, 23, v118
	s_mov_b32 s12, exec_lo
	v_add_nc_u32_e32 v114, v114, v118
	s_delay_alu instid0(VALU_DEP_2) | instskip(NEXT) | instid1(VALU_DEP_2)
	v_xor_b32_e32 v117, 1, v117
	v_and_b32_e32 v113, 0xfffff, v114
	s_delay_alu instid0(VALU_DEP_1) | instskip(NEXT) | instid1(VALU_DEP_3)
	v_add_nc_u32_e32 v114, v113, v118
                                        ; implicit-def: $vgpr113
	v_cmpx_ne_u32_e64 v116, v117
	s_xor_b32 s12, exec_lo, s12
; %bb.1874:                             ;   in Loop: Header=BB4_1589 Depth=2
	s_delay_alu instid0(VALU_DEP_2) | instskip(SKIP_2) | instid1(VALU_DEP_2)
	v_cmp_lt_u32_e32 vcc_lo, 0xffffff, v114
	v_sub_nc_u32_e32 v113, v116, v117
	v_cndmask_b32_e64 v116, 0, 1, vcc_lo
	v_add_co_ci_u32_e32 v113, vcc_lo, 0, v113, vcc_lo
	s_delay_alu instid0(VALU_DEP_2)
	v_lshrrev_b32_e32 v114, v116, v114
; %bb.1875:                             ;   in Loop: Header=BB4_1589 Depth=2
	s_and_not1_saveexec_b32 s12, s12
; %bb.1876:                             ;   in Loop: Header=BB4_1589 Depth=2
	s_delay_alu instid0(VALU_DEP_1)
	v_bfe_u32 v113, v114, 23, 1
; %bb.1877:                             ;   in Loop: Header=BB4_1589 Depth=2
	s_or_b32 exec_lo, exec_lo, s12
	v_lshrrev_b32_e32 v114, 20, v114
	s_delay_alu instid0(VALU_DEP_2) | instskip(SKIP_2) | instid1(VALU_DEP_2)
	v_cmp_gt_i32_e32 vcc_lo, 16, v113
	v_lshrrev_b32_e32 v115, 24, v115
	v_min_i32_e32 v116, 15, v113
	v_dual_cndmask_b32 v114, 7, v114 :: v_dual_and_b32 v115, 0x80, v115
	s_delay_alu instid0(VALU_DEP_1) | instskip(SKIP_1) | instid1(VALU_DEP_2)
	v_or_b32_e32 v113, v113, v114
	v_and_b32_e32 v117, 7, v114
	v_cmp_ne_u32_e32 vcc_lo, 0, v113
	v_lshlrev_b32_e32 v116, 3, v116
	s_delay_alu instid0(VALU_DEP_1) | instskip(NEXT) | instid1(VALU_DEP_1)
	v_or3_b32 v114, v116, v115, v117
	v_cndmask_b32_e32 v113, 0, v114, vcc_lo
.LBB4_1878:                             ;   in Loop: Header=BB4_1589 Depth=2
	s_or_b32 exec_lo, exec_lo, s29
.LBB4_1879:                             ;   in Loop: Header=BB4_1589 Depth=2
	s_delay_alu instid0(SALU_CYCLE_1) | instskip(SKIP_3) | instid1(VALU_DEP_2)
	s_or_b32 exec_lo, exec_lo, s28
	v_lshrrev_b32_e32 v115, 16, v16
	v_lshrrev_b32_e32 v114, 16, v12
	s_and_b32 vcc_lo, exec_lo, s27
	v_and_b32_e32 v116, 0xff, v115
	s_delay_alu instid0(VALU_DEP_1)
	v_cmp_lt_i16_e64 s12, 0x7f, v116
	s_cbranch_vccz .LBB4_1889
; %bb.1880:                             ;   in Loop: Header=BB4_1589 Depth=2
	s_mov_b32 s28, 0
                                        ; implicit-def: $sgpr29
	s_delay_alu instid0(VALU_DEP_1) | instskip(NEXT) | instid1(SALU_CYCLE_1)
	s_and_saveexec_b32 vcc_lo, s12
	s_xor_b32 s12, exec_lo, vcc_lo
	s_cbranch_execnz .LBB4_2211
; %bb.1881:                             ;   in Loop: Header=BB4_1589 Depth=2
	s_or_saveexec_b32 s12, s12
	v_mov_b32_e32 v117, s29
	s_xor_b32 exec_lo, exec_lo, s12
	s_cbranch_execnz .LBB4_2214
.LBB4_1882:                             ;   in Loop: Header=BB4_1589 Depth=2
	s_or_b32 exec_lo, exec_lo, s12
	s_and_saveexec_b32 s12, s28
	s_cbranch_execz .LBB4_1884
.LBB4_1883:                             ;   in Loop: Header=BB4_1589 Depth=2
	v_bfe_u32 v117, v16, 16, 3
	v_bfe_u32 v128, v16, 19, 4
	v_lshlrev_b32_e32 v129, 24, v115
	s_delay_alu instid0(VALU_DEP_3) | instskip(NEXT) | instid1(VALU_DEP_3)
	v_clz_i32_u32_e32 v118, v117
	v_cmp_eq_u32_e32 vcc_lo, 0, v128
	s_delay_alu instid0(VALU_DEP_2) | instskip(NEXT) | instid1(VALU_DEP_1)
	v_min_u32_e32 v118, 32, v118
	v_subrev_nc_u32_e32 v119, 28, v118
	v_sub_nc_u32_e32 v118, 29, v118
	s_delay_alu instid0(VALU_DEP_1) | instskip(NEXT) | instid1(VALU_DEP_1)
	v_dual_cndmask_b32 v118, v128, v118 :: v_dual_lshlrev_b32 v119, v119, v115
	v_and_b32_e32 v119, 7, v119
	s_delay_alu instid0(VALU_DEP_2) | instskip(NEXT) | instid1(VALU_DEP_2)
	v_lshl_add_u32 v118, v118, 23, 0x3b800000
	v_cndmask_b32_e32 v117, v117, v119, vcc_lo
	v_and_b32_e32 v119, 0x80000000, v129
	s_delay_alu instid0(VALU_DEP_2) | instskip(NEXT) | instid1(VALU_DEP_1)
	v_lshlrev_b32_e32 v117, 20, v117
	v_or3_b32 v117, v119, v118, v117
.LBB4_1884:                             ;   in Loop: Header=BB4_1589 Depth=2
	s_or_b32 exec_lo, exec_lo, s12
	v_and_b32_e32 v119, 0xff, v114
	s_mov_b32 s12, 0
	s_mov_b32 s29, exec_lo
                                        ; implicit-def: $sgpr28
	s_delay_alu instid0(VALU_DEP_1)
	v_cmpx_lt_i16_e32 0x7f, v119
	s_xor_b32 s29, exec_lo, s29
	s_cbranch_execnz .LBB4_2215
; %bb.1885:                             ;   in Loop: Header=BB4_1589 Depth=2
	s_or_saveexec_b32 s29, s29
	v_mov_b32_e32 v118, s28
	s_xor_b32 exec_lo, exec_lo, s29
	s_cbranch_execnz .LBB4_2218
.LBB4_1886:                             ;   in Loop: Header=BB4_1589 Depth=2
	s_or_b32 exec_lo, exec_lo, s29
	s_and_saveexec_b32 s28, s12
	s_cbranch_execz .LBB4_1888
.LBB4_1887:                             ;   in Loop: Header=BB4_1589 Depth=2
	v_bfe_u32 v118, v12, 16, 3
	v_bfe_u32 v129, v12, 19, 4
	v_lshlrev_b32_e32 v130, 24, v114
	s_delay_alu instid0(VALU_DEP_3) | instskip(NEXT) | instid1(VALU_DEP_3)
	v_clz_i32_u32_e32 v119, v118
	v_cmp_eq_u32_e32 vcc_lo, 0, v129
	s_delay_alu instid0(VALU_DEP_2) | instskip(NEXT) | instid1(VALU_DEP_1)
	v_min_u32_e32 v119, 32, v119
	v_subrev_nc_u32_e32 v128, 28, v119
	v_sub_nc_u32_e32 v119, 29, v119
	s_delay_alu instid0(VALU_DEP_1) | instskip(NEXT) | instid1(VALU_DEP_1)
	v_dual_cndmask_b32 v119, v129, v119 :: v_dual_lshlrev_b32 v128, v128, v114
	v_and_b32_e32 v128, 7, v128
	s_delay_alu instid0(VALU_DEP_2) | instskip(NEXT) | instid1(VALU_DEP_2)
	v_lshl_add_u32 v119, v119, 23, 0x3b800000
	v_cndmask_b32_e32 v118, v118, v128, vcc_lo
	v_and_b32_e32 v128, 0x80000000, v130
	s_delay_alu instid0(VALU_DEP_2) | instskip(NEXT) | instid1(VALU_DEP_1)
	v_lshlrev_b32_e32 v118, 20, v118
	v_or3_b32 v118, v128, v119, v118
.LBB4_1888:                             ;   in Loop: Header=BB4_1589 Depth=2
	s_or_b32 exec_lo, exec_lo, s28
	s_delay_alu instid0(VALU_DEP_1) | instskip(SKIP_1) | instid1(VALU_DEP_1)
	v_dual_max_f32 v118, v118, v118 :: v_dual_max_f32 v117, v117, v117
	s_mov_b32 s12, 0
	v_max_f32_e32 v117, v117, v118
	s_branch .LBB4_1890
.LBB4_1889:                             ;   in Loop: Header=BB4_1589 Depth=2
	s_mov_b32 s12, -1
                                        ; implicit-def: $vgpr117
.LBB4_1890:                             ;   in Loop: Header=BB4_1589 Depth=2
	s_delay_alu instid0(SALU_CYCLE_1)
	s_and_b32 vcc_lo, exec_lo, s12
	s_cbranch_vccz .LBB4_1900
; %bb.1891:                             ;   in Loop: Header=BB4_1589 Depth=2
	s_mov_b32 s12, 0
	s_mov_b32 s29, exec_lo
                                        ; implicit-def: $sgpr28
	v_cmpx_lt_i16_e32 0x7f, v116
	s_xor_b32 s29, exec_lo, s29
	s_cbranch_execnz .LBB4_2219
; %bb.1892:                             ;   in Loop: Header=BB4_1589 Depth=2
	s_or_saveexec_b32 s29, s29
	v_mov_b32_e32 v117, s28
	s_xor_b32 exec_lo, exec_lo, s29
	s_cbranch_execnz .LBB4_2222
.LBB4_1893:                             ;   in Loop: Header=BB4_1589 Depth=2
	s_or_b32 exec_lo, exec_lo, s29
	s_and_saveexec_b32 s28, s12
	s_cbranch_execz .LBB4_1895
.LBB4_1894:                             ;   in Loop: Header=BB4_1589 Depth=2
	v_bfe_u32 v116, v16, 16, 3
	v_bfe_u32 v119, v16, 19, 4
	s_delay_alu instid0(VALU_DEP_2) | instskip(NEXT) | instid1(VALU_DEP_2)
	v_clz_i32_u32_e32 v117, v116
	v_cmp_eq_u32_e32 vcc_lo, 0, v119
	s_delay_alu instid0(VALU_DEP_2) | instskip(NEXT) | instid1(VALU_DEP_1)
	v_min_u32_e32 v117, 32, v117
	v_subrev_nc_u32_e32 v118, 28, v117
	v_sub_nc_u32_e32 v117, 29, v117
	s_delay_alu instid0(VALU_DEP_1) | instskip(NEXT) | instid1(VALU_DEP_1)
	v_dual_cndmask_b32 v117, v119, v117 :: v_dual_lshlrev_b32 v118, v118, v115
	v_and_b32_e32 v118, 7, v118
	v_lshlrev_b32_e32 v115, 24, v115
	s_delay_alu instid0(VALU_DEP_3) | instskip(NEXT) | instid1(VALU_DEP_2)
	v_lshl_add_u32 v117, v117, 23, 0x3b800000
	v_dual_cndmask_b32 v116, v116, v118 :: v_dual_and_b32 v115, 0x80000000, v115
	s_delay_alu instid0(VALU_DEP_1) | instskip(NEXT) | instid1(VALU_DEP_1)
	v_lshlrev_b32_e32 v116, 20, v116
	v_or3_b32 v117, v115, v117, v116
.LBB4_1895:                             ;   in Loop: Header=BB4_1589 Depth=2
	s_or_b32 exec_lo, exec_lo, s28
	v_and_b32_e32 v116, 0xff, v114
	s_mov_b32 s12, 0
	s_mov_b32 s29, exec_lo
                                        ; implicit-def: $sgpr28
	s_delay_alu instid0(VALU_DEP_1)
	v_cmpx_lt_i16_e32 0x7f, v116
	s_xor_b32 s29, exec_lo, s29
	s_cbranch_execnz .LBB4_2223
; %bb.1896:                             ;   in Loop: Header=BB4_1589 Depth=2
	s_or_saveexec_b32 s29, s29
	v_mov_b32_e32 v115, s28
	s_xor_b32 exec_lo, exec_lo, s29
	s_cbranch_execnz .LBB4_2226
.LBB4_1897:                             ;   in Loop: Header=BB4_1589 Depth=2
	s_or_b32 exec_lo, exec_lo, s29
	s_and_saveexec_b32 s28, s12
	s_cbranch_execz .LBB4_1899
.LBB4_1898:                             ;   in Loop: Header=BB4_1589 Depth=2
	v_bfe_u32 v115, v12, 16, 3
	v_bfe_u32 v119, v12, 19, 4
	s_delay_alu instid0(VALU_DEP_2) | instskip(NEXT) | instid1(VALU_DEP_2)
	v_clz_i32_u32_e32 v116, v115
	v_cmp_eq_u32_e32 vcc_lo, 0, v119
	s_delay_alu instid0(VALU_DEP_2) | instskip(NEXT) | instid1(VALU_DEP_1)
	v_min_u32_e32 v116, 32, v116
	v_subrev_nc_u32_e32 v118, 28, v116
	v_sub_nc_u32_e32 v116, 29, v116
	s_delay_alu instid0(VALU_DEP_2) | instskip(SKIP_1) | instid1(VALU_DEP_2)
	v_lshlrev_b32_e32 v118, v118, v114
	v_lshlrev_b32_e32 v114, 24, v114
	v_and_b32_e32 v118, 7, v118
	s_delay_alu instid0(VALU_DEP_2) | instskip(NEXT) | instid1(VALU_DEP_2)
	v_and_b32_e32 v114, 0x80000000, v114
	v_cndmask_b32_e32 v115, v115, v118, vcc_lo
	s_delay_alu instid0(VALU_DEP_1) | instskip(NEXT) | instid1(VALU_DEP_1)
	v_dual_cndmask_b32 v116, v119, v116 :: v_dual_lshlrev_b32 v115, 20, v115
	v_lshl_add_u32 v116, v116, 23, 0x3b800000
	s_delay_alu instid0(VALU_DEP_1)
	v_or3_b32 v115, v114, v116, v115
.LBB4_1899:                             ;   in Loop: Header=BB4_1589 Depth=2
	s_or_b32 exec_lo, exec_lo, s28
	s_delay_alu instid0(VALU_DEP_1) | instskip(NEXT) | instid1(VALU_DEP_1)
	v_dual_max_f32 v114, v115, v115 :: v_dual_max_f32 v115, v117, v117
	v_min_f32_e32 v117, v115, v114
.LBB4_1900:                             ;   in Loop: Header=BB4_1589 Depth=2
	s_delay_alu instid0(VALU_DEP_1) | instskip(NEXT) | instid1(VALU_DEP_1)
	v_and_b32_e32 v114, 0x7f800000, v117
	v_cmp_ne_u32_e32 vcc_lo, 0x7f800000, v114
	v_mov_b32_e32 v114, 0x80
	s_and_saveexec_b32 s28, vcc_lo
	s_cbranch_execz .LBB4_1908
; %bb.1901:                             ;   in Loop: Header=BB4_1589 Depth=2
	v_mov_b32_e32 v114, 0
	s_mov_b32 s29, exec_lo
	v_cmpx_ne_u32_e32 0, v117
	s_cbranch_execz .LBB4_1907
; %bb.1902:                             ;   in Loop: Header=BB4_1589 Depth=2
	v_bfe_u32 v114, v117, 23, 8
	s_delay_alu instid0(VALU_DEP_1) | instskip(SKIP_1) | instid1(VALU_DEP_2)
	v_sub_nc_u32_e32 v116, 0x78, v114
	v_cmp_gt_u32_e32 vcc_lo, 0x79, v114
	v_dual_cndmask_b32 v116, 0, v116 :: v_dual_and_b32 v115, 0x7fffff, v117
	s_delay_alu instid0(VALU_DEP_1) | instskip(SKIP_2) | instid1(VALU_DEP_4)
	v_or_b32_e32 v118, 0x800000, v115
	v_cmp_eq_u32_e32 vcc_lo, 0, v114
	v_add_nc_u32_e32 v114, 0xffffff89, v114
	v_cndmask_b32_e64 v116, v116, 0x77, vcc_lo
	s_delay_alu instid0(VALU_DEP_4) | instskip(NEXT) | instid1(VALU_DEP_3)
	v_cndmask_b32_e32 v115, v118, v115, vcc_lo
	v_cndmask_b32_e64 v114, v114, 0xffffff8a, vcc_lo
	s_delay_alu instid0(VALU_DEP_3) | instskip(NEXT) | instid1(VALU_DEP_3)
	v_lshl_add_u32 v118, 0x100000, v116, -1
	v_lshrrev_b32_e32 v119, v116, v115
	v_lshlrev_b32_e64 v129, v116, 0x80000
	s_delay_alu instid0(VALU_DEP_4) | instskip(NEXT) | instid1(VALU_DEP_4)
	v_add_nc_u32_e32 v116, v116, v114
	v_and_b32_e32 v115, v118, v115
	s_delay_alu instid0(VALU_DEP_4) | instskip(NEXT) | instid1(VALU_DEP_2)
	v_bfe_u32 v128, v119, 20, 1
	v_cmp_eq_u32_e64 s12, v115, v129
	s_delay_alu instid0(VALU_DEP_2) | instskip(NEXT) | instid1(VALU_DEP_1)
	v_add_nc_u32_e32 v118, -1, v128
	v_cndmask_b32_e64 v115, 0, v118, s12
	v_lshrrev_b32_e32 v118, 23, v119
	s_mov_b32 s12, exec_lo
	s_delay_alu instid0(VALU_DEP_2) | instskip(NEXT) | instid1(VALU_DEP_2)
	v_add_nc_u32_e32 v115, v115, v119
	v_xor_b32_e32 v118, 1, v118
	s_delay_alu instid0(VALU_DEP_2) | instskip(NEXT) | instid1(VALU_DEP_1)
	v_and_b32_e32 v114, 0xfffff, v115
	v_add_nc_u32_e32 v115, v114, v119
                                        ; implicit-def: $vgpr114
	s_delay_alu instid0(VALU_DEP_3)
	v_cmpx_ne_u32_e64 v116, v118
	s_xor_b32 s12, exec_lo, s12
; %bb.1903:                             ;   in Loop: Header=BB4_1589 Depth=2
	s_delay_alu instid0(VALU_DEP_2) | instskip(SKIP_2) | instid1(VALU_DEP_2)
	v_cmp_lt_u32_e32 vcc_lo, 0xffffff, v115
	v_sub_nc_u32_e32 v114, v116, v118
	v_cndmask_b32_e64 v116, 0, 1, vcc_lo
	v_add_co_ci_u32_e32 v114, vcc_lo, 0, v114, vcc_lo
	s_delay_alu instid0(VALU_DEP_2)
	v_lshrrev_b32_e32 v115, v116, v115
; %bb.1904:                             ;   in Loop: Header=BB4_1589 Depth=2
	s_and_not1_saveexec_b32 s12, s12
; %bb.1905:                             ;   in Loop: Header=BB4_1589 Depth=2
	s_delay_alu instid0(VALU_DEP_1)
	v_bfe_u32 v114, v115, 23, 1
; %bb.1906:                             ;   in Loop: Header=BB4_1589 Depth=2
	s_or_b32 exec_lo, exec_lo, s12
	v_lshrrev_b32_e32 v115, 20, v115
	s_delay_alu instid0(VALU_DEP_2) | instskip(SKIP_2) | instid1(VALU_DEP_2)
	v_cmp_gt_i32_e32 vcc_lo, 16, v114
	v_lshrrev_b32_e32 v116, 24, v117
	v_min_i32_e32 v117, 15, v114
	v_dual_cndmask_b32 v115, 7, v115 :: v_dual_and_b32 v116, 0x80, v116
	s_delay_alu instid0(VALU_DEP_1) | instskip(SKIP_1) | instid1(VALU_DEP_2)
	v_or_b32_e32 v114, v114, v115
	v_and_b32_e32 v118, 7, v115
	v_cmp_ne_u32_e32 vcc_lo, 0, v114
	v_lshlrev_b32_e32 v117, 3, v117
	s_delay_alu instid0(VALU_DEP_1) | instskip(NEXT) | instid1(VALU_DEP_1)
	v_or3_b32 v115, v117, v116, v118
	v_cndmask_b32_e32 v114, 0, v115, vcc_lo
.LBB4_1907:                             ;   in Loop: Header=BB4_1589 Depth=2
	s_or_b32 exec_lo, exec_lo, s29
.LBB4_1908:                             ;   in Loop: Header=BB4_1589 Depth=2
	s_delay_alu instid0(SALU_CYCLE_1) | instskip(SKIP_3) | instid1(VALU_DEP_2)
	s_or_b32 exec_lo, exec_lo, s28
	v_lshrrev_b32_e32 v116, 24, v16
	v_lshrrev_b32_e32 v115, 24, v12
	s_and_b32 vcc_lo, exec_lo, s27
	v_cmp_lt_i16_e64 s12, 0x7f, v116
	s_cbranch_vccz .LBB4_1918
; %bb.1909:                             ;   in Loop: Header=BB4_1589 Depth=2
	s_mov_b32 s28, 0
                                        ; implicit-def: $sgpr29
	s_delay_alu instid0(VALU_DEP_1) | instskip(NEXT) | instid1(SALU_CYCLE_1)
	s_and_saveexec_b32 vcc_lo, s12
	s_xor_b32 s12, exec_lo, vcc_lo
	s_cbranch_execnz .LBB4_2227
; %bb.1910:                             ;   in Loop: Header=BB4_1589 Depth=2
	s_or_saveexec_b32 s12, s12
	v_mov_b32_e32 v117, s29
	s_xor_b32 exec_lo, exec_lo, s12
	s_cbranch_execnz .LBB4_2230
.LBB4_1911:                             ;   in Loop: Header=BB4_1589 Depth=2
	s_or_b32 exec_lo, exec_lo, s12
	s_and_saveexec_b32 s12, s28
	s_cbranch_execz .LBB4_1913
.LBB4_1912:                             ;   in Loop: Header=BB4_1589 Depth=2
	v_bfe_u32 v117, v16, 24, 3
	v_bfe_u32 v128, v16, 27, 4
	s_delay_alu instid0(VALU_DEP_2) | instskip(NEXT) | instid1(VALU_DEP_2)
	v_clz_i32_u32_e32 v118, v117
	v_cmp_eq_u32_e32 vcc_lo, 0, v128
	s_delay_alu instid0(VALU_DEP_2) | instskip(NEXT) | instid1(VALU_DEP_1)
	v_min_u32_e32 v118, 32, v118
	v_subrev_nc_u32_e32 v119, 28, v118
	v_sub_nc_u32_e32 v118, 29, v118
	s_delay_alu instid0(VALU_DEP_1) | instskip(NEXT) | instid1(VALU_DEP_1)
	v_dual_cndmask_b32 v118, v128, v118 :: v_dual_lshlrev_b32 v119, v119, v116
	v_and_b32_e32 v119, 7, v119
	s_delay_alu instid0(VALU_DEP_2) | instskip(NEXT) | instid1(VALU_DEP_2)
	v_lshl_add_u32 v118, v118, 23, 0x3b800000
	v_cndmask_b32_e32 v117, v117, v119, vcc_lo
	v_and_b32_e32 v119, 0x80000000, v16
	s_delay_alu instid0(VALU_DEP_2) | instskip(NEXT) | instid1(VALU_DEP_1)
	v_lshlrev_b32_e32 v117, 20, v117
	v_or3_b32 v117, v119, v118, v117
.LBB4_1913:                             ;   in Loop: Header=BB4_1589 Depth=2
	s_or_b32 exec_lo, exec_lo, s12
	s_mov_b32 s12, 0
	s_mov_b32 s29, exec_lo
                                        ; implicit-def: $sgpr28
	v_cmpx_lt_i16_e32 0x7f, v115
	s_xor_b32 s29, exec_lo, s29
	s_cbranch_execnz .LBB4_2231
; %bb.1914:                             ;   in Loop: Header=BB4_1589 Depth=2
	s_or_saveexec_b32 s29, s29
	v_mov_b32_e32 v118, s28
	s_xor_b32 exec_lo, exec_lo, s29
	s_cbranch_execnz .LBB4_2234
.LBB4_1915:                             ;   in Loop: Header=BB4_1589 Depth=2
	s_or_b32 exec_lo, exec_lo, s29
	s_and_saveexec_b32 s28, s12
	s_cbranch_execz .LBB4_1917
.LBB4_1916:                             ;   in Loop: Header=BB4_1589 Depth=2
	v_bfe_u32 v118, v12, 24, 3
	v_bfe_u32 v129, v12, 27, 4
	s_delay_alu instid0(VALU_DEP_2) | instskip(NEXT) | instid1(VALU_DEP_2)
	v_clz_i32_u32_e32 v119, v118
	v_cmp_eq_u32_e32 vcc_lo, 0, v129
	s_delay_alu instid0(VALU_DEP_2) | instskip(NEXT) | instid1(VALU_DEP_1)
	v_min_u32_e32 v119, 32, v119
	v_subrev_nc_u32_e32 v128, 28, v119
	v_sub_nc_u32_e32 v119, 29, v119
	s_delay_alu instid0(VALU_DEP_2) | instskip(NEXT) | instid1(VALU_DEP_1)
	v_lshlrev_b32_e32 v128, v128, v115
	v_dual_cndmask_b32 v119, v129, v119 :: v_dual_and_b32 v128, 7, v128
	s_delay_alu instid0(VALU_DEP_1) | instskip(NEXT) | instid1(VALU_DEP_2)
	v_lshl_add_u32 v119, v119, 23, 0x3b800000
	v_cndmask_b32_e32 v118, v118, v128, vcc_lo
	v_and_b32_e32 v128, 0x80000000, v12
	s_delay_alu instid0(VALU_DEP_2) | instskip(NEXT) | instid1(VALU_DEP_1)
	v_lshlrev_b32_e32 v118, 20, v118
	v_or3_b32 v118, v128, v119, v118
.LBB4_1917:                             ;   in Loop: Header=BB4_1589 Depth=2
	s_or_b32 exec_lo, exec_lo, s28
	s_delay_alu instid0(VALU_DEP_1) | instskip(SKIP_1) | instid1(VALU_DEP_1)
	v_dual_max_f32 v118, v118, v118 :: v_dual_max_f32 v117, v117, v117
	s_mov_b32 s12, 0
	v_max_f32_e32 v117, v117, v118
	s_branch .LBB4_1919
.LBB4_1918:                             ;   in Loop: Header=BB4_1589 Depth=2
	s_mov_b32 s12, -1
                                        ; implicit-def: $vgpr117
.LBB4_1919:                             ;   in Loop: Header=BB4_1589 Depth=2
	s_delay_alu instid0(SALU_CYCLE_1)
	s_and_b32 vcc_lo, exec_lo, s12
	s_cbranch_vccz .LBB4_1929
; %bb.1920:                             ;   in Loop: Header=BB4_1589 Depth=2
	s_mov_b32 s12, 0
	s_mov_b32 s29, exec_lo
                                        ; implicit-def: $sgpr28
	v_cmpx_lt_i16_e32 0x7f, v116
	s_xor_b32 s29, exec_lo, s29
	s_cbranch_execnz .LBB4_2235
; %bb.1921:                             ;   in Loop: Header=BB4_1589 Depth=2
	s_or_saveexec_b32 s29, s29
	v_mov_b32_e32 v117, s28
	s_xor_b32 exec_lo, exec_lo, s29
	s_cbranch_execnz .LBB4_2238
.LBB4_1922:                             ;   in Loop: Header=BB4_1589 Depth=2
	s_or_b32 exec_lo, exec_lo, s29
	s_and_saveexec_b32 s28, s12
	s_cbranch_execz .LBB4_1924
.LBB4_1923:                             ;   in Loop: Header=BB4_1589 Depth=2
	v_bfe_u32 v117, v16, 24, 3
	s_delay_alu instid0(VALU_DEP_1) | instskip(NEXT) | instid1(VALU_DEP_1)
	v_clz_i32_u32_e32 v118, v117
	v_min_u32_e32 v118, 32, v118
	s_delay_alu instid0(VALU_DEP_1) | instskip(SKIP_1) | instid1(VALU_DEP_2)
	v_subrev_nc_u32_e32 v119, 28, v118
	v_sub_nc_u32_e32 v118, 29, v118
	v_lshlrev_b32_e32 v116, v119, v116
	v_bfe_u32 v119, v16, 27, 4
	v_and_b32_e32 v16, 0x80000000, v16
	s_delay_alu instid0(VALU_DEP_3) | instskip(NEXT) | instid1(VALU_DEP_3)
	v_and_b32_e32 v116, 7, v116
	v_cmp_eq_u32_e32 vcc_lo, 0, v119
	v_cndmask_b32_e32 v118, v119, v118, vcc_lo
	s_delay_alu instid0(VALU_DEP_3) | instskip(NEXT) | instid1(VALU_DEP_2)
	v_cndmask_b32_e32 v116, v117, v116, vcc_lo
	v_lshl_add_u32 v117, v118, 23, 0x3b800000
	s_delay_alu instid0(VALU_DEP_2) | instskip(NEXT) | instid1(VALU_DEP_1)
	v_lshlrev_b32_e32 v116, 20, v116
	v_or3_b32 v117, v16, v117, v116
.LBB4_1924:                             ;   in Loop: Header=BB4_1589 Depth=2
	s_or_b32 exec_lo, exec_lo, s28
	s_mov_b32 s12, 0
	s_mov_b32 s29, exec_lo
                                        ; implicit-def: $sgpr28
	v_cmpx_lt_i16_e32 0x7f, v115
	s_xor_b32 s29, exec_lo, s29
	s_cbranch_execnz .LBB4_2239
; %bb.1925:                             ;   in Loop: Header=BB4_1589 Depth=2
	s_or_saveexec_b32 s29, s29
	v_mov_b32_e32 v16, s28
	s_xor_b32 exec_lo, exec_lo, s29
	s_cbranch_execnz .LBB4_2242
.LBB4_1926:                             ;   in Loop: Header=BB4_1589 Depth=2
	s_or_b32 exec_lo, exec_lo, s29
	s_and_saveexec_b32 s28, s12
	s_cbranch_execz .LBB4_1928
.LBB4_1927:                             ;   in Loop: Header=BB4_1589 Depth=2
	v_bfe_u32 v16, v12, 24, 3
	s_delay_alu instid0(VALU_DEP_1) | instskip(NEXT) | instid1(VALU_DEP_1)
	v_clz_i32_u32_e32 v116, v16
	v_min_u32_e32 v116, 32, v116
	s_delay_alu instid0(VALU_DEP_1) | instskip(SKIP_1) | instid1(VALU_DEP_2)
	v_subrev_nc_u32_e32 v118, 28, v116
	v_sub_nc_u32_e32 v116, 29, v116
	v_lshlrev_b32_e32 v115, v118, v115
	v_bfe_u32 v118, v12, 27, 4
	v_and_b32_e32 v12, 0x80000000, v12
	s_delay_alu instid0(VALU_DEP_2) | instskip(NEXT) | instid1(VALU_DEP_4)
	v_cmp_eq_u32_e32 vcc_lo, 0, v118
	v_dual_cndmask_b32 v116, v118, v116 :: v_dual_and_b32 v115, 7, v115
	s_delay_alu instid0(VALU_DEP_1) | instskip(NEXT) | instid1(VALU_DEP_2)
	v_cndmask_b32_e32 v16, v16, v115, vcc_lo
	v_lshl_add_u32 v115, v116, 23, 0x3b800000
	s_delay_alu instid0(VALU_DEP_2) | instskip(NEXT) | instid1(VALU_DEP_1)
	v_lshlrev_b32_e32 v16, 20, v16
	v_or3_b32 v16, v12, v115, v16
.LBB4_1928:                             ;   in Loop: Header=BB4_1589 Depth=2
	s_or_b32 exec_lo, exec_lo, s28
	s_delay_alu instid0(VALU_DEP_1) | instskip(SKIP_1) | instid1(VALU_DEP_1)
	v_max_f32_e32 v12, v16, v16
	v_max_f32_e32 v16, v117, v117
	v_min_f32_e32 v117, v16, v12
.LBB4_1929:                             ;   in Loop: Header=BB4_1589 Depth=2
	s_delay_alu instid0(VALU_DEP_1) | instskip(NEXT) | instid1(VALU_DEP_1)
	v_and_b32_e32 v12, 0x7f800000, v117
	v_cmp_ne_u32_e32 vcc_lo, 0x7f800000, v12
	v_mov_b32_e32 v12, 0x80
	s_and_saveexec_b32 s28, vcc_lo
	s_cbranch_execz .LBB4_1937
; %bb.1930:                             ;   in Loop: Header=BB4_1589 Depth=2
	v_mov_b32_e32 v12, 0
	s_mov_b32 s29, exec_lo
	v_cmpx_ne_u32_e32 0, v117
	s_cbranch_execz .LBB4_1936
; %bb.1931:                             ;   in Loop: Header=BB4_1589 Depth=2
	v_bfe_u32 v12, v117, 23, 8
	s_delay_alu instid0(VALU_DEP_1) | instskip(SKIP_1) | instid1(VALU_DEP_2)
	v_sub_nc_u32_e32 v115, 0x78, v12
	v_cmp_gt_u32_e32 vcc_lo, 0x79, v12
	v_dual_cndmask_b32 v115, 0, v115 :: v_dual_and_b32 v16, 0x7fffff, v117
	s_delay_alu instid0(VALU_DEP_1) | instskip(SKIP_2) | instid1(VALU_DEP_4)
	v_or_b32_e32 v116, 0x800000, v16
	v_cmp_eq_u32_e32 vcc_lo, 0, v12
	v_add_nc_u32_e32 v12, 0xffffff89, v12
	v_cndmask_b32_e64 v115, v115, 0x77, vcc_lo
	s_delay_alu instid0(VALU_DEP_4) | instskip(NEXT) | instid1(VALU_DEP_3)
	v_cndmask_b32_e32 v16, v116, v16, vcc_lo
	v_cndmask_b32_e64 v12, v12, 0xffffff8a, vcc_lo
	s_delay_alu instid0(VALU_DEP_3) | instskip(NEXT) | instid1(VALU_DEP_3)
	v_lshl_add_u32 v116, 0x100000, v115, -1
	v_lshrrev_b32_e32 v118, v115, v16
	v_lshlrev_b32_e64 v128, v115, 0x80000
	s_delay_alu instid0(VALU_DEP_4) | instskip(NEXT) | instid1(VALU_DEP_4)
	v_add_nc_u32_e32 v115, v115, v12
	v_and_b32_e32 v16, v116, v16
	s_delay_alu instid0(VALU_DEP_4) | instskip(NEXT) | instid1(VALU_DEP_2)
	v_bfe_u32 v119, v118, 20, 1
	v_cmp_eq_u32_e64 s12, v16, v128
	s_delay_alu instid0(VALU_DEP_2) | instskip(NEXT) | instid1(VALU_DEP_1)
	v_add_nc_u32_e32 v116, -1, v119
	v_cndmask_b32_e64 v16, 0, v116, s12
	v_lshrrev_b32_e32 v116, 23, v118
	s_mov_b32 s12, exec_lo
	s_delay_alu instid0(VALU_DEP_2) | instskip(NEXT) | instid1(VALU_DEP_2)
	v_add_nc_u32_e32 v16, v16, v118
	v_xor_b32_e32 v116, 1, v116
	s_delay_alu instid0(VALU_DEP_2) | instskip(NEXT) | instid1(VALU_DEP_1)
	v_and_b32_e32 v12, 0xfffff, v16
	v_add_nc_u32_e32 v16, v12, v118
                                        ; implicit-def: $vgpr12
	s_delay_alu instid0(VALU_DEP_3)
	v_cmpx_ne_u32_e64 v115, v116
	s_xor_b32 s12, exec_lo, s12
; %bb.1932:                             ;   in Loop: Header=BB4_1589 Depth=2
	s_delay_alu instid0(VALU_DEP_2) | instskip(SKIP_2) | instid1(VALU_DEP_2)
	v_cmp_lt_u32_e32 vcc_lo, 0xffffff, v16
	v_sub_nc_u32_e32 v12, v115, v116
	v_cndmask_b32_e64 v115, 0, 1, vcc_lo
	v_add_co_ci_u32_e32 v12, vcc_lo, 0, v12, vcc_lo
	s_delay_alu instid0(VALU_DEP_2)
	v_lshrrev_b32_e32 v16, v115, v16
; %bb.1933:                             ;   in Loop: Header=BB4_1589 Depth=2
	s_and_not1_saveexec_b32 s12, s12
; %bb.1934:                             ;   in Loop: Header=BB4_1589 Depth=2
	s_delay_alu instid0(VALU_DEP_1)
	v_bfe_u32 v12, v16, 23, 1
; %bb.1935:                             ;   in Loop: Header=BB4_1589 Depth=2
	s_or_b32 exec_lo, exec_lo, s12
	v_lshrrev_b32_e32 v16, 20, v16
	s_delay_alu instid0(VALU_DEP_2) | instskip(SKIP_2) | instid1(VALU_DEP_2)
	v_cmp_gt_i32_e32 vcc_lo, 16, v12
	v_lshrrev_b32_e32 v115, 24, v117
	v_min_i32_e32 v116, 15, v12
	v_dual_cndmask_b32 v16, 7, v16 :: v_dual_and_b32 v115, 0x80, v115
	s_delay_alu instid0(VALU_DEP_2) | instskip(NEXT) | instid1(VALU_DEP_2)
	v_lshlrev_b32_e32 v116, 3, v116
	v_and_b32_e32 v117, 7, v16
	v_or_b32_e32 v12, v12, v16
	s_delay_alu instid0(VALU_DEP_2) | instskip(NEXT) | instid1(VALU_DEP_2)
	v_or3_b32 v16, v116, v115, v117
	v_cmp_ne_u32_e32 vcc_lo, 0, v12
	s_delay_alu instid0(VALU_DEP_2)
	v_cndmask_b32_e32 v12, 0, v16, vcc_lo
.LBB4_1936:                             ;   in Loop: Header=BB4_1589 Depth=2
	s_or_b32 exec_lo, exec_lo, s29
.LBB4_1937:                             ;   in Loop: Header=BB4_1589 Depth=2
	s_delay_alu instid0(SALU_CYCLE_1) | instskip(SKIP_2) | instid1(VALU_DEP_1)
	s_or_b32 exec_lo, exec_lo, s28
	v_and_b32_e32 v16, 0xff, v17
	s_and_b32 vcc_lo, exec_lo, s27
	v_cmp_lt_i16_e64 s12, 0x7f, v16
	s_cbranch_vccz .LBB4_1947
; %bb.1938:                             ;   in Loop: Header=BB4_1589 Depth=2
	s_mov_b32 s28, 0
                                        ; implicit-def: $sgpr29
	s_delay_alu instid0(VALU_DEP_1) | instskip(NEXT) | instid1(SALU_CYCLE_1)
	s_and_saveexec_b32 vcc_lo, s12
	s_xor_b32 s12, exec_lo, vcc_lo
	s_cbranch_execnz .LBB4_2243
; %bb.1939:                             ;   in Loop: Header=BB4_1589 Depth=2
	s_or_saveexec_b32 s12, s12
	v_mov_b32_e32 v115, s29
	s_xor_b32 exec_lo, exec_lo, s12
	s_cbranch_execnz .LBB4_2246
.LBB4_1940:                             ;   in Loop: Header=BB4_1589 Depth=2
	s_or_b32 exec_lo, exec_lo, s12
	s_and_saveexec_b32 s12, s28
	s_cbranch_execz .LBB4_1942
.LBB4_1941:                             ;   in Loop: Header=BB4_1589 Depth=2
	v_bfe_u32 v118, v17, 3, 4
	v_lshlrev_b32_e32 v119, 24, v17
	s_delay_alu instid0(VALU_DEP_2) | instskip(SKIP_1) | instid1(VALU_DEP_1)
	v_cmp_eq_u32_e32 vcc_lo, 0, v118
	v_and_b32_e32 v115, 7, v17
	v_clz_i32_u32_e32 v116, v115
	s_delay_alu instid0(VALU_DEP_1) | instskip(NEXT) | instid1(VALU_DEP_1)
	v_min_u32_e32 v116, 32, v116
	v_subrev_nc_u32_e32 v117, 28, v116
	v_sub_nc_u32_e32 v116, 29, v116
	s_delay_alu instid0(VALU_DEP_1) | instskip(NEXT) | instid1(VALU_DEP_1)
	v_dual_cndmask_b32 v116, v118, v116 :: v_dual_lshlrev_b32 v117, v117, v17
	v_and_b32_e32 v117, 7, v117
	s_delay_alu instid0(VALU_DEP_2) | instskip(NEXT) | instid1(VALU_DEP_2)
	v_lshl_add_u32 v116, v116, 23, 0x3b800000
	v_cndmask_b32_e32 v115, v115, v117, vcc_lo
	v_and_b32_e32 v117, 0x80000000, v119
	s_delay_alu instid0(VALU_DEP_2) | instskip(NEXT) | instid1(VALU_DEP_1)
	v_lshlrev_b32_e32 v115, 20, v115
	v_or3_b32 v115, v117, v116, v115
.LBB4_1942:                             ;   in Loop: Header=BB4_1589 Depth=2
	s_or_b32 exec_lo, exec_lo, s12
	v_and_b32_e32 v117, 0xff, v13
	s_mov_b32 s12, 0
	s_mov_b32 s29, exec_lo
                                        ; implicit-def: $sgpr28
	s_delay_alu instid0(VALU_DEP_1)
	v_cmpx_lt_i16_e32 0x7f, v117
	s_xor_b32 s29, exec_lo, s29
	s_cbranch_execnz .LBB4_2247
; %bb.1943:                             ;   in Loop: Header=BB4_1589 Depth=2
	s_or_saveexec_b32 s29, s29
	v_mov_b32_e32 v116, s28
	s_xor_b32 exec_lo, exec_lo, s29
	s_cbranch_execnz .LBB4_2250
.LBB4_1944:                             ;   in Loop: Header=BB4_1589 Depth=2
	s_or_b32 exec_lo, exec_lo, s29
	s_and_saveexec_b32 s28, s12
	s_cbranch_execz .LBB4_1946
.LBB4_1945:                             ;   in Loop: Header=BB4_1589 Depth=2
	v_and_b32_e32 v116, 7, v13
	v_bfe_u32 v119, v13, 3, 4
	v_lshlrev_b32_e32 v128, 24, v13
	s_delay_alu instid0(VALU_DEP_3) | instskip(NEXT) | instid1(VALU_DEP_3)
	v_clz_i32_u32_e32 v117, v116
	v_cmp_eq_u32_e32 vcc_lo, 0, v119
	s_delay_alu instid0(VALU_DEP_2) | instskip(NEXT) | instid1(VALU_DEP_1)
	v_min_u32_e32 v117, 32, v117
	v_subrev_nc_u32_e32 v118, 28, v117
	v_sub_nc_u32_e32 v117, 29, v117
	s_delay_alu instid0(VALU_DEP_2) | instskip(NEXT) | instid1(VALU_DEP_1)
	v_lshlrev_b32_e32 v118, v118, v13
	v_dual_cndmask_b32 v117, v119, v117 :: v_dual_and_b32 v118, 7, v118
	s_delay_alu instid0(VALU_DEP_1) | instskip(NEXT) | instid1(VALU_DEP_2)
	v_lshl_add_u32 v117, v117, 23, 0x3b800000
	v_cndmask_b32_e32 v116, v116, v118, vcc_lo
	v_and_b32_e32 v118, 0x80000000, v128
	s_delay_alu instid0(VALU_DEP_2) | instskip(NEXT) | instid1(VALU_DEP_1)
	v_lshlrev_b32_e32 v116, 20, v116
	v_or3_b32 v116, v118, v117, v116
.LBB4_1946:                             ;   in Loop: Header=BB4_1589 Depth=2
	s_or_b32 exec_lo, exec_lo, s28
	s_delay_alu instid0(VALU_DEP_1) | instskip(SKIP_1) | instid1(VALU_DEP_1)
	v_dual_max_f32 v116, v116, v116 :: v_dual_max_f32 v115, v115, v115
	s_mov_b32 s12, 0
	v_max_f32_e32 v115, v115, v116
	s_branch .LBB4_1948
.LBB4_1947:                             ;   in Loop: Header=BB4_1589 Depth=2
	s_mov_b32 s12, -1
                                        ; implicit-def: $vgpr115
.LBB4_1948:                             ;   in Loop: Header=BB4_1589 Depth=2
	s_delay_alu instid0(SALU_CYCLE_1)
	s_and_b32 vcc_lo, exec_lo, s12
	s_cbranch_vccz .LBB4_1958
; %bb.1949:                             ;   in Loop: Header=BB4_1589 Depth=2
	s_mov_b32 s12, 0
	s_mov_b32 s29, exec_lo
                                        ; implicit-def: $sgpr28
	v_cmpx_lt_i16_e32 0x7f, v16
	s_xor_b32 s29, exec_lo, s29
	s_cbranch_execnz .LBB4_2251
; %bb.1950:                             ;   in Loop: Header=BB4_1589 Depth=2
	s_or_saveexec_b32 s29, s29
	v_mov_b32_e32 v115, s28
	s_xor_b32 exec_lo, exec_lo, s29
	s_cbranch_execnz .LBB4_2254
.LBB4_1951:                             ;   in Loop: Header=BB4_1589 Depth=2
	s_or_b32 exec_lo, exec_lo, s29
	s_and_saveexec_b32 s28, s12
	s_cbranch_execz .LBB4_1953
.LBB4_1952:                             ;   in Loop: Header=BB4_1589 Depth=2
	v_bfe_u32 v117, v17, 3, 4
	v_lshlrev_b32_e32 v118, 24, v17
	s_delay_alu instid0(VALU_DEP_2) | instskip(SKIP_1) | instid1(VALU_DEP_1)
	v_cmp_eq_u32_e32 vcc_lo, 0, v117
	v_and_b32_e32 v16, 7, v17
	v_clz_i32_u32_e32 v115, v16
	s_delay_alu instid0(VALU_DEP_1) | instskip(NEXT) | instid1(VALU_DEP_1)
	v_min_u32_e32 v115, 32, v115
	v_subrev_nc_u32_e32 v116, 28, v115
	v_sub_nc_u32_e32 v115, 29, v115
	s_delay_alu instid0(VALU_DEP_1) | instskip(NEXT) | instid1(VALU_DEP_1)
	v_dual_cndmask_b32 v115, v117, v115 :: v_dual_lshlrev_b32 v116, v116, v17
	v_and_b32_e32 v116, 7, v116
	s_delay_alu instid0(VALU_DEP_2) | instskip(NEXT) | instid1(VALU_DEP_2)
	v_lshl_add_u32 v115, v115, 23, 0x3b800000
	v_cndmask_b32_e32 v16, v16, v116, vcc_lo
	v_and_b32_e32 v116, 0x80000000, v118
	s_delay_alu instid0(VALU_DEP_2) | instskip(NEXT) | instid1(VALU_DEP_1)
	v_lshlrev_b32_e32 v16, 20, v16
	v_or3_b32 v115, v116, v115, v16
.LBB4_1953:                             ;   in Loop: Header=BB4_1589 Depth=2
	s_or_b32 exec_lo, exec_lo, s28
	v_and_b32_e32 v116, 0xff, v13
	s_mov_b32 s12, 0
	s_mov_b32 s29, exec_lo
                                        ; implicit-def: $sgpr28
	s_delay_alu instid0(VALU_DEP_1)
	v_cmpx_lt_i16_e32 0x7f, v116
	s_xor_b32 s29, exec_lo, s29
	s_cbranch_execnz .LBB4_2255
; %bb.1954:                             ;   in Loop: Header=BB4_1589 Depth=2
	s_or_saveexec_b32 s29, s29
	v_mov_b32_e32 v16, s28
	s_xor_b32 exec_lo, exec_lo, s29
	s_cbranch_execnz .LBB4_2258
.LBB4_1955:                             ;   in Loop: Header=BB4_1589 Depth=2
	s_or_b32 exec_lo, exec_lo, s29
	s_and_saveexec_b32 s28, s12
	s_cbranch_execz .LBB4_1957
.LBB4_1956:                             ;   in Loop: Header=BB4_1589 Depth=2
	v_and_b32_e32 v16, 7, v13
	v_bfe_u32 v118, v13, 3, 4
	v_lshlrev_b32_e32 v119, 24, v13
	s_delay_alu instid0(VALU_DEP_3) | instskip(NEXT) | instid1(VALU_DEP_3)
	v_clz_i32_u32_e32 v116, v16
	v_cmp_eq_u32_e32 vcc_lo, 0, v118
	s_delay_alu instid0(VALU_DEP_2) | instskip(NEXT) | instid1(VALU_DEP_1)
	v_min_u32_e32 v116, 32, v116
	v_subrev_nc_u32_e32 v117, 28, v116
	v_sub_nc_u32_e32 v116, 29, v116
	s_delay_alu instid0(VALU_DEP_1) | instskip(NEXT) | instid1(VALU_DEP_1)
	v_dual_cndmask_b32 v116, v118, v116 :: v_dual_lshlrev_b32 v117, v117, v13
	v_and_b32_e32 v117, 7, v117
	s_delay_alu instid0(VALU_DEP_2) | instskip(NEXT) | instid1(VALU_DEP_2)
	v_lshl_add_u32 v116, v116, 23, 0x3b800000
	v_dual_cndmask_b32 v16, v16, v117 :: v_dual_and_b32 v117, 0x80000000, v119
	s_delay_alu instid0(VALU_DEP_1) | instskip(NEXT) | instid1(VALU_DEP_1)
	v_lshlrev_b32_e32 v16, 20, v16
	v_or3_b32 v16, v117, v116, v16
.LBB4_1957:                             ;   in Loop: Header=BB4_1589 Depth=2
	s_or_b32 exec_lo, exec_lo, s28
	s_delay_alu instid0(VALU_DEP_1) | instskip(NEXT) | instid1(VALU_DEP_1)
	v_dual_max_f32 v16, v16, v16 :: v_dual_max_f32 v115, v115, v115
	v_min_f32_e32 v115, v115, v16
.LBB4_1958:                             ;   in Loop: Header=BB4_1589 Depth=2
	s_delay_alu instid0(VALU_DEP_1) | instskip(NEXT) | instid1(VALU_DEP_1)
	v_and_b32_e32 v16, 0x7f800000, v115
	v_cmp_ne_u32_e32 vcc_lo, 0x7f800000, v16
	v_mov_b32_e32 v16, 0x80
	s_and_saveexec_b32 s28, vcc_lo
	s_cbranch_execz .LBB4_1966
; %bb.1959:                             ;   in Loop: Header=BB4_1589 Depth=2
	v_mov_b32_e32 v16, 0
	s_mov_b32 s29, exec_lo
	v_cmpx_ne_u32_e32 0, v115
	s_cbranch_execz .LBB4_1965
; %bb.1960:                             ;   in Loop: Header=BB4_1589 Depth=2
	v_bfe_u32 v16, v115, 23, 8
	s_delay_alu instid0(VALU_DEP_1) | instskip(SKIP_1) | instid1(VALU_DEP_2)
	v_sub_nc_u32_e32 v117, 0x78, v16
	v_cmp_gt_u32_e32 vcc_lo, 0x79, v16
	v_dual_cndmask_b32 v117, 0, v117 :: v_dual_and_b32 v116, 0x7fffff, v115
	s_delay_alu instid0(VALU_DEP_1) | instskip(SKIP_2) | instid1(VALU_DEP_4)
	v_or_b32_e32 v118, 0x800000, v116
	v_cmp_eq_u32_e32 vcc_lo, 0, v16
	v_add_nc_u32_e32 v16, 0xffffff89, v16
	v_cndmask_b32_e64 v117, v117, 0x77, vcc_lo
	s_delay_alu instid0(VALU_DEP_4) | instskip(NEXT) | instid1(VALU_DEP_3)
	v_cndmask_b32_e32 v116, v118, v116, vcc_lo
	v_cndmask_b32_e64 v16, v16, 0xffffff8a, vcc_lo
	s_delay_alu instid0(VALU_DEP_3) | instskip(NEXT) | instid1(VALU_DEP_3)
	v_lshl_add_u32 v118, 0x100000, v117, -1
	v_lshrrev_b32_e32 v119, v117, v116
	v_lshlrev_b32_e64 v129, v117, 0x80000
	s_delay_alu instid0(VALU_DEP_4) | instskip(NEXT) | instid1(VALU_DEP_4)
	v_add_nc_u32_e32 v117, v117, v16
	v_and_b32_e32 v116, v118, v116
	s_delay_alu instid0(VALU_DEP_4) | instskip(NEXT) | instid1(VALU_DEP_2)
	v_bfe_u32 v128, v119, 20, 1
	v_cmp_eq_u32_e64 s12, v116, v129
	s_delay_alu instid0(VALU_DEP_2) | instskip(NEXT) | instid1(VALU_DEP_1)
	v_add_nc_u32_e32 v118, -1, v128
	v_cndmask_b32_e64 v116, 0, v118, s12
	v_lshrrev_b32_e32 v118, 23, v119
	s_mov_b32 s12, exec_lo
	s_delay_alu instid0(VALU_DEP_2) | instskip(NEXT) | instid1(VALU_DEP_2)
	v_add_nc_u32_e32 v116, v116, v119
	v_xor_b32_e32 v118, 1, v118
	s_delay_alu instid0(VALU_DEP_2) | instskip(NEXT) | instid1(VALU_DEP_1)
	v_and_b32_e32 v16, 0xfffff, v116
	v_add_nc_u32_e32 v116, v16, v119
                                        ; implicit-def: $vgpr16
	s_delay_alu instid0(VALU_DEP_3)
	v_cmpx_ne_u32_e64 v117, v118
	s_xor_b32 s12, exec_lo, s12
; %bb.1961:                             ;   in Loop: Header=BB4_1589 Depth=2
	s_delay_alu instid0(VALU_DEP_2) | instskip(SKIP_2) | instid1(VALU_DEP_2)
	v_cmp_lt_u32_e32 vcc_lo, 0xffffff, v116
	v_sub_nc_u32_e32 v16, v117, v118
	v_cndmask_b32_e64 v117, 0, 1, vcc_lo
	v_add_co_ci_u32_e32 v16, vcc_lo, 0, v16, vcc_lo
	s_delay_alu instid0(VALU_DEP_2)
	v_lshrrev_b32_e32 v116, v117, v116
; %bb.1962:                             ;   in Loop: Header=BB4_1589 Depth=2
	s_and_not1_saveexec_b32 s12, s12
; %bb.1963:                             ;   in Loop: Header=BB4_1589 Depth=2
	s_delay_alu instid0(VALU_DEP_1)
	v_bfe_u32 v16, v116, 23, 1
; %bb.1964:                             ;   in Loop: Header=BB4_1589 Depth=2
	s_or_b32 exec_lo, exec_lo, s12
	v_lshrrev_b32_e32 v116, 20, v116
	s_delay_alu instid0(VALU_DEP_2) | instskip(SKIP_2) | instid1(VALU_DEP_2)
	v_cmp_gt_i32_e32 vcc_lo, 16, v16
	v_lshrrev_b32_e32 v115, 24, v115
	v_min_i32_e32 v117, 15, v16
	v_dual_cndmask_b32 v116, 7, v116 :: v_dual_and_b32 v115, 0x80, v115
	s_delay_alu instid0(VALU_DEP_1) | instskip(SKIP_1) | instid1(VALU_DEP_2)
	v_or_b32_e32 v16, v16, v116
	v_and_b32_e32 v118, 7, v116
	v_cmp_ne_u32_e32 vcc_lo, 0, v16
	v_lshlrev_b32_e32 v117, 3, v117
	s_delay_alu instid0(VALU_DEP_1) | instskip(NEXT) | instid1(VALU_DEP_1)
	v_or3_b32 v115, v117, v115, v118
	v_cndmask_b32_e32 v16, 0, v115, vcc_lo
.LBB4_1965:                             ;   in Loop: Header=BB4_1589 Depth=2
	s_or_b32 exec_lo, exec_lo, s29
.LBB4_1966:                             ;   in Loop: Header=BB4_1589 Depth=2
	s_delay_alu instid0(SALU_CYCLE_1) | instskip(SKIP_3) | instid1(VALU_DEP_2)
	s_or_b32 exec_lo, exec_lo, s28
	v_lshrrev_b16 v116, 8, v17
	v_lshrrev_b16 v115, 8, v13
	s_and_b32 vcc_lo, exec_lo, s27
	v_cmp_lt_i16_e64 s12, 0x7f, v116
	s_cbranch_vccz .LBB4_1976
; %bb.1967:                             ;   in Loop: Header=BB4_1589 Depth=2
	s_mov_b32 s28, 0
                                        ; implicit-def: $sgpr29
	s_delay_alu instid0(VALU_DEP_1) | instskip(NEXT) | instid1(SALU_CYCLE_1)
	s_and_saveexec_b32 vcc_lo, s12
	s_xor_b32 s12, exec_lo, vcc_lo
	s_cbranch_execnz .LBB4_2259
; %bb.1968:                             ;   in Loop: Header=BB4_1589 Depth=2
	s_or_saveexec_b32 s12, s12
	v_mov_b32_e32 v117, s29
	s_xor_b32 exec_lo, exec_lo, s12
	s_cbranch_execnz .LBB4_2262
.LBB4_1969:                             ;   in Loop: Header=BB4_1589 Depth=2
	s_or_b32 exec_lo, exec_lo, s12
	s_and_saveexec_b32 s12, s28
	s_cbranch_execz .LBB4_1971
.LBB4_1970:                             ;   in Loop: Header=BB4_1589 Depth=2
	v_and_b32_e32 v117, 0xffff, v116
	s_delay_alu instid0(VALU_DEP_1) | instskip(NEXT) | instid1(VALU_DEP_1)
	v_and_b32_e32 v118, 7, v117
	v_clz_i32_u32_e32 v119, v118
	s_delay_alu instid0(VALU_DEP_1) | instskip(NEXT) | instid1(VALU_DEP_1)
	v_min_u32_e32 v119, 32, v119
	v_subrev_nc_u32_e32 v128, 28, v119
	v_sub_nc_u32_e32 v119, 29, v119
	s_delay_alu instid0(VALU_DEP_2) | instskip(SKIP_1) | instid1(VALU_DEP_2)
	v_lshlrev_b32_e32 v128, v128, v117
	v_bfe_u32 v117, v117, 3, 4
	v_and_b32_e32 v128, 7, v128
	s_delay_alu instid0(VALU_DEP_2) | instskip(SKIP_1) | instid1(VALU_DEP_3)
	v_cmp_eq_u32_e32 vcc_lo, 0, v117
	v_cndmask_b32_e32 v117, v117, v119, vcc_lo
	v_dual_cndmask_b32 v118, v118, v128 :: v_dual_lshlrev_b32 v129, 16, v17
	s_delay_alu instid0(VALU_DEP_2) | instskip(NEXT) | instid1(VALU_DEP_2)
	v_lshl_add_u32 v117, v117, 23, 0x3b800000
	v_and_b32_e32 v119, 0x80000000, v129
	s_delay_alu instid0(VALU_DEP_3) | instskip(NEXT) | instid1(VALU_DEP_1)
	v_lshlrev_b32_e32 v118, 20, v118
	v_or3_b32 v117, v119, v117, v118
.LBB4_1971:                             ;   in Loop: Header=BB4_1589 Depth=2
	s_or_b32 exec_lo, exec_lo, s12
	s_mov_b32 s12, 0
	s_mov_b32 s29, exec_lo
                                        ; implicit-def: $sgpr28
	v_cmpx_lt_i16_e32 0x7f, v115
	s_xor_b32 s29, exec_lo, s29
	s_cbranch_execnz .LBB4_2263
; %bb.1972:                             ;   in Loop: Header=BB4_1589 Depth=2
	s_or_saveexec_b32 s29, s29
	v_mov_b32_e32 v118, s28
	s_xor_b32 exec_lo, exec_lo, s29
	s_cbranch_execnz .LBB4_2266
.LBB4_1973:                             ;   in Loop: Header=BB4_1589 Depth=2
	s_or_b32 exec_lo, exec_lo, s29
	s_and_saveexec_b32 s28, s12
	s_cbranch_execz .LBB4_1975
.LBB4_1974:                             ;   in Loop: Header=BB4_1589 Depth=2
	v_and_b32_e32 v118, 0xffff, v115
	v_lshlrev_b32_e32 v130, 16, v13
	s_delay_alu instid0(VALU_DEP_2) | instskip(NEXT) | instid1(VALU_DEP_1)
	v_and_b32_e32 v119, 7, v118
	v_clz_i32_u32_e32 v128, v119
	s_delay_alu instid0(VALU_DEP_1) | instskip(NEXT) | instid1(VALU_DEP_1)
	v_min_u32_e32 v128, 32, v128
	v_subrev_nc_u32_e32 v129, 28, v128
	v_sub_nc_u32_e32 v128, 29, v128
	s_delay_alu instid0(VALU_DEP_2) | instskip(SKIP_1) | instid1(VALU_DEP_2)
	v_lshlrev_b32_e32 v129, v129, v118
	v_bfe_u32 v118, v118, 3, 4
	v_and_b32_e32 v129, 7, v129
	s_delay_alu instid0(VALU_DEP_2) | instskip(NEXT) | instid1(VALU_DEP_2)
	v_cmp_eq_u32_e32 vcc_lo, 0, v118
	v_dual_cndmask_b32 v118, v118, v128 :: v_dual_cndmask_b32 v119, v119, v129
	v_and_b32_e32 v128, 0x80000000, v130
	s_delay_alu instid0(VALU_DEP_2) | instskip(NEXT) | instid1(VALU_DEP_3)
	v_lshl_add_u32 v118, v118, 23, 0x3b800000
	v_lshlrev_b32_e32 v119, 20, v119
	s_delay_alu instid0(VALU_DEP_1)
	v_or3_b32 v118, v128, v118, v119
.LBB4_1975:                             ;   in Loop: Header=BB4_1589 Depth=2
	s_or_b32 exec_lo, exec_lo, s28
	s_delay_alu instid0(VALU_DEP_1) | instskip(SKIP_1) | instid1(VALU_DEP_1)
	v_dual_max_f32 v118, v118, v118 :: v_dual_max_f32 v117, v117, v117
	s_mov_b32 s12, 0
	v_max_f32_e32 v117, v117, v118
	s_branch .LBB4_1977
.LBB4_1976:                             ;   in Loop: Header=BB4_1589 Depth=2
	s_mov_b32 s12, -1
                                        ; implicit-def: $vgpr117
.LBB4_1977:                             ;   in Loop: Header=BB4_1589 Depth=2
	s_delay_alu instid0(SALU_CYCLE_1)
	s_and_b32 vcc_lo, exec_lo, s12
	s_cbranch_vccz .LBB4_1987
; %bb.1978:                             ;   in Loop: Header=BB4_1589 Depth=2
	s_mov_b32 s12, 0
	s_mov_b32 s29, exec_lo
                                        ; implicit-def: $sgpr28
	v_cmpx_lt_i16_e32 0x7f, v116
	s_xor_b32 s29, exec_lo, s29
	s_cbranch_execnz .LBB4_2267
; %bb.1979:                             ;   in Loop: Header=BB4_1589 Depth=2
	s_or_saveexec_b32 s29, s29
	v_mov_b32_e32 v117, s28
	s_xor_b32 exec_lo, exec_lo, s29
	s_cbranch_execnz .LBB4_2270
.LBB4_1980:                             ;   in Loop: Header=BB4_1589 Depth=2
	s_or_b32 exec_lo, exec_lo, s29
	s_and_saveexec_b32 s28, s12
	s_cbranch_execz .LBB4_1982
.LBB4_1981:                             ;   in Loop: Header=BB4_1589 Depth=2
	v_and_b32_e32 v116, 0xffff, v116
	v_lshlrev_b32_e32 v128, 16, v17
	s_delay_alu instid0(VALU_DEP_2) | instskip(NEXT) | instid1(VALU_DEP_1)
	v_and_b32_e32 v117, 7, v116
	v_clz_i32_u32_e32 v118, v117
	s_delay_alu instid0(VALU_DEP_1) | instskip(NEXT) | instid1(VALU_DEP_1)
	v_min_u32_e32 v118, 32, v118
	v_subrev_nc_u32_e32 v119, 28, v118
	v_sub_nc_u32_e32 v118, 29, v118
	s_delay_alu instid0(VALU_DEP_2) | instskip(SKIP_1) | instid1(VALU_DEP_2)
	v_lshlrev_b32_e32 v119, v119, v116
	v_bfe_u32 v116, v116, 3, 4
	v_and_b32_e32 v119, 7, v119
	s_delay_alu instid0(VALU_DEP_2) | instskip(NEXT) | instid1(VALU_DEP_2)
	v_cmp_eq_u32_e32 vcc_lo, 0, v116
	v_dual_cndmask_b32 v116, v116, v118 :: v_dual_cndmask_b32 v117, v117, v119
	v_and_b32_e32 v118, 0x80000000, v128
	s_delay_alu instid0(VALU_DEP_2) | instskip(NEXT) | instid1(VALU_DEP_3)
	v_lshl_add_u32 v116, v116, 23, 0x3b800000
	v_lshlrev_b32_e32 v117, 20, v117
	s_delay_alu instid0(VALU_DEP_1)
	v_or3_b32 v117, v118, v116, v117
.LBB4_1982:                             ;   in Loop: Header=BB4_1589 Depth=2
	s_or_b32 exec_lo, exec_lo, s28
	s_mov_b32 s12, 0
	s_mov_b32 s29, exec_lo
                                        ; implicit-def: $sgpr28
	v_cmpx_lt_i16_e32 0x7f, v115
	s_xor_b32 s29, exec_lo, s29
	s_cbranch_execnz .LBB4_2271
; %bb.1983:                             ;   in Loop: Header=BB4_1589 Depth=2
	s_or_saveexec_b32 s29, s29
	v_mov_b32_e32 v116, s28
	s_xor_b32 exec_lo, exec_lo, s29
	s_cbranch_execnz .LBB4_2274
.LBB4_1984:                             ;   in Loop: Header=BB4_1589 Depth=2
	s_or_b32 exec_lo, exec_lo, s29
	s_and_saveexec_b32 s28, s12
	s_cbranch_execz .LBB4_1986
.LBB4_1985:                             ;   in Loop: Header=BB4_1589 Depth=2
	v_and_b32_e32 v115, 0xffff, v115
	v_lshlrev_b32_e32 v128, 16, v13
	s_delay_alu instid0(VALU_DEP_2) | instskip(NEXT) | instid1(VALU_DEP_1)
	v_and_b32_e32 v116, 7, v115
	v_clz_i32_u32_e32 v118, v116
	s_delay_alu instid0(VALU_DEP_1) | instskip(NEXT) | instid1(VALU_DEP_1)
	v_min_u32_e32 v118, 32, v118
	v_subrev_nc_u32_e32 v119, 28, v118
	v_sub_nc_u32_e32 v118, 29, v118
	s_delay_alu instid0(VALU_DEP_2) | instskip(SKIP_1) | instid1(VALU_DEP_2)
	v_lshlrev_b32_e32 v119, v119, v115
	v_bfe_u32 v115, v115, 3, 4
	v_and_b32_e32 v119, 7, v119
	s_delay_alu instid0(VALU_DEP_2) | instskip(NEXT) | instid1(VALU_DEP_2)
	v_cmp_eq_u32_e32 vcc_lo, 0, v115
	v_dual_cndmask_b32 v115, v115, v118 :: v_dual_cndmask_b32 v116, v116, v119
	v_and_b32_e32 v118, 0x80000000, v128
	s_delay_alu instid0(VALU_DEP_2) | instskip(NEXT) | instid1(VALU_DEP_3)
	v_lshl_add_u32 v115, v115, 23, 0x3b800000
	v_lshlrev_b32_e32 v116, 20, v116
	s_delay_alu instid0(VALU_DEP_1)
	v_or3_b32 v116, v118, v115, v116
.LBB4_1986:                             ;   in Loop: Header=BB4_1589 Depth=2
	s_or_b32 exec_lo, exec_lo, s28
	s_delay_alu instid0(VALU_DEP_1) | instskip(NEXT) | instid1(VALU_DEP_1)
	v_dual_max_f32 v115, v116, v116 :: v_dual_max_f32 v116, v117, v117
	v_min_f32_e32 v117, v116, v115
.LBB4_1987:                             ;   in Loop: Header=BB4_1589 Depth=2
	s_delay_alu instid0(VALU_DEP_1) | instskip(NEXT) | instid1(VALU_DEP_1)
	v_and_b32_e32 v115, 0x7f800000, v117
	v_cmp_ne_u32_e32 vcc_lo, 0x7f800000, v115
	v_mov_b32_e32 v115, 0x80
	s_and_saveexec_b32 s28, vcc_lo
	s_cbranch_execz .LBB4_1995
; %bb.1988:                             ;   in Loop: Header=BB4_1589 Depth=2
	v_mov_b32_e32 v115, 0
	s_mov_b32 s29, exec_lo
	v_cmpx_ne_u32_e32 0, v117
	s_cbranch_execz .LBB4_1994
; %bb.1989:                             ;   in Loop: Header=BB4_1589 Depth=2
	v_bfe_u32 v115, v117, 23, 8
	v_and_b32_e32 v116, 0x7fffff, v117
	s_delay_alu instid0(VALU_DEP_2) | instskip(SKIP_1) | instid1(VALU_DEP_3)
	v_sub_nc_u32_e32 v118, 0x78, v115
	v_cmp_gt_u32_e32 vcc_lo, 0x79, v115
	v_or_b32_e32 v119, 0x800000, v116
	s_delay_alu instid0(VALU_DEP_3) | instskip(SKIP_2) | instid1(VALU_DEP_3)
	v_cndmask_b32_e32 v118, 0, v118, vcc_lo
	v_cmp_eq_u32_e32 vcc_lo, 0, v115
	v_add_nc_u32_e32 v115, 0xffffff89, v115
	v_cndmask_b32_e64 v118, v118, 0x77, vcc_lo
	v_cndmask_b32_e32 v116, v119, v116, vcc_lo
	s_delay_alu instid0(VALU_DEP_3) | instskip(NEXT) | instid1(VALU_DEP_3)
	v_cndmask_b32_e64 v115, v115, 0xffffff8a, vcc_lo
	v_lshl_add_u32 v119, 0x100000, v118, -1
	s_delay_alu instid0(VALU_DEP_3) | instskip(SKIP_1) | instid1(VALU_DEP_4)
	v_lshrrev_b32_e32 v128, v118, v116
	v_lshlrev_b32_e64 v130, v118, 0x80000
	v_add_nc_u32_e32 v118, v118, v115
	s_delay_alu instid0(VALU_DEP_4) | instskip(NEXT) | instid1(VALU_DEP_4)
	v_and_b32_e32 v116, v119, v116
	v_bfe_u32 v129, v128, 20, 1
	s_delay_alu instid0(VALU_DEP_2) | instskip(NEXT) | instid1(VALU_DEP_2)
	v_cmp_eq_u32_e64 s12, v116, v130
	v_add_nc_u32_e32 v119, -1, v129
	s_delay_alu instid0(VALU_DEP_1) | instskip(SKIP_2) | instid1(VALU_DEP_2)
	v_cndmask_b32_e64 v116, 0, v119, s12
	v_lshrrev_b32_e32 v119, 23, v128
	s_mov_b32 s12, exec_lo
	v_add_nc_u32_e32 v116, v116, v128
	s_delay_alu instid0(VALU_DEP_2) | instskip(NEXT) | instid1(VALU_DEP_2)
	v_xor_b32_e32 v119, 1, v119
	v_and_b32_e32 v115, 0xfffff, v116
	s_delay_alu instid0(VALU_DEP_1) | instskip(NEXT) | instid1(VALU_DEP_3)
	v_add_nc_u32_e32 v116, v115, v128
                                        ; implicit-def: $vgpr115
	v_cmpx_ne_u32_e64 v118, v119
	s_xor_b32 s12, exec_lo, s12
; %bb.1990:                             ;   in Loop: Header=BB4_1589 Depth=2
	s_delay_alu instid0(VALU_DEP_2) | instskip(SKIP_2) | instid1(VALU_DEP_2)
	v_cmp_lt_u32_e32 vcc_lo, 0xffffff, v116
	v_sub_nc_u32_e32 v115, v118, v119
	v_cndmask_b32_e64 v118, 0, 1, vcc_lo
	v_add_co_ci_u32_e32 v115, vcc_lo, 0, v115, vcc_lo
	s_delay_alu instid0(VALU_DEP_2)
	v_lshrrev_b32_e32 v116, v118, v116
; %bb.1991:                             ;   in Loop: Header=BB4_1589 Depth=2
	s_and_not1_saveexec_b32 s12, s12
; %bb.1992:                             ;   in Loop: Header=BB4_1589 Depth=2
	s_delay_alu instid0(VALU_DEP_1)
	v_bfe_u32 v115, v116, 23, 1
; %bb.1993:                             ;   in Loop: Header=BB4_1589 Depth=2
	s_or_b32 exec_lo, exec_lo, s12
	v_lshrrev_b32_e32 v116, 20, v116
	s_delay_alu instid0(VALU_DEP_2) | instskip(SKIP_2) | instid1(VALU_DEP_2)
	v_cmp_gt_i32_e32 vcc_lo, 16, v115
	v_lshrrev_b32_e32 v117, 24, v117
	v_min_i32_e32 v118, 15, v115
	v_dual_cndmask_b32 v116, 7, v116 :: v_dual_and_b32 v117, 0x80, v117
	s_delay_alu instid0(VALU_DEP_1) | instskip(SKIP_1) | instid1(VALU_DEP_2)
	v_or_b32_e32 v115, v115, v116
	v_and_b32_e32 v119, 7, v116
	v_cmp_ne_u32_e32 vcc_lo, 0, v115
	v_lshlrev_b32_e32 v118, 3, v118
	s_delay_alu instid0(VALU_DEP_1) | instskip(NEXT) | instid1(VALU_DEP_1)
	v_or3_b32 v116, v118, v117, v119
	v_cndmask_b32_e32 v115, 0, v116, vcc_lo
.LBB4_1994:                             ;   in Loop: Header=BB4_1589 Depth=2
	s_or_b32 exec_lo, exec_lo, s29
.LBB4_1995:                             ;   in Loop: Header=BB4_1589 Depth=2
	s_delay_alu instid0(SALU_CYCLE_1) | instskip(SKIP_3) | instid1(VALU_DEP_2)
	s_or_b32 exec_lo, exec_lo, s28
	v_lshrrev_b32_e32 v117, 16, v17
	v_lshrrev_b32_e32 v116, 16, v13
	s_and_b32 vcc_lo, exec_lo, s27
	v_and_b32_e32 v118, 0xff, v117
	s_delay_alu instid0(VALU_DEP_1)
	v_cmp_lt_i16_e64 s12, 0x7f, v118
	s_cbranch_vccz .LBB4_2005
; %bb.1996:                             ;   in Loop: Header=BB4_1589 Depth=2
	s_mov_b32 s28, 0
                                        ; implicit-def: $sgpr29
	s_delay_alu instid0(VALU_DEP_1) | instskip(NEXT) | instid1(SALU_CYCLE_1)
	s_and_saveexec_b32 vcc_lo, s12
	s_xor_b32 s12, exec_lo, vcc_lo
	s_cbranch_execnz .LBB4_2275
; %bb.1997:                             ;   in Loop: Header=BB4_1589 Depth=2
	s_or_saveexec_b32 s12, s12
	v_mov_b32_e32 v119, s29
	s_xor_b32 exec_lo, exec_lo, s12
	s_cbranch_execnz .LBB4_2278
.LBB4_1998:                             ;   in Loop: Header=BB4_1589 Depth=2
	s_or_b32 exec_lo, exec_lo, s12
	s_and_saveexec_b32 s12, s28
	s_cbranch_execz .LBB4_2000
.LBB4_1999:                             ;   in Loop: Header=BB4_1589 Depth=2
	v_bfe_u32 v119, v17, 16, 3
	v_bfe_u32 v130, v17, 19, 4
	v_lshlrev_b32_e32 v131, 24, v117
	s_delay_alu instid0(VALU_DEP_3) | instskip(NEXT) | instid1(VALU_DEP_3)
	v_clz_i32_u32_e32 v128, v119
	v_cmp_eq_u32_e32 vcc_lo, 0, v130
	s_delay_alu instid0(VALU_DEP_2) | instskip(NEXT) | instid1(VALU_DEP_1)
	v_min_u32_e32 v128, 32, v128
	v_subrev_nc_u32_e32 v129, 28, v128
	v_sub_nc_u32_e32 v128, 29, v128
	s_delay_alu instid0(VALU_DEP_1) | instskip(NEXT) | instid1(VALU_DEP_1)
	v_dual_cndmask_b32 v128, v130, v128 :: v_dual_lshlrev_b32 v129, v129, v117
	v_and_b32_e32 v129, 7, v129
	s_delay_alu instid0(VALU_DEP_2) | instskip(NEXT) | instid1(VALU_DEP_2)
	v_lshl_add_u32 v128, v128, 23, 0x3b800000
	v_cndmask_b32_e32 v119, v119, v129, vcc_lo
	v_and_b32_e32 v129, 0x80000000, v131
	s_delay_alu instid0(VALU_DEP_2) | instskip(NEXT) | instid1(VALU_DEP_1)
	v_lshlrev_b32_e32 v119, 20, v119
	v_or3_b32 v119, v129, v128, v119
.LBB4_2000:                             ;   in Loop: Header=BB4_1589 Depth=2
	s_or_b32 exec_lo, exec_lo, s12
	v_and_b32_e32 v129, 0xff, v116
	s_mov_b32 s12, 0
	s_mov_b32 s29, exec_lo
                                        ; implicit-def: $sgpr28
	s_delay_alu instid0(VALU_DEP_1)
	v_cmpx_lt_i16_e64 0x7f, v129
	s_xor_b32 s29, exec_lo, s29
	s_cbranch_execnz .LBB4_2279
; %bb.2001:                             ;   in Loop: Header=BB4_1589 Depth=2
	s_or_saveexec_b32 s29, s29
	v_mov_b32_e32 v128, s28
	s_xor_b32 exec_lo, exec_lo, s29
	s_cbranch_execnz .LBB4_2282
.LBB4_2002:                             ;   in Loop: Header=BB4_1589 Depth=2
	s_or_b32 exec_lo, exec_lo, s29
	s_and_saveexec_b32 s28, s12
	s_cbranch_execz .LBB4_2004
.LBB4_2003:                             ;   in Loop: Header=BB4_1589 Depth=2
	v_bfe_u32 v128, v13, 16, 3
	v_bfe_u32 v131, v13, 19, 4
	v_lshlrev_b32_e32 v132, 24, v116
	s_delay_alu instid0(VALU_DEP_3) | instskip(NEXT) | instid1(VALU_DEP_3)
	v_clz_i32_u32_e32 v129, v128
	v_cmp_eq_u32_e32 vcc_lo, 0, v131
	s_delay_alu instid0(VALU_DEP_2) | instskip(NEXT) | instid1(VALU_DEP_1)
	v_min_u32_e32 v129, 32, v129
	v_subrev_nc_u32_e32 v130, 28, v129
	v_sub_nc_u32_e32 v129, 29, v129
	s_delay_alu instid0(VALU_DEP_1) | instskip(NEXT) | instid1(VALU_DEP_1)
	v_dual_cndmask_b32 v129, v131, v129 :: v_dual_lshlrev_b32 v130, v130, v116
	v_and_b32_e32 v130, 7, v130
	s_delay_alu instid0(VALU_DEP_2) | instskip(NEXT) | instid1(VALU_DEP_2)
	v_lshl_add_u32 v129, v129, 23, 0x3b800000
	v_cndmask_b32_e32 v128, v128, v130, vcc_lo
	v_and_b32_e32 v130, 0x80000000, v132
	s_delay_alu instid0(VALU_DEP_2) | instskip(NEXT) | instid1(VALU_DEP_1)
	v_lshlrev_b32_e32 v128, 20, v128
	v_or3_b32 v128, v130, v129, v128
.LBB4_2004:                             ;   in Loop: Header=BB4_1589 Depth=2
	s_or_b32 exec_lo, exec_lo, s28
	s_delay_alu instid0(VALU_DEP_1) | instskip(SKIP_1) | instid1(VALU_DEP_1)
	v_dual_max_f32 v128, v128, v128 :: v_dual_max_f32 v119, v119, v119
	s_mov_b32 s12, 0
	v_max_f32_e32 v119, v119, v128
	s_branch .LBB4_2006
.LBB4_2005:                             ;   in Loop: Header=BB4_1589 Depth=2
	s_mov_b32 s12, -1
                                        ; implicit-def: $vgpr119
.LBB4_2006:                             ;   in Loop: Header=BB4_1589 Depth=2
	s_delay_alu instid0(SALU_CYCLE_1)
	s_and_b32 vcc_lo, exec_lo, s12
	s_cbranch_vccz .LBB4_2016
; %bb.2007:                             ;   in Loop: Header=BB4_1589 Depth=2
	s_mov_b32 s12, 0
	s_mov_b32 s29, exec_lo
                                        ; implicit-def: $sgpr28
	v_cmpx_lt_i16_e32 0x7f, v118
	s_xor_b32 s29, exec_lo, s29
	s_cbranch_execnz .LBB4_2283
; %bb.2008:                             ;   in Loop: Header=BB4_1589 Depth=2
	s_or_saveexec_b32 s29, s29
	v_mov_b32_e32 v119, s28
	s_xor_b32 exec_lo, exec_lo, s29
	s_cbranch_execnz .LBB4_2286
.LBB4_2009:                             ;   in Loop: Header=BB4_1589 Depth=2
	s_or_b32 exec_lo, exec_lo, s29
	s_and_saveexec_b32 s28, s12
	s_cbranch_execz .LBB4_2011
.LBB4_2010:                             ;   in Loop: Header=BB4_1589 Depth=2
	v_bfe_u32 v118, v17, 16, 3
	v_bfe_u32 v129, v17, 19, 4
	s_delay_alu instid0(VALU_DEP_2) | instskip(NEXT) | instid1(VALU_DEP_2)
	v_clz_i32_u32_e32 v119, v118
	v_cmp_eq_u32_e32 vcc_lo, 0, v129
	s_delay_alu instid0(VALU_DEP_2) | instskip(NEXT) | instid1(VALU_DEP_1)
	v_min_u32_e32 v119, 32, v119
	v_subrev_nc_u32_e32 v128, 28, v119
	v_sub_nc_u32_e32 v119, 29, v119
	s_delay_alu instid0(VALU_DEP_1) | instskip(NEXT) | instid1(VALU_DEP_1)
	v_dual_cndmask_b32 v119, v129, v119 :: v_dual_lshlrev_b32 v128, v128, v117
	v_and_b32_e32 v128, 7, v128
	v_lshlrev_b32_e32 v117, 24, v117
	s_delay_alu instid0(VALU_DEP_3) | instskip(NEXT) | instid1(VALU_DEP_2)
	v_lshl_add_u32 v119, v119, 23, 0x3b800000
	v_dual_cndmask_b32 v118, v118, v128 :: v_dual_and_b32 v117, 0x80000000, v117
	s_delay_alu instid0(VALU_DEP_1) | instskip(NEXT) | instid1(VALU_DEP_1)
	v_lshlrev_b32_e32 v118, 20, v118
	v_or3_b32 v119, v117, v119, v118
.LBB4_2011:                             ;   in Loop: Header=BB4_1589 Depth=2
	s_or_b32 exec_lo, exec_lo, s28
	v_and_b32_e32 v118, 0xff, v116
	s_mov_b32 s12, 0
	s_mov_b32 s29, exec_lo
                                        ; implicit-def: $sgpr28
	s_delay_alu instid0(VALU_DEP_1)
	v_cmpx_lt_i16_e32 0x7f, v118
	s_xor_b32 s29, exec_lo, s29
	s_cbranch_execnz .LBB4_2287
; %bb.2012:                             ;   in Loop: Header=BB4_1589 Depth=2
	s_or_saveexec_b32 s29, s29
	v_mov_b32_e32 v117, s28
	s_xor_b32 exec_lo, exec_lo, s29
	s_cbranch_execnz .LBB4_2290
.LBB4_2013:                             ;   in Loop: Header=BB4_1589 Depth=2
	s_or_b32 exec_lo, exec_lo, s29
	s_and_saveexec_b32 s28, s12
	s_cbranch_execz .LBB4_2015
.LBB4_2014:                             ;   in Loop: Header=BB4_1589 Depth=2
	v_bfe_u32 v117, v13, 16, 3
	v_bfe_u32 v129, v13, 19, 4
	s_delay_alu instid0(VALU_DEP_2) | instskip(NEXT) | instid1(VALU_DEP_2)
	v_clz_i32_u32_e32 v118, v117
	v_cmp_eq_u32_e32 vcc_lo, 0, v129
	s_delay_alu instid0(VALU_DEP_2) | instskip(NEXT) | instid1(VALU_DEP_1)
	v_min_u32_e32 v118, 32, v118
	v_subrev_nc_u32_e32 v128, 28, v118
	v_sub_nc_u32_e32 v118, 29, v118
	s_delay_alu instid0(VALU_DEP_2) | instskip(SKIP_1) | instid1(VALU_DEP_2)
	v_lshlrev_b32_e32 v128, v128, v116
	v_lshlrev_b32_e32 v116, 24, v116
	v_and_b32_e32 v128, 7, v128
	s_delay_alu instid0(VALU_DEP_2) | instskip(NEXT) | instid1(VALU_DEP_2)
	v_and_b32_e32 v116, 0x80000000, v116
	v_cndmask_b32_e32 v117, v117, v128, vcc_lo
	s_delay_alu instid0(VALU_DEP_1) | instskip(NEXT) | instid1(VALU_DEP_1)
	v_dual_cndmask_b32 v118, v129, v118 :: v_dual_lshlrev_b32 v117, 20, v117
	v_lshl_add_u32 v118, v118, 23, 0x3b800000
	s_delay_alu instid0(VALU_DEP_1)
	v_or3_b32 v117, v116, v118, v117
.LBB4_2015:                             ;   in Loop: Header=BB4_1589 Depth=2
	s_or_b32 exec_lo, exec_lo, s28
	s_delay_alu instid0(VALU_DEP_1) | instskip(NEXT) | instid1(VALU_DEP_1)
	v_dual_max_f32 v116, v117, v117 :: v_dual_max_f32 v117, v119, v119
	v_min_f32_e32 v119, v117, v116
.LBB4_2016:                             ;   in Loop: Header=BB4_1589 Depth=2
	s_delay_alu instid0(VALU_DEP_1) | instskip(NEXT) | instid1(VALU_DEP_1)
	v_and_b32_e32 v116, 0x7f800000, v119
	v_cmp_ne_u32_e32 vcc_lo, 0x7f800000, v116
	v_mov_b32_e32 v116, 0x80
	s_and_saveexec_b32 s28, vcc_lo
	s_cbranch_execz .LBB4_2024
; %bb.2017:                             ;   in Loop: Header=BB4_1589 Depth=2
	v_mov_b32_e32 v116, 0
	s_mov_b32 s29, exec_lo
	v_cmpx_ne_u32_e32 0, v119
	s_cbranch_execz .LBB4_2023
; %bb.2018:                             ;   in Loop: Header=BB4_1589 Depth=2
	v_bfe_u32 v116, v119, 23, 8
	s_delay_alu instid0(VALU_DEP_1) | instskip(SKIP_1) | instid1(VALU_DEP_2)
	v_sub_nc_u32_e32 v118, 0x78, v116
	v_cmp_gt_u32_e32 vcc_lo, 0x79, v116
	v_dual_cndmask_b32 v118, 0, v118 :: v_dual_and_b32 v117, 0x7fffff, v119
	s_delay_alu instid0(VALU_DEP_1) | instskip(SKIP_2) | instid1(VALU_DEP_4)
	v_or_b32_e32 v128, 0x800000, v117
	v_cmp_eq_u32_e32 vcc_lo, 0, v116
	v_add_nc_u32_e32 v116, 0xffffff89, v116
	v_cndmask_b32_e64 v118, v118, 0x77, vcc_lo
	s_delay_alu instid0(VALU_DEP_4) | instskip(NEXT) | instid1(VALU_DEP_3)
	v_cndmask_b32_e32 v117, v128, v117, vcc_lo
	v_cndmask_b32_e64 v116, v116, 0xffffff8a, vcc_lo
	s_delay_alu instid0(VALU_DEP_3) | instskip(NEXT) | instid1(VALU_DEP_3)
	v_lshl_add_u32 v128, 0x100000, v118, -1
	v_lshrrev_b32_e32 v129, v118, v117
	v_lshlrev_b32_e64 v131, v118, 0x80000
	s_delay_alu instid0(VALU_DEP_4) | instskip(NEXT) | instid1(VALU_DEP_4)
	v_add_nc_u32_e32 v118, v118, v116
	v_and_b32_e32 v117, v128, v117
	s_delay_alu instid0(VALU_DEP_4) | instskip(NEXT) | instid1(VALU_DEP_2)
	v_bfe_u32 v130, v129, 20, 1
	v_cmp_eq_u32_e64 s12, v117, v131
	s_delay_alu instid0(VALU_DEP_2) | instskip(NEXT) | instid1(VALU_DEP_1)
	v_add_nc_u32_e32 v128, -1, v130
	v_cndmask_b32_e64 v117, 0, v128, s12
	v_lshrrev_b32_e32 v128, 23, v129
	s_mov_b32 s12, exec_lo
	s_delay_alu instid0(VALU_DEP_2) | instskip(NEXT) | instid1(VALU_DEP_2)
	v_add_nc_u32_e32 v117, v117, v129
	v_xor_b32_e32 v128, 1, v128
	s_delay_alu instid0(VALU_DEP_2) | instskip(NEXT) | instid1(VALU_DEP_1)
	v_and_b32_e32 v116, 0xfffff, v117
	v_add_nc_u32_e32 v117, v116, v129
                                        ; implicit-def: $vgpr116
	s_delay_alu instid0(VALU_DEP_3)
	v_cmpx_ne_u32_e64 v118, v128
	s_xor_b32 s12, exec_lo, s12
; %bb.2019:                             ;   in Loop: Header=BB4_1589 Depth=2
	s_delay_alu instid0(VALU_DEP_2) | instskip(SKIP_2) | instid1(VALU_DEP_2)
	v_cmp_lt_u32_e32 vcc_lo, 0xffffff, v117
	v_sub_nc_u32_e32 v116, v118, v128
	v_cndmask_b32_e64 v118, 0, 1, vcc_lo
	v_add_co_ci_u32_e32 v116, vcc_lo, 0, v116, vcc_lo
	s_delay_alu instid0(VALU_DEP_2)
	v_lshrrev_b32_e32 v117, v118, v117
; %bb.2020:                             ;   in Loop: Header=BB4_1589 Depth=2
	s_and_not1_saveexec_b32 s12, s12
; %bb.2021:                             ;   in Loop: Header=BB4_1589 Depth=2
	s_delay_alu instid0(VALU_DEP_1)
	v_bfe_u32 v116, v117, 23, 1
; %bb.2022:                             ;   in Loop: Header=BB4_1589 Depth=2
	s_or_b32 exec_lo, exec_lo, s12
	v_lshrrev_b32_e32 v117, 20, v117
	s_delay_alu instid0(VALU_DEP_2) | instskip(SKIP_2) | instid1(VALU_DEP_2)
	v_cmp_gt_i32_e32 vcc_lo, 16, v116
	v_min_i32_e32 v118, 15, v116
	v_lshrrev_b32_e32 v119, 24, v119
	v_dual_cndmask_b32 v117, 7, v117 :: v_dual_lshlrev_b32 v118, 3, v118
	s_delay_alu instid0(VALU_DEP_1) | instskip(SKIP_1) | instid1(VALU_DEP_3)
	v_or_b32_e32 v116, v116, v117
	v_and_b32_e32 v128, 7, v117
	v_and_b32_e32 v118, 0xf8, v118
	s_delay_alu instid0(VALU_DEP_3) | instskip(SKIP_1) | instid1(VALU_DEP_1)
	v_cmp_ne_u32_e32 vcc_lo, 0, v116
	v_and_b32_e32 v119, 0x80, v119
	v_or3_b32 v117, v118, v119, v128
	s_delay_alu instid0(VALU_DEP_1)
	v_cndmask_b32_e32 v116, 0, v117, vcc_lo
.LBB4_2023:                             ;   in Loop: Header=BB4_1589 Depth=2
	s_or_b32 exec_lo, exec_lo, s29
.LBB4_2024:                             ;   in Loop: Header=BB4_1589 Depth=2
	s_delay_alu instid0(SALU_CYCLE_1) | instskip(SKIP_3) | instid1(VALU_DEP_2)
	s_or_b32 exec_lo, exec_lo, s28
	v_lshrrev_b32_e32 v118, 24, v17
	v_lshrrev_b32_e32 v117, 24, v13
	s_and_b32 vcc_lo, exec_lo, s27
	v_cmp_lt_i16_e64 s12, 0x7f, v118
	s_cbranch_vccz .LBB4_2034
; %bb.2025:                             ;   in Loop: Header=BB4_1589 Depth=2
	s_mov_b32 s28, 0
                                        ; implicit-def: $sgpr29
	s_delay_alu instid0(VALU_DEP_1) | instskip(NEXT) | instid1(SALU_CYCLE_1)
	s_and_saveexec_b32 vcc_lo, s12
	s_xor_b32 s12, exec_lo, vcc_lo
	s_cbranch_execnz .LBB4_2291
; %bb.2026:                             ;   in Loop: Header=BB4_1589 Depth=2
	s_or_saveexec_b32 s12, s12
	v_mov_b32_e32 v119, s29
	s_xor_b32 exec_lo, exec_lo, s12
	s_cbranch_execnz .LBB4_2294
.LBB4_2027:                             ;   in Loop: Header=BB4_1589 Depth=2
	s_or_b32 exec_lo, exec_lo, s12
	s_and_saveexec_b32 s12, s28
	s_cbranch_execz .LBB4_2029
.LBB4_2028:                             ;   in Loop: Header=BB4_1589 Depth=2
	v_bfe_u32 v119, v17, 24, 3
	v_bfe_u32 v130, v17, 27, 4
	s_delay_alu instid0(VALU_DEP_2) | instskip(NEXT) | instid1(VALU_DEP_2)
	v_clz_i32_u32_e32 v128, v119
	v_cmp_eq_u32_e32 vcc_lo, 0, v130
	s_delay_alu instid0(VALU_DEP_2) | instskip(NEXT) | instid1(VALU_DEP_1)
	v_min_u32_e32 v128, 32, v128
	v_subrev_nc_u32_e32 v129, 28, v128
	v_sub_nc_u32_e32 v128, 29, v128
	s_delay_alu instid0(VALU_DEP_1) | instskip(NEXT) | instid1(VALU_DEP_1)
	v_dual_cndmask_b32 v128, v130, v128 :: v_dual_lshlrev_b32 v129, v129, v118
	v_and_b32_e32 v129, 7, v129
	s_delay_alu instid0(VALU_DEP_2) | instskip(NEXT) | instid1(VALU_DEP_2)
	v_lshl_add_u32 v128, v128, 23, 0x3b800000
	v_cndmask_b32_e32 v119, v119, v129, vcc_lo
	v_and_b32_e32 v129, 0x80000000, v17
	s_delay_alu instid0(VALU_DEP_2) | instskip(NEXT) | instid1(VALU_DEP_1)
	v_lshlrev_b32_e32 v119, 20, v119
	v_or3_b32 v119, v129, v128, v119
.LBB4_2029:                             ;   in Loop: Header=BB4_1589 Depth=2
	s_or_b32 exec_lo, exec_lo, s12
	s_mov_b32 s12, 0
	s_mov_b32 s29, exec_lo
                                        ; implicit-def: $sgpr28
	v_cmpx_lt_i16_e32 0x7f, v117
	s_xor_b32 s29, exec_lo, s29
	s_cbranch_execnz .LBB4_2295
; %bb.2030:                             ;   in Loop: Header=BB4_1589 Depth=2
	s_or_saveexec_b32 s29, s29
	v_mov_b32_e32 v128, s28
	s_xor_b32 exec_lo, exec_lo, s29
	s_cbranch_execnz .LBB4_2298
.LBB4_2031:                             ;   in Loop: Header=BB4_1589 Depth=2
	s_or_b32 exec_lo, exec_lo, s29
	s_and_saveexec_b32 s28, s12
	s_cbranch_execz .LBB4_2033
.LBB4_2032:                             ;   in Loop: Header=BB4_1589 Depth=2
	v_bfe_u32 v128, v13, 24, 3
	v_bfe_u32 v131, v13, 27, 4
	s_delay_alu instid0(VALU_DEP_2) | instskip(NEXT) | instid1(VALU_DEP_2)
	v_clz_i32_u32_e32 v129, v128
	v_cmp_eq_u32_e32 vcc_lo, 0, v131
	s_delay_alu instid0(VALU_DEP_2) | instskip(NEXT) | instid1(VALU_DEP_1)
	v_min_u32_e32 v129, 32, v129
	v_subrev_nc_u32_e32 v130, 28, v129
	v_sub_nc_u32_e32 v129, 29, v129
	s_delay_alu instid0(VALU_DEP_2) | instskip(NEXT) | instid1(VALU_DEP_1)
	v_lshlrev_b32_e32 v130, v130, v117
	v_dual_cndmask_b32 v129, v131, v129 :: v_dual_and_b32 v130, 7, v130
	s_delay_alu instid0(VALU_DEP_1) | instskip(NEXT) | instid1(VALU_DEP_2)
	v_lshl_add_u32 v129, v129, 23, 0x3b800000
	v_cndmask_b32_e32 v128, v128, v130, vcc_lo
	v_and_b32_e32 v130, 0x80000000, v13
	s_delay_alu instid0(VALU_DEP_2) | instskip(NEXT) | instid1(VALU_DEP_1)
	v_lshlrev_b32_e32 v128, 20, v128
	v_or3_b32 v128, v130, v129, v128
.LBB4_2033:                             ;   in Loop: Header=BB4_1589 Depth=2
	s_or_b32 exec_lo, exec_lo, s28
	s_delay_alu instid0(VALU_DEP_1) | instskip(SKIP_1) | instid1(VALU_DEP_1)
	v_dual_max_f32 v128, v128, v128 :: v_dual_max_f32 v119, v119, v119
	s_mov_b32 s12, 0
	v_max_f32_e32 v119, v119, v128
	s_branch .LBB4_2035
.LBB4_2034:                             ;   in Loop: Header=BB4_1589 Depth=2
	s_mov_b32 s12, -1
                                        ; implicit-def: $vgpr119
.LBB4_2035:                             ;   in Loop: Header=BB4_1589 Depth=2
	s_delay_alu instid0(SALU_CYCLE_1)
	s_and_b32 vcc_lo, exec_lo, s12
	s_cbranch_vccz .LBB4_2045
; %bb.2036:                             ;   in Loop: Header=BB4_1589 Depth=2
	s_mov_b32 s12, 0
	s_mov_b32 s29, exec_lo
                                        ; implicit-def: $sgpr28
	v_cmpx_lt_i16_e32 0x7f, v118
	s_xor_b32 s29, exec_lo, s29
	s_cbranch_execnz .LBB4_2299
; %bb.2037:                             ;   in Loop: Header=BB4_1589 Depth=2
	s_or_saveexec_b32 s29, s29
	v_mov_b32_e32 v119, s28
	s_xor_b32 exec_lo, exec_lo, s29
	s_cbranch_execnz .LBB4_2302
.LBB4_2038:                             ;   in Loop: Header=BB4_1589 Depth=2
	s_or_b32 exec_lo, exec_lo, s29
	s_and_saveexec_b32 s28, s12
	s_cbranch_execz .LBB4_2040
.LBB4_2039:                             ;   in Loop: Header=BB4_1589 Depth=2
	v_bfe_u32 v119, v17, 24, 3
	s_delay_alu instid0(VALU_DEP_1) | instskip(NEXT) | instid1(VALU_DEP_1)
	v_clz_i32_u32_e32 v128, v119
	v_min_u32_e32 v128, 32, v128
	s_delay_alu instid0(VALU_DEP_1) | instskip(SKIP_1) | instid1(VALU_DEP_2)
	v_subrev_nc_u32_e32 v129, 28, v128
	v_sub_nc_u32_e32 v128, 29, v128
	v_lshlrev_b32_e32 v118, v129, v118
	v_bfe_u32 v129, v17, 27, 4
	v_and_b32_e32 v17, 0x80000000, v17
	s_delay_alu instid0(VALU_DEP_3) | instskip(NEXT) | instid1(VALU_DEP_3)
	v_and_b32_e32 v118, 7, v118
	v_cmp_eq_u32_e32 vcc_lo, 0, v129
	v_cndmask_b32_e32 v128, v129, v128, vcc_lo
	s_delay_alu instid0(VALU_DEP_3) | instskip(NEXT) | instid1(VALU_DEP_2)
	v_cndmask_b32_e32 v118, v119, v118, vcc_lo
	v_lshl_add_u32 v119, v128, 23, 0x3b800000
	s_delay_alu instid0(VALU_DEP_2) | instskip(NEXT) | instid1(VALU_DEP_1)
	v_lshlrev_b32_e32 v118, 20, v118
	v_or3_b32 v119, v17, v119, v118
.LBB4_2040:                             ;   in Loop: Header=BB4_1589 Depth=2
	s_or_b32 exec_lo, exec_lo, s28
	s_mov_b32 s12, 0
	s_mov_b32 s29, exec_lo
                                        ; implicit-def: $sgpr28
	v_cmpx_lt_i16_e32 0x7f, v117
	s_xor_b32 s29, exec_lo, s29
	s_cbranch_execnz .LBB4_2303
; %bb.2041:                             ;   in Loop: Header=BB4_1589 Depth=2
	s_or_saveexec_b32 s29, s29
	v_mov_b32_e32 v17, s28
	s_xor_b32 exec_lo, exec_lo, s29
	s_cbranch_execnz .LBB4_2306
.LBB4_2042:                             ;   in Loop: Header=BB4_1589 Depth=2
	s_or_b32 exec_lo, exec_lo, s29
	s_and_saveexec_b32 s28, s12
	s_cbranch_execz .LBB4_2044
.LBB4_2043:                             ;   in Loop: Header=BB4_1589 Depth=2
	v_bfe_u32 v17, v13, 24, 3
	s_delay_alu instid0(VALU_DEP_1) | instskip(NEXT) | instid1(VALU_DEP_1)
	v_clz_i32_u32_e32 v118, v17
	v_min_u32_e32 v118, 32, v118
	s_delay_alu instid0(VALU_DEP_1) | instskip(SKIP_1) | instid1(VALU_DEP_2)
	v_subrev_nc_u32_e32 v128, 28, v118
	v_sub_nc_u32_e32 v118, 29, v118
	v_lshlrev_b32_e32 v117, v128, v117
	v_bfe_u32 v128, v13, 27, 4
	v_and_b32_e32 v13, 0x80000000, v13
	s_delay_alu instid0(VALU_DEP_2) | instskip(NEXT) | instid1(VALU_DEP_4)
	v_cmp_eq_u32_e32 vcc_lo, 0, v128
	v_dual_cndmask_b32 v118, v128, v118 :: v_dual_and_b32 v117, 7, v117
	s_delay_alu instid0(VALU_DEP_1) | instskip(NEXT) | instid1(VALU_DEP_2)
	v_cndmask_b32_e32 v17, v17, v117, vcc_lo
	v_lshl_add_u32 v117, v118, 23, 0x3b800000
	s_delay_alu instid0(VALU_DEP_2) | instskip(NEXT) | instid1(VALU_DEP_1)
	v_lshlrev_b32_e32 v17, 20, v17
	v_or3_b32 v17, v13, v117, v17
.LBB4_2044:                             ;   in Loop: Header=BB4_1589 Depth=2
	s_or_b32 exec_lo, exec_lo, s28
	s_delay_alu instid0(VALU_DEP_1) | instskip(SKIP_1) | instid1(VALU_DEP_1)
	v_max_f32_e32 v13, v17, v17
	v_max_f32_e32 v17, v119, v119
	v_min_f32_e32 v119, v17, v13
.LBB4_2045:                             ;   in Loop: Header=BB4_1589 Depth=2
	s_delay_alu instid0(VALU_DEP_1) | instskip(NEXT) | instid1(VALU_DEP_1)
	v_and_b32_e32 v13, 0x7f800000, v119
	v_cmp_ne_u32_e32 vcc_lo, 0x7f800000, v13
	v_mov_b32_e32 v13, 0x8000
	s_and_saveexec_b32 s28, vcc_lo
	s_cbranch_execz .LBB4_1588
; %bb.2046:                             ;   in Loop: Header=BB4_1589 Depth=2
	v_mov_b32_e32 v13, 0
	s_mov_b32 s29, exec_lo
	v_cmpx_ne_u32_e32 0, v119
	s_cbranch_execz .LBB4_1587
; %bb.2047:                             ;   in Loop: Header=BB4_1589 Depth=2
	v_bfe_u32 v13, v119, 23, 8
	v_and_b32_e32 v17, 0x7fffff, v119
	s_delay_alu instid0(VALU_DEP_2) | instskip(SKIP_1) | instid1(VALU_DEP_3)
	v_sub_nc_u32_e32 v117, 0x78, v13
	v_cmp_gt_u32_e32 vcc_lo, 0x79, v13
	v_or_b32_e32 v118, 0x800000, v17
	s_delay_alu instid0(VALU_DEP_3) | instskip(SKIP_2) | instid1(VALU_DEP_3)
	v_cndmask_b32_e32 v117, 0, v117, vcc_lo
	v_cmp_eq_u32_e32 vcc_lo, 0, v13
	v_add_nc_u32_e32 v13, 0xffffff89, v13
	v_cndmask_b32_e64 v117, v117, 0x77, vcc_lo
	v_cndmask_b32_e32 v17, v118, v17, vcc_lo
	s_delay_alu instid0(VALU_DEP_3) | instskip(NEXT) | instid1(VALU_DEP_3)
	v_cndmask_b32_e64 v13, v13, 0xffffff8a, vcc_lo
	v_lshl_add_u32 v118, 0x100000, v117, -1
	s_delay_alu instid0(VALU_DEP_3) | instskip(SKIP_1) | instid1(VALU_DEP_4)
	v_lshrrev_b32_e32 v128, v117, v17
	v_lshlrev_b32_e64 v130, v117, 0x80000
	v_add_nc_u32_e32 v117, v117, v13
	s_delay_alu instid0(VALU_DEP_4) | instskip(NEXT) | instid1(VALU_DEP_4)
	v_and_b32_e32 v17, v118, v17
	v_bfe_u32 v129, v128, 20, 1
	s_delay_alu instid0(VALU_DEP_2) | instskip(NEXT) | instid1(VALU_DEP_2)
	v_cmp_eq_u32_e64 s12, v17, v130
	v_add_nc_u32_e32 v118, -1, v129
	s_delay_alu instid0(VALU_DEP_1) | instskip(SKIP_2) | instid1(VALU_DEP_2)
	v_cndmask_b32_e64 v17, 0, v118, s12
	v_lshrrev_b32_e32 v118, 23, v128
	s_mov_b32 s12, exec_lo
	v_add_nc_u32_e32 v17, v17, v128
	s_delay_alu instid0(VALU_DEP_2) | instskip(NEXT) | instid1(VALU_DEP_2)
	v_xor_b32_e32 v118, 1, v118
	v_and_b32_e32 v13, 0xfffff, v17
	s_delay_alu instid0(VALU_DEP_1) | instskip(NEXT) | instid1(VALU_DEP_3)
	v_add_nc_u32_e32 v17, v13, v128
                                        ; implicit-def: $vgpr13
	v_cmpx_ne_u32_e64 v117, v118
	s_xor_b32 s12, exec_lo, s12
; %bb.2048:                             ;   in Loop: Header=BB4_1589 Depth=2
	s_delay_alu instid0(VALU_DEP_2) | instskip(SKIP_2) | instid1(VALU_DEP_2)
	v_cmp_lt_u32_e32 vcc_lo, 0xffffff, v17
	v_sub_nc_u32_e32 v13, v117, v118
	v_cndmask_b32_e64 v117, 0, 1, vcc_lo
	v_add_co_ci_u32_e32 v13, vcc_lo, 0, v13, vcc_lo
	s_delay_alu instid0(VALU_DEP_2)
	v_lshrrev_b32_e32 v17, v117, v17
; %bb.2049:                             ;   in Loop: Header=BB4_1589 Depth=2
	s_and_not1_saveexec_b32 s12, s12
	s_cbranch_execz .LBB4_1586
; %bb.2050:                             ;   in Loop: Header=BB4_1589 Depth=2
	s_delay_alu instid0(VALU_DEP_1)
	v_bfe_u32 v13, v17, 23, 1
	s_branch .LBB4_1586
.LBB4_2051:                             ;   in Loop: Header=BB4_1589 Depth=2
	s_mov_b32 s28, -1
	s_mov_b32 vcc_hi, exec_lo
                                        ; implicit-def: $sgpr29
	v_cmpx_eq_u16_e32 0x80, v68
; %bb.2052:                             ;   in Loop: Header=BB4_1589 Depth=2
	s_mov_b32 s29, 0x7f800001
	s_xor_b32 s28, exec_lo, -1
; %bb.2053:                             ;   in Loop: Header=BB4_1589 Depth=2
	s_or_b32 exec_lo, exec_lo, vcc_hi
	s_delay_alu instid0(SALU_CYCLE_1)
	s_and_b32 s28, s28, exec_lo
	s_or_saveexec_b32 s12, s12
	v_mov_b32_e32 v69, s29
	s_xor_b32 exec_lo, exec_lo, s12
	s_cbranch_execz .LBB4_1592
.LBB4_2054:                             ;   in Loop: Header=BB4_1589 Depth=2
	v_cmp_ne_u16_e32 vcc_lo, 0, v68
	v_mov_b32_e32 v69, 0
	s_and_not1_b32 s28, s28, exec_lo
	s_and_b32 s29, vcc_lo, exec_lo
	s_delay_alu instid0(SALU_CYCLE_1)
	s_or_b32 s28, s28, s29
	s_or_b32 exec_lo, exec_lo, s12
	s_and_saveexec_b32 s12, s28
	s_cbranch_execnz .LBB4_1593
	s_branch .LBB4_1594
.LBB4_2055:                             ;   in Loop: Header=BB4_1589 Depth=2
	s_mov_b32 s12, -1
	s_mov_b32 vcc_hi, exec_lo
                                        ; implicit-def: $sgpr28
	v_cmpx_eq_u16_e32 0x80, v71
; %bb.2056:                             ;   in Loop: Header=BB4_1589 Depth=2
	s_mov_b32 s28, 0x7f800001
	s_xor_b32 s12, exec_lo, -1
; %bb.2057:                             ;   in Loop: Header=BB4_1589 Depth=2
	s_or_b32 exec_lo, exec_lo, vcc_hi
	s_delay_alu instid0(SALU_CYCLE_1)
	s_and_b32 s12, s12, exec_lo
                                        ; implicit-def: $vgpr71
	s_or_saveexec_b32 s29, s29
	v_mov_b32_e32 v70, s28
	s_xor_b32 exec_lo, exec_lo, s29
	s_cbranch_execz .LBB4_1596
.LBB4_2058:                             ;   in Loop: Header=BB4_1589 Depth=2
	v_cmp_ne_u16_e32 vcc_lo, 0, v71
	v_mov_b32_e32 v70, 0
	s_and_not1_b32 s12, s12, exec_lo
	s_and_b32 s28, vcc_lo, exec_lo
	s_delay_alu instid0(SALU_CYCLE_1)
	s_or_b32 s12, s12, s28
	s_or_b32 exec_lo, exec_lo, s29
	s_and_saveexec_b32 s28, s12
	s_cbranch_execnz .LBB4_1597
	s_branch .LBB4_1598
.LBB4_2059:                             ;   in Loop: Header=BB4_1589 Depth=2
	s_mov_b32 s12, -1
	s_mov_b32 vcc_hi, exec_lo
                                        ; implicit-def: $sgpr28
	v_cmpx_eq_u16_e32 0x80, v68
; %bb.2060:                             ;   in Loop: Header=BB4_1589 Depth=2
	s_mov_b32 s28, 0x7f800001
	s_xor_b32 s12, exec_lo, -1
; %bb.2061:                             ;   in Loop: Header=BB4_1589 Depth=2
	s_or_b32 exec_lo, exec_lo, vcc_hi
	s_delay_alu instid0(SALU_CYCLE_1)
	s_and_b32 s12, s12, exec_lo
                                        ; implicit-def: $vgpr68
	s_or_saveexec_b32 s29, s29
	v_mov_b32_e32 v69, s28
	s_xor_b32 exec_lo, exec_lo, s29
	s_cbranch_execz .LBB4_1603
.LBB4_2062:                             ;   in Loop: Header=BB4_1589 Depth=2
	v_cmp_ne_u16_e32 vcc_lo, 0, v68
	v_mov_b32_e32 v69, 0
	s_and_not1_b32 s12, s12, exec_lo
	s_and_b32 s28, vcc_lo, exec_lo
	s_delay_alu instid0(SALU_CYCLE_1)
	s_or_b32 s12, s12, s28
	s_or_b32 exec_lo, exec_lo, s29
	s_and_saveexec_b32 s28, s12
	s_cbranch_execnz .LBB4_1604
	s_branch .LBB4_1605
.LBB4_2063:                             ;   in Loop: Header=BB4_1589 Depth=2
	s_mov_b32 s12, -1
	s_mov_b32 vcc_hi, exec_lo
                                        ; implicit-def: $sgpr28
	v_cmpx_eq_u16_e32 0x80, v70
; %bb.2064:                             ;   in Loop: Header=BB4_1589 Depth=2
	s_mov_b32 s28, 0x7f800001
	s_xor_b32 s12, exec_lo, -1
; %bb.2065:                             ;   in Loop: Header=BB4_1589 Depth=2
	s_or_b32 exec_lo, exec_lo, vcc_hi
	s_delay_alu instid0(SALU_CYCLE_1)
	s_and_b32 s12, s12, exec_lo
                                        ; implicit-def: $vgpr70
	s_or_saveexec_b32 s29, s29
	v_mov_b32_e32 v68, s28
	s_xor_b32 exec_lo, exec_lo, s29
	s_cbranch_execz .LBB4_1607
.LBB4_2066:                             ;   in Loop: Header=BB4_1589 Depth=2
	v_cmp_ne_u16_e32 vcc_lo, 0, v70
	v_mov_b32_e32 v68, 0
	s_and_not1_b32 s12, s12, exec_lo
	s_and_b32 s28, vcc_lo, exec_lo
	s_delay_alu instid0(SALU_CYCLE_1)
	s_or_b32 s12, s12, s28
	s_or_b32 exec_lo, exec_lo, s29
	s_and_saveexec_b32 s28, s12
	s_cbranch_execnz .LBB4_1608
	s_branch .LBB4_1609
.LBB4_2067:                             ;   in Loop: Header=BB4_1589 Depth=2
	s_mov_b32 s28, -1
	s_mov_b32 vcc_hi, exec_lo
                                        ; implicit-def: $sgpr29
	v_cmpx_eq_u16_e32 0x80, v70
; %bb.2068:                             ;   in Loop: Header=BB4_1589 Depth=2
	s_mov_b32 s29, 0x7f800001
	s_xor_b32 s28, exec_lo, -1
; %bb.2069:                             ;   in Loop: Header=BB4_1589 Depth=2
	s_or_b32 exec_lo, exec_lo, vcc_hi
	s_delay_alu instid0(SALU_CYCLE_1)
	s_and_b32 s28, s28, exec_lo
	s_or_saveexec_b32 s12, s12
	v_mov_b32_e32 v71, s29
	s_xor_b32 exec_lo, exec_lo, s12
	s_cbranch_execz .LBB4_1621
.LBB4_2070:                             ;   in Loop: Header=BB4_1589 Depth=2
	v_cmp_ne_u16_e32 vcc_lo, 0, v70
	v_mov_b32_e32 v71, 0
	s_and_not1_b32 s28, s28, exec_lo
	s_and_b32 s29, vcc_lo, exec_lo
	s_delay_alu instid0(SALU_CYCLE_1)
	s_or_b32 s28, s28, s29
	s_or_b32 exec_lo, exec_lo, s12
	s_and_saveexec_b32 s12, s28
	s_cbranch_execnz .LBB4_1622
	s_branch .LBB4_1623
.LBB4_2071:                             ;   in Loop: Header=BB4_1589 Depth=2
	s_mov_b32 s12, -1
	s_mov_b32 vcc_hi, exec_lo
                                        ; implicit-def: $sgpr28
	v_cmpx_eq_u16_e32 0x80, v69
; %bb.2072:                             ;   in Loop: Header=BB4_1589 Depth=2
	s_mov_b32 s28, 0x7f800001
	s_xor_b32 s12, exec_lo, -1
; %bb.2073:                             ;   in Loop: Header=BB4_1589 Depth=2
	s_or_b32 exec_lo, exec_lo, vcc_hi
	s_delay_alu instid0(SALU_CYCLE_1)
	s_and_b32 s12, s12, exec_lo
	s_or_saveexec_b32 s29, s29
	v_mov_b32_e32 v112, s28
	s_xor_b32 exec_lo, exec_lo, s29
	s_cbranch_execz .LBB4_1625
.LBB4_2074:                             ;   in Loop: Header=BB4_1589 Depth=2
	v_cmp_ne_u16_e32 vcc_lo, 0, v69
	v_mov_b32_e32 v112, 0
	s_and_not1_b32 s12, s12, exec_lo
	s_and_b32 s28, vcc_lo, exec_lo
	s_delay_alu instid0(SALU_CYCLE_1)
	s_or_b32 s12, s12, s28
	s_or_b32 exec_lo, exec_lo, s29
	s_and_saveexec_b32 s28, s12
	s_cbranch_execnz .LBB4_1626
	s_branch .LBB4_1627
.LBB4_2075:                             ;   in Loop: Header=BB4_1589 Depth=2
	s_mov_b32 s12, -1
	s_mov_b32 vcc_hi, exec_lo
                                        ; implicit-def: $sgpr28
	v_cmpx_eq_u16_e32 0x80, v70
; %bb.2076:                             ;   in Loop: Header=BB4_1589 Depth=2
	s_mov_b32 s28, 0x7f800001
	s_xor_b32 s12, exec_lo, -1
; %bb.2077:                             ;   in Loop: Header=BB4_1589 Depth=2
	s_or_b32 exec_lo, exec_lo, vcc_hi
	s_delay_alu instid0(SALU_CYCLE_1)
	s_and_b32 s12, s12, exec_lo
	s_or_saveexec_b32 s29, s29
	v_mov_b32_e32 v71, s28
	s_xor_b32 exec_lo, exec_lo, s29
	s_cbranch_execz .LBB4_1632
.LBB4_2078:                             ;   in Loop: Header=BB4_1589 Depth=2
	v_cmp_ne_u16_e32 vcc_lo, 0, v70
	v_mov_b32_e32 v71, 0
	s_and_not1_b32 s12, s12, exec_lo
	s_and_b32 s28, vcc_lo, exec_lo
	s_delay_alu instid0(SALU_CYCLE_1)
	s_or_b32 s12, s12, s28
	s_or_b32 exec_lo, exec_lo, s29
	s_and_saveexec_b32 s28, s12
	s_cbranch_execnz .LBB4_1633
	s_branch .LBB4_1634
.LBB4_2079:                             ;   in Loop: Header=BB4_1589 Depth=2
	s_mov_b32 s12, -1
	s_mov_b32 vcc_hi, exec_lo
                                        ; implicit-def: $sgpr28
	v_cmpx_eq_u16_e32 0x80, v69
; %bb.2080:                             ;   in Loop: Header=BB4_1589 Depth=2
	s_mov_b32 s28, 0x7f800001
	s_xor_b32 s12, exec_lo, -1
; %bb.2081:                             ;   in Loop: Header=BB4_1589 Depth=2
	s_or_b32 exec_lo, exec_lo, vcc_hi
	s_delay_alu instid0(SALU_CYCLE_1)
	s_and_b32 s12, s12, exec_lo
	s_or_saveexec_b32 s29, s29
	v_mov_b32_e32 v70, s28
	s_xor_b32 exec_lo, exec_lo, s29
	s_cbranch_execz .LBB4_1636
.LBB4_2082:                             ;   in Loop: Header=BB4_1589 Depth=2
	v_cmp_ne_u16_e32 vcc_lo, 0, v69
	v_mov_b32_e32 v70, 0
	s_and_not1_b32 s12, s12, exec_lo
	s_and_b32 s28, vcc_lo, exec_lo
	s_delay_alu instid0(SALU_CYCLE_1)
	s_or_b32 s12, s12, s28
	s_or_b32 exec_lo, exec_lo, s29
	s_and_saveexec_b32 s28, s12
	s_cbranch_execnz .LBB4_1637
	s_branch .LBB4_1638
.LBB4_2083:                             ;   in Loop: Header=BB4_1589 Depth=2
	s_mov_b32 s28, -1
	s_mov_b32 vcc_hi, exec_lo
                                        ; implicit-def: $sgpr29
	v_cmpx_eq_u16_e32 0x80, v112
; %bb.2084:                             ;   in Loop: Header=BB4_1589 Depth=2
	s_mov_b32 s29, 0x7f800001
	s_xor_b32 s28, exec_lo, -1
; %bb.2085:                             ;   in Loop: Header=BB4_1589 Depth=2
	s_or_b32 exec_lo, exec_lo, vcc_hi
	s_delay_alu instid0(SALU_CYCLE_1)
	s_and_b32 s28, s28, exec_lo
	s_or_saveexec_b32 s12, s12
	v_mov_b32_e32 v113, s29
	s_xor_b32 exec_lo, exec_lo, s12
	s_cbranch_execz .LBB4_1650
.LBB4_2086:                             ;   in Loop: Header=BB4_1589 Depth=2
	v_cmp_ne_u16_e32 vcc_lo, 0, v112
	v_mov_b32_e32 v113, 0
	s_and_not1_b32 s28, s28, exec_lo
	s_and_b32 s29, vcc_lo, exec_lo
	s_delay_alu instid0(SALU_CYCLE_1)
	s_or_b32 s28, s28, s29
	s_or_b32 exec_lo, exec_lo, s12
	s_and_saveexec_b32 s12, s28
	s_cbranch_execnz .LBB4_1651
	s_branch .LBB4_1652
.LBB4_2087:                             ;   in Loop: Header=BB4_1589 Depth=2
	s_mov_b32 s12, -1
	s_mov_b32 vcc_hi, exec_lo
                                        ; implicit-def: $sgpr28
	v_cmpx_eq_u16_e32 0x80, v115
; %bb.2088:                             ;   in Loop: Header=BB4_1589 Depth=2
	s_mov_b32 s28, 0x7f800001
	s_xor_b32 s12, exec_lo, -1
; %bb.2089:                             ;   in Loop: Header=BB4_1589 Depth=2
	s_or_b32 exec_lo, exec_lo, vcc_hi
	s_delay_alu instid0(SALU_CYCLE_1)
	s_and_b32 s12, s12, exec_lo
                                        ; implicit-def: $vgpr115
	s_or_saveexec_b32 s29, s29
	v_mov_b32_e32 v114, s28
	s_xor_b32 exec_lo, exec_lo, s29
	s_cbranch_execz .LBB4_1654
.LBB4_2090:                             ;   in Loop: Header=BB4_1589 Depth=2
	v_cmp_ne_u16_e32 vcc_lo, 0, v115
	v_mov_b32_e32 v114, 0
	s_and_not1_b32 s12, s12, exec_lo
	s_and_b32 s28, vcc_lo, exec_lo
	s_delay_alu instid0(SALU_CYCLE_1)
	s_or_b32 s12, s12, s28
	s_or_b32 exec_lo, exec_lo, s29
	s_and_saveexec_b32 s28, s12
	s_cbranch_execnz .LBB4_1655
	s_branch .LBB4_1656
.LBB4_2091:                             ;   in Loop: Header=BB4_1589 Depth=2
	s_mov_b32 s12, -1
	s_mov_b32 vcc_hi, exec_lo
                                        ; implicit-def: $sgpr28
	v_cmpx_eq_u16_e32 0x80, v112
; %bb.2092:                             ;   in Loop: Header=BB4_1589 Depth=2
	s_mov_b32 s28, 0x7f800001
	s_xor_b32 s12, exec_lo, -1
; %bb.2093:                             ;   in Loop: Header=BB4_1589 Depth=2
	s_or_b32 exec_lo, exec_lo, vcc_hi
	s_delay_alu instid0(SALU_CYCLE_1)
	s_and_b32 s12, s12, exec_lo
                                        ; implicit-def: $vgpr112
	s_or_saveexec_b32 s29, s29
	v_mov_b32_e32 v113, s28
	s_xor_b32 exec_lo, exec_lo, s29
	s_cbranch_execz .LBB4_1661
.LBB4_2094:                             ;   in Loop: Header=BB4_1589 Depth=2
	v_cmp_ne_u16_e32 vcc_lo, 0, v112
	v_mov_b32_e32 v113, 0
	s_and_not1_b32 s12, s12, exec_lo
	s_and_b32 s28, vcc_lo, exec_lo
	s_delay_alu instid0(SALU_CYCLE_1)
	s_or_b32 s12, s12, s28
	s_or_b32 exec_lo, exec_lo, s29
	s_and_saveexec_b32 s28, s12
	s_cbranch_execnz .LBB4_1662
	s_branch .LBB4_1663
.LBB4_2095:                             ;   in Loop: Header=BB4_1589 Depth=2
	s_mov_b32 s12, -1
	s_mov_b32 vcc_hi, exec_lo
                                        ; implicit-def: $sgpr28
	v_cmpx_eq_u16_e32 0x80, v112
; %bb.2096:                             ;   in Loop: Header=BB4_1589 Depth=2
	s_mov_b32 s28, 0x7f800001
	s_xor_b32 s12, exec_lo, -1
; %bb.2097:                             ;   in Loop: Header=BB4_1589 Depth=2
	s_or_b32 exec_lo, exec_lo, vcc_hi
	s_delay_alu instid0(SALU_CYCLE_1)
	s_and_b32 s12, s12, exec_lo
                                        ; implicit-def: $vgpr112
	s_or_saveexec_b32 s29, s29
	v_mov_b32_e32 v71, s28
	s_xor_b32 exec_lo, exec_lo, s29
	s_cbranch_execz .LBB4_1665
.LBB4_2098:                             ;   in Loop: Header=BB4_1589 Depth=2
	v_cmp_ne_u16_e32 vcc_lo, 0, v112
	v_mov_b32_e32 v71, 0
	s_and_not1_b32 s12, s12, exec_lo
	s_and_b32 s28, vcc_lo, exec_lo
	s_delay_alu instid0(SALU_CYCLE_1)
	s_or_b32 s12, s12, s28
	s_or_b32 exec_lo, exec_lo, s29
	s_and_saveexec_b32 s28, s12
	s_cbranch_execnz .LBB4_1666
	s_branch .LBB4_1667
.LBB4_2099:                             ;   in Loop: Header=BB4_1589 Depth=2
	s_mov_b32 s28, -1
	s_mov_b32 vcc_hi, exec_lo
                                        ; implicit-def: $sgpr29
	v_cmpx_eq_u16_e32 0x80, v112
; %bb.2100:                             ;   in Loop: Header=BB4_1589 Depth=2
	s_mov_b32 s29, 0x7f800001
	s_xor_b32 s28, exec_lo, -1
; %bb.2101:                             ;   in Loop: Header=BB4_1589 Depth=2
	s_or_b32 exec_lo, exec_lo, vcc_hi
	s_delay_alu instid0(SALU_CYCLE_1)
	s_and_b32 s28, s28, exec_lo
	s_or_saveexec_b32 s12, s12
	v_mov_b32_e32 v113, s29
	s_xor_b32 exec_lo, exec_lo, s12
	s_cbranch_execz .LBB4_1679
.LBB4_2102:                             ;   in Loop: Header=BB4_1589 Depth=2
	v_cmp_ne_u16_e32 vcc_lo, 0, v112
	v_mov_b32_e32 v113, 0
	s_and_not1_b32 s28, s28, exec_lo
	s_and_b32 s29, vcc_lo, exec_lo
	s_delay_alu instid0(SALU_CYCLE_1)
	s_or_b32 s28, s28, s29
	s_or_b32 exec_lo, exec_lo, s12
	s_and_saveexec_b32 s12, s28
	s_cbranch_execnz .LBB4_1680
	s_branch .LBB4_1681
.LBB4_2103:                             ;   in Loop: Header=BB4_1589 Depth=2
	s_mov_b32 s12, -1
	s_mov_b32 vcc_hi, exec_lo
                                        ; implicit-def: $sgpr28
	v_cmpx_eq_u16_e32 0x80, v71
; %bb.2104:                             ;   in Loop: Header=BB4_1589 Depth=2
	s_mov_b32 s28, 0x7f800001
	s_xor_b32 s12, exec_lo, -1
; %bb.2105:                             ;   in Loop: Header=BB4_1589 Depth=2
	s_or_b32 exec_lo, exec_lo, vcc_hi
	s_delay_alu instid0(SALU_CYCLE_1)
	s_and_b32 s12, s12, exec_lo
	s_or_saveexec_b32 s29, s29
	v_mov_b32_e32 v114, s28
	s_xor_b32 exec_lo, exec_lo, s29
	s_cbranch_execz .LBB4_1683
.LBB4_2106:                             ;   in Loop: Header=BB4_1589 Depth=2
	v_cmp_ne_u16_e32 vcc_lo, 0, v71
	v_mov_b32_e32 v114, 0
	s_and_not1_b32 s12, s12, exec_lo
	s_and_b32 s28, vcc_lo, exec_lo
	s_delay_alu instid0(SALU_CYCLE_1)
	s_or_b32 s12, s12, s28
	s_or_b32 exec_lo, exec_lo, s29
	s_and_saveexec_b32 s28, s12
	s_cbranch_execnz .LBB4_1684
	s_branch .LBB4_1685
.LBB4_2107:                             ;   in Loop: Header=BB4_1589 Depth=2
	s_mov_b32 s12, -1
	s_mov_b32 vcc_hi, exec_lo
                                        ; implicit-def: $sgpr28
	v_cmpx_eq_u16_e32 0x80, v112
; %bb.2108:                             ;   in Loop: Header=BB4_1589 Depth=2
	s_mov_b32 s28, 0x7f800001
	s_xor_b32 s12, exec_lo, -1
; %bb.2109:                             ;   in Loop: Header=BB4_1589 Depth=2
	s_or_b32 exec_lo, exec_lo, vcc_hi
	s_delay_alu instid0(SALU_CYCLE_1)
	s_and_b32 s12, s12, exec_lo
	s_or_saveexec_b32 s29, s29
	v_mov_b32_e32 v113, s28
	s_xor_b32 exec_lo, exec_lo, s29
	s_cbranch_execz .LBB4_1690
.LBB4_2110:                             ;   in Loop: Header=BB4_1589 Depth=2
	v_cmp_ne_u16_e32 vcc_lo, 0, v112
	v_mov_b32_e32 v113, 0
	s_and_not1_b32 s12, s12, exec_lo
	s_and_b32 s28, vcc_lo, exec_lo
	s_delay_alu instid0(SALU_CYCLE_1)
	s_or_b32 s12, s12, s28
	s_or_b32 exec_lo, exec_lo, s29
	s_and_saveexec_b32 s28, s12
	s_cbranch_execnz .LBB4_1691
	s_branch .LBB4_1692
.LBB4_2111:                             ;   in Loop: Header=BB4_1589 Depth=2
	s_mov_b32 s12, -1
	s_mov_b32 vcc_hi, exec_lo
                                        ; implicit-def: $sgpr28
	v_cmpx_eq_u16_e32 0x80, v71
; %bb.2112:                             ;   in Loop: Header=BB4_1589 Depth=2
	s_mov_b32 s28, 0x7f800001
	s_xor_b32 s12, exec_lo, -1
; %bb.2113:                             ;   in Loop: Header=BB4_1589 Depth=2
	s_or_b32 exec_lo, exec_lo, vcc_hi
	s_delay_alu instid0(SALU_CYCLE_1)
	s_and_b32 s12, s12, exec_lo
	s_or_saveexec_b32 s29, s29
	v_mov_b32_e32 v14, s28
	s_xor_b32 exec_lo, exec_lo, s29
	s_cbranch_execz .LBB4_1694
.LBB4_2114:                             ;   in Loop: Header=BB4_1589 Depth=2
	v_cmp_ne_u16_e32 vcc_lo, 0, v71
	v_mov_b32_e32 v14, 0
	s_and_not1_b32 s12, s12, exec_lo
	s_and_b32 s28, vcc_lo, exec_lo
	s_delay_alu instid0(SALU_CYCLE_1)
	s_or_b32 s12, s12, s28
	s_or_b32 exec_lo, exec_lo, s29
	s_and_saveexec_b32 s28, s12
	s_cbranch_execnz .LBB4_1695
	s_branch .LBB4_1696
.LBB4_2115:                             ;   in Loop: Header=BB4_1589 Depth=2
	s_mov_b32 s28, -1
	s_mov_b32 vcc_hi, exec_lo
                                        ; implicit-def: $sgpr29
	v_cmpx_eq_u16_e32 0x80, v14
; %bb.2116:                             ;   in Loop: Header=BB4_1589 Depth=2
	s_mov_b32 s29, 0x7f800001
	s_xor_b32 s28, exec_lo, -1
; %bb.2117:                             ;   in Loop: Header=BB4_1589 Depth=2
	s_or_b32 exec_lo, exec_lo, vcc_hi
	s_delay_alu instid0(SALU_CYCLE_1)
	s_and_b32 s28, s28, exec_lo
	s_or_saveexec_b32 s12, s12
	v_mov_b32_e32 v71, s29
	s_xor_b32 exec_lo, exec_lo, s12
	s_cbranch_execz .LBB4_1708
.LBB4_2118:                             ;   in Loop: Header=BB4_1589 Depth=2
	v_cmp_ne_u16_e32 vcc_lo, 0, v14
	v_mov_b32_e32 v71, 0
	s_and_not1_b32 s28, s28, exec_lo
	s_and_b32 s29, vcc_lo, exec_lo
	s_delay_alu instid0(SALU_CYCLE_1)
	s_or_b32 s28, s28, s29
	s_or_b32 exec_lo, exec_lo, s12
	s_and_saveexec_b32 s12, s28
	s_cbranch_execnz .LBB4_1709
	s_branch .LBB4_1710
.LBB4_2119:                             ;   in Loop: Header=BB4_1589 Depth=2
	s_mov_b32 s12, -1
	s_mov_b32 vcc_hi, exec_lo
                                        ; implicit-def: $sgpr28
	v_cmpx_eq_u16_e32 0x80, v113
; %bb.2120:                             ;   in Loop: Header=BB4_1589 Depth=2
	s_mov_b32 s28, 0x7f800001
	s_xor_b32 s12, exec_lo, -1
; %bb.2121:                             ;   in Loop: Header=BB4_1589 Depth=2
	s_or_b32 exec_lo, exec_lo, vcc_hi
	s_delay_alu instid0(SALU_CYCLE_1)
	s_and_b32 s12, s12, exec_lo
                                        ; implicit-def: $vgpr113
	s_or_saveexec_b32 s29, s29
	v_mov_b32_e32 v112, s28
	s_xor_b32 exec_lo, exec_lo, s29
	s_cbranch_execz .LBB4_1712
.LBB4_2122:                             ;   in Loop: Header=BB4_1589 Depth=2
	v_cmp_ne_u16_e32 vcc_lo, 0, v113
	v_mov_b32_e32 v112, 0
	s_and_not1_b32 s12, s12, exec_lo
	s_and_b32 s28, vcc_lo, exec_lo
	s_delay_alu instid0(SALU_CYCLE_1)
	s_or_b32 s12, s12, s28
	s_or_b32 exec_lo, exec_lo, s29
	s_and_saveexec_b32 s28, s12
	s_cbranch_execnz .LBB4_1713
	s_branch .LBB4_1714
.LBB4_2123:                             ;   in Loop: Header=BB4_1589 Depth=2
	s_mov_b32 s12, -1
	s_mov_b32 vcc_hi, exec_lo
                                        ; implicit-def: $sgpr28
	v_cmpx_eq_u16_e32 0x80, v14
; %bb.2124:                             ;   in Loop: Header=BB4_1589 Depth=2
	s_mov_b32 s28, 0x7f800001
	s_xor_b32 s12, exec_lo, -1
; %bb.2125:                             ;   in Loop: Header=BB4_1589 Depth=2
	s_or_b32 exec_lo, exec_lo, vcc_hi
	s_delay_alu instid0(SALU_CYCLE_1)
	s_and_b32 s12, s12, exec_lo
                                        ; implicit-def: $vgpr14
	s_or_saveexec_b32 s29, s29
	v_mov_b32_e32 v71, s28
	s_xor_b32 exec_lo, exec_lo, s29
	s_cbranch_execz .LBB4_1719
.LBB4_2126:                             ;   in Loop: Header=BB4_1589 Depth=2
	v_cmp_ne_u16_e32 vcc_lo, 0, v14
	v_mov_b32_e32 v71, 0
	s_and_not1_b32 s12, s12, exec_lo
	s_and_b32 s28, vcc_lo, exec_lo
	s_delay_alu instid0(SALU_CYCLE_1)
	s_or_b32 s12, s12, s28
	s_or_b32 exec_lo, exec_lo, s29
	s_and_saveexec_b32 s28, s12
	s_cbranch_execnz .LBB4_1720
	s_branch .LBB4_1721
.LBB4_2127:                             ;   in Loop: Header=BB4_1589 Depth=2
	s_mov_b32 s12, -1
	s_mov_b32 vcc_hi, exec_lo
                                        ; implicit-def: $sgpr28
	v_cmpx_eq_u16_e32 0x80, v112
; %bb.2128:                             ;   in Loop: Header=BB4_1589 Depth=2
	s_mov_b32 s28, 0x7f800001
	s_xor_b32 s12, exec_lo, -1
; %bb.2129:                             ;   in Loop: Header=BB4_1589 Depth=2
	s_or_b32 exec_lo, exec_lo, vcc_hi
	s_delay_alu instid0(SALU_CYCLE_1)
	s_and_b32 s12, s12, exec_lo
                                        ; implicit-def: $vgpr112
	s_or_saveexec_b32 s29, s29
	v_mov_b32_e32 v14, s28
	s_xor_b32 exec_lo, exec_lo, s29
	s_cbranch_execz .LBB4_1723
.LBB4_2130:                             ;   in Loop: Header=BB4_1589 Depth=2
	v_cmp_ne_u16_e32 vcc_lo, 0, v112
	v_mov_b32_e32 v14, 0
	s_and_not1_b32 s12, s12, exec_lo
	s_and_b32 s28, vcc_lo, exec_lo
	s_delay_alu instid0(SALU_CYCLE_1)
	s_or_b32 s12, s12, s28
	s_or_b32 exec_lo, exec_lo, s29
	s_and_saveexec_b32 s28, s12
	s_cbranch_execnz .LBB4_1724
	s_branch .LBB4_1725
.LBB4_2131:                             ;   in Loop: Header=BB4_1589 Depth=2
	s_mov_b32 s28, -1
	s_mov_b32 vcc_hi, exec_lo
                                        ; implicit-def: $sgpr29
	v_cmpx_eq_u16_e32 0x80, v112
; %bb.2132:                             ;   in Loop: Header=BB4_1589 Depth=2
	s_mov_b32 s29, 0x7f800001
	s_xor_b32 s28, exec_lo, -1
; %bb.2133:                             ;   in Loop: Header=BB4_1589 Depth=2
	s_or_b32 exec_lo, exec_lo, vcc_hi
	s_delay_alu instid0(SALU_CYCLE_1)
	s_and_b32 s28, s28, exec_lo
	s_or_saveexec_b32 s12, s12
	v_mov_b32_e32 v113, s29
	s_xor_b32 exec_lo, exec_lo, s12
	s_cbranch_execz .LBB4_1737
.LBB4_2134:                             ;   in Loop: Header=BB4_1589 Depth=2
	v_cmp_ne_u16_e32 vcc_lo, 0, v112
	v_mov_b32_e32 v113, 0
	s_and_not1_b32 s28, s28, exec_lo
	s_and_b32 s29, vcc_lo, exec_lo
	s_delay_alu instid0(SALU_CYCLE_1)
	s_or_b32 s28, s28, s29
	s_or_b32 exec_lo, exec_lo, s12
	s_and_saveexec_b32 s12, s28
	s_cbranch_execnz .LBB4_1738
	s_branch .LBB4_1739
.LBB4_2135:                             ;   in Loop: Header=BB4_1589 Depth=2
	s_mov_b32 s12, -1
	s_mov_b32 vcc_hi, exec_lo
                                        ; implicit-def: $sgpr28
	v_cmpx_eq_u16_e32 0x80, v71
; %bb.2136:                             ;   in Loop: Header=BB4_1589 Depth=2
	s_mov_b32 s28, 0x7f800001
	s_xor_b32 s12, exec_lo, -1
; %bb.2137:                             ;   in Loop: Header=BB4_1589 Depth=2
	s_or_b32 exec_lo, exec_lo, vcc_hi
	s_delay_alu instid0(SALU_CYCLE_1)
	s_and_b32 s12, s12, exec_lo
	s_or_saveexec_b32 s29, s29
	v_mov_b32_e32 v114, s28
	s_xor_b32 exec_lo, exec_lo, s29
	s_cbranch_execz .LBB4_1741
.LBB4_2138:                             ;   in Loop: Header=BB4_1589 Depth=2
	v_cmp_ne_u16_e32 vcc_lo, 0, v71
	v_mov_b32_e32 v114, 0
	s_and_not1_b32 s12, s12, exec_lo
	s_and_b32 s28, vcc_lo, exec_lo
	s_delay_alu instid0(SALU_CYCLE_1)
	s_or_b32 s12, s12, s28
	s_or_b32 exec_lo, exec_lo, s29
	s_and_saveexec_b32 s28, s12
	s_cbranch_execnz .LBB4_1742
	s_branch .LBB4_1743
.LBB4_2139:                             ;   in Loop: Header=BB4_1589 Depth=2
	s_mov_b32 s12, -1
	s_mov_b32 vcc_hi, exec_lo
                                        ; implicit-def: $sgpr28
	v_cmpx_eq_u16_e32 0x80, v112
; %bb.2140:                             ;   in Loop: Header=BB4_1589 Depth=2
	s_mov_b32 s28, 0x7f800001
	s_xor_b32 s12, exec_lo, -1
; %bb.2141:                             ;   in Loop: Header=BB4_1589 Depth=2
	s_or_b32 exec_lo, exec_lo, vcc_hi
	s_delay_alu instid0(SALU_CYCLE_1)
	s_and_b32 s12, s12, exec_lo
	s_or_saveexec_b32 s29, s29
	v_mov_b32_e32 v113, s28
	s_xor_b32 exec_lo, exec_lo, s29
	s_cbranch_execz .LBB4_1748
.LBB4_2142:                             ;   in Loop: Header=BB4_1589 Depth=2
	v_cmp_ne_u16_e32 vcc_lo, 0, v112
	v_mov_b32_e32 v113, 0
	s_and_not1_b32 s12, s12, exec_lo
	s_and_b32 s28, vcc_lo, exec_lo
	s_delay_alu instid0(SALU_CYCLE_1)
	s_or_b32 s12, s12, s28
	s_or_b32 exec_lo, exec_lo, s29
	s_and_saveexec_b32 s28, s12
	s_cbranch_execnz .LBB4_1749
	s_branch .LBB4_1750
.LBB4_2143:                             ;   in Loop: Header=BB4_1589 Depth=2
	s_mov_b32 s12, -1
	s_mov_b32 vcc_hi, exec_lo
                                        ; implicit-def: $sgpr28
	v_cmpx_eq_u16_e32 0x80, v71
; %bb.2144:                             ;   in Loop: Header=BB4_1589 Depth=2
	s_mov_b32 s28, 0x7f800001
	s_xor_b32 s12, exec_lo, -1
; %bb.2145:                             ;   in Loop: Header=BB4_1589 Depth=2
	s_or_b32 exec_lo, exec_lo, vcc_hi
	s_delay_alu instid0(SALU_CYCLE_1)
	s_and_b32 s12, s12, exec_lo
	s_or_saveexec_b32 s29, s29
	v_mov_b32_e32 v112, s28
	s_xor_b32 exec_lo, exec_lo, s29
	s_cbranch_execz .LBB4_1752
.LBB4_2146:                             ;   in Loop: Header=BB4_1589 Depth=2
	v_cmp_ne_u16_e32 vcc_lo, 0, v71
	v_mov_b32_e32 v112, 0
	s_and_not1_b32 s12, s12, exec_lo
	s_and_b32 s28, vcc_lo, exec_lo
	s_delay_alu instid0(SALU_CYCLE_1)
	s_or_b32 s12, s12, s28
	s_or_b32 exec_lo, exec_lo, s29
	s_and_saveexec_b32 s28, s12
	s_cbranch_execnz .LBB4_1753
	s_branch .LBB4_1754
.LBB4_2147:                             ;   in Loop: Header=BB4_1589 Depth=2
	s_mov_b32 s28, -1
	s_mov_b32 vcc_hi, exec_lo
                                        ; implicit-def: $sgpr29
	v_cmpx_eq_u16_e32 0x80, v114
; %bb.2148:                             ;   in Loop: Header=BB4_1589 Depth=2
	s_mov_b32 s29, 0x7f800001
	s_xor_b32 s28, exec_lo, -1
; %bb.2149:                             ;   in Loop: Header=BB4_1589 Depth=2
	s_or_b32 exec_lo, exec_lo, vcc_hi
	s_delay_alu instid0(SALU_CYCLE_1)
	s_and_b32 s28, s28, exec_lo
	s_or_saveexec_b32 s12, s12
	v_mov_b32_e32 v115, s29
	s_xor_b32 exec_lo, exec_lo, s12
	s_cbranch_execz .LBB4_1766
.LBB4_2150:                             ;   in Loop: Header=BB4_1589 Depth=2
	v_cmp_ne_u16_e32 vcc_lo, 0, v114
	v_mov_b32_e32 v115, 0
	s_and_not1_b32 s28, s28, exec_lo
	s_and_b32 s29, vcc_lo, exec_lo
	s_delay_alu instid0(SALU_CYCLE_1)
	s_or_b32 s28, s28, s29
	s_or_b32 exec_lo, exec_lo, s12
	s_and_saveexec_b32 s12, s28
	s_cbranch_execnz .LBB4_1767
	s_branch .LBB4_1768
.LBB4_2151:                             ;   in Loop: Header=BB4_1589 Depth=2
	s_mov_b32 s12, -1
	s_mov_b32 vcc_hi, exec_lo
                                        ; implicit-def: $sgpr28
	v_cmpx_eq_u16_e32 0x80, v117
; %bb.2152:                             ;   in Loop: Header=BB4_1589 Depth=2
	s_mov_b32 s28, 0x7f800001
	s_xor_b32 s12, exec_lo, -1
; %bb.2153:                             ;   in Loop: Header=BB4_1589 Depth=2
	s_or_b32 exec_lo, exec_lo, vcc_hi
	s_delay_alu instid0(SALU_CYCLE_1)
	s_and_b32 s12, s12, exec_lo
                                        ; implicit-def: $vgpr117
	s_or_saveexec_b32 s29, s29
	v_mov_b32_e32 v116, s28
	s_xor_b32 exec_lo, exec_lo, s29
	s_cbranch_execz .LBB4_1770
.LBB4_2154:                             ;   in Loop: Header=BB4_1589 Depth=2
	v_cmp_ne_u16_e32 vcc_lo, 0, v117
	v_mov_b32_e32 v116, 0
	s_and_not1_b32 s12, s12, exec_lo
	s_and_b32 s28, vcc_lo, exec_lo
	s_delay_alu instid0(SALU_CYCLE_1)
	s_or_b32 s12, s12, s28
	s_or_b32 exec_lo, exec_lo, s29
	s_and_saveexec_b32 s28, s12
	s_cbranch_execnz .LBB4_1771
	s_branch .LBB4_1772
.LBB4_2155:                             ;   in Loop: Header=BB4_1589 Depth=2
	s_mov_b32 s12, -1
	s_mov_b32 vcc_hi, exec_lo
                                        ; implicit-def: $sgpr28
	v_cmpx_eq_u16_e32 0x80, v114
; %bb.2156:                             ;   in Loop: Header=BB4_1589 Depth=2
	s_mov_b32 s28, 0x7f800001
	s_xor_b32 s12, exec_lo, -1
; %bb.2157:                             ;   in Loop: Header=BB4_1589 Depth=2
	s_or_b32 exec_lo, exec_lo, vcc_hi
	s_delay_alu instid0(SALU_CYCLE_1)
	s_and_b32 s12, s12, exec_lo
                                        ; implicit-def: $vgpr114
	s_or_saveexec_b32 s29, s29
	v_mov_b32_e32 v115, s28
	s_xor_b32 exec_lo, exec_lo, s29
	s_cbranch_execz .LBB4_1777
.LBB4_2158:                             ;   in Loop: Header=BB4_1589 Depth=2
	v_cmp_ne_u16_e32 vcc_lo, 0, v114
	v_mov_b32_e32 v115, 0
	s_and_not1_b32 s12, s12, exec_lo
	s_and_b32 s28, vcc_lo, exec_lo
	s_delay_alu instid0(SALU_CYCLE_1)
	s_or_b32 s12, s12, s28
	s_or_b32 exec_lo, exec_lo, s29
	s_and_saveexec_b32 s28, s12
	s_cbranch_execnz .LBB4_1778
	s_branch .LBB4_1779
.LBB4_2159:                             ;   in Loop: Header=BB4_1589 Depth=2
	s_mov_b32 s12, -1
	s_mov_b32 vcc_hi, exec_lo
                                        ; implicit-def: $sgpr28
	v_cmpx_eq_u16_e32 0x80, v114
; %bb.2160:                             ;   in Loop: Header=BB4_1589 Depth=2
	s_mov_b32 s28, 0x7f800001
	s_xor_b32 s12, exec_lo, -1
; %bb.2161:                             ;   in Loop: Header=BB4_1589 Depth=2
	s_or_b32 exec_lo, exec_lo, vcc_hi
	s_delay_alu instid0(SALU_CYCLE_1)
	s_and_b32 s12, s12, exec_lo
                                        ; implicit-def: $vgpr114
	s_or_saveexec_b32 s29, s29
	v_mov_b32_e32 v113, s28
	s_xor_b32 exec_lo, exec_lo, s29
	s_cbranch_execz .LBB4_1781
.LBB4_2162:                             ;   in Loop: Header=BB4_1589 Depth=2
	v_cmp_ne_u16_e32 vcc_lo, 0, v114
	v_mov_b32_e32 v113, 0
	s_and_not1_b32 s12, s12, exec_lo
	s_and_b32 s28, vcc_lo, exec_lo
	s_delay_alu instid0(SALU_CYCLE_1)
	s_or_b32 s12, s12, s28
	s_or_b32 exec_lo, exec_lo, s29
	s_and_saveexec_b32 s28, s12
	s_cbranch_execnz .LBB4_1782
	s_branch .LBB4_1783
.LBB4_2163:                             ;   in Loop: Header=BB4_1589 Depth=2
	s_mov_b32 s28, -1
	s_mov_b32 vcc_hi, exec_lo
                                        ; implicit-def: $sgpr29
	v_cmpx_eq_u16_e32 0x80, v114
; %bb.2164:                             ;   in Loop: Header=BB4_1589 Depth=2
	s_mov_b32 s29, 0x7f800001
	s_xor_b32 s28, exec_lo, -1
; %bb.2165:                             ;   in Loop: Header=BB4_1589 Depth=2
	s_or_b32 exec_lo, exec_lo, vcc_hi
	s_delay_alu instid0(SALU_CYCLE_1)
	s_and_b32 s28, s28, exec_lo
	s_or_saveexec_b32 s12, s12
	v_mov_b32_e32 v115, s29
	s_xor_b32 exec_lo, exec_lo, s12
	s_cbranch_execz .LBB4_1795
.LBB4_2166:                             ;   in Loop: Header=BB4_1589 Depth=2
	v_cmp_ne_u16_e32 vcc_lo, 0, v114
	v_mov_b32_e32 v115, 0
	s_and_not1_b32 s28, s28, exec_lo
	s_and_b32 s29, vcc_lo, exec_lo
	s_delay_alu instid0(SALU_CYCLE_1)
	s_or_b32 s28, s28, s29
	s_or_b32 exec_lo, exec_lo, s12
	s_and_saveexec_b32 s12, s28
	s_cbranch_execnz .LBB4_1796
	s_branch .LBB4_1797
.LBB4_2167:                             ;   in Loop: Header=BB4_1589 Depth=2
	s_mov_b32 s12, -1
	s_mov_b32 vcc_hi, exec_lo
                                        ; implicit-def: $sgpr28
	v_cmpx_eq_u16_e32 0x80, v113
; %bb.2168:                             ;   in Loop: Header=BB4_1589 Depth=2
	s_mov_b32 s28, 0x7f800001
	s_xor_b32 s12, exec_lo, -1
; %bb.2169:                             ;   in Loop: Header=BB4_1589 Depth=2
	s_or_b32 exec_lo, exec_lo, vcc_hi
	s_delay_alu instid0(SALU_CYCLE_1)
	s_and_b32 s12, s12, exec_lo
	s_or_saveexec_b32 s29, s29
	v_mov_b32_e32 v116, s28
	s_xor_b32 exec_lo, exec_lo, s29
	s_cbranch_execz .LBB4_1799
.LBB4_2170:                             ;   in Loop: Header=BB4_1589 Depth=2
	v_cmp_ne_u16_e32 vcc_lo, 0, v113
	v_mov_b32_e32 v116, 0
	s_and_not1_b32 s12, s12, exec_lo
	s_and_b32 s28, vcc_lo, exec_lo
	s_delay_alu instid0(SALU_CYCLE_1)
	s_or_b32 s12, s12, s28
	s_or_b32 exec_lo, exec_lo, s29
	s_and_saveexec_b32 s28, s12
	s_cbranch_execnz .LBB4_1800
	s_branch .LBB4_1801
.LBB4_2171:                             ;   in Loop: Header=BB4_1589 Depth=2
	s_mov_b32 s12, -1
	s_mov_b32 vcc_hi, exec_lo
                                        ; implicit-def: $sgpr28
	v_cmpx_eq_u16_e32 0x80, v114
; %bb.2172:                             ;   in Loop: Header=BB4_1589 Depth=2
	s_mov_b32 s28, 0x7f800001
	s_xor_b32 s12, exec_lo, -1
; %bb.2173:                             ;   in Loop: Header=BB4_1589 Depth=2
	s_or_b32 exec_lo, exec_lo, vcc_hi
	s_delay_alu instid0(SALU_CYCLE_1)
	s_and_b32 s12, s12, exec_lo
	s_or_saveexec_b32 s29, s29
	v_mov_b32_e32 v115, s28
	s_xor_b32 exec_lo, exec_lo, s29
	s_cbranch_execz .LBB4_1806
.LBB4_2174:                             ;   in Loop: Header=BB4_1589 Depth=2
	v_cmp_ne_u16_e32 vcc_lo, 0, v114
	v_mov_b32_e32 v115, 0
	s_and_not1_b32 s12, s12, exec_lo
	s_and_b32 s28, vcc_lo, exec_lo
	s_delay_alu instid0(SALU_CYCLE_1)
	s_or_b32 s12, s12, s28
	s_or_b32 exec_lo, exec_lo, s29
	s_and_saveexec_b32 s28, s12
	s_cbranch_execnz .LBB4_1807
	s_branch .LBB4_1808
.LBB4_2175:                             ;   in Loop: Header=BB4_1589 Depth=2
	s_mov_b32 s12, -1
	s_mov_b32 vcc_hi, exec_lo
                                        ; implicit-def: $sgpr28
	v_cmpx_eq_u16_e32 0x80, v113
; %bb.2176:                             ;   in Loop: Header=BB4_1589 Depth=2
	s_mov_b32 s28, 0x7f800001
	s_xor_b32 s12, exec_lo, -1
; %bb.2177:                             ;   in Loop: Header=BB4_1589 Depth=2
	s_or_b32 exec_lo, exec_lo, vcc_hi
	s_delay_alu instid0(SALU_CYCLE_1)
	s_and_b32 s12, s12, exec_lo
	s_or_saveexec_b32 s29, s29
	v_mov_b32_e32 v15, s28
	s_xor_b32 exec_lo, exec_lo, s29
	s_cbranch_execz .LBB4_1810
.LBB4_2178:                             ;   in Loop: Header=BB4_1589 Depth=2
	v_cmp_ne_u16_e32 vcc_lo, 0, v113
	v_mov_b32_e32 v15, 0
	s_and_not1_b32 s12, s12, exec_lo
	s_and_b32 s28, vcc_lo, exec_lo
	s_delay_alu instid0(SALU_CYCLE_1)
	s_or_b32 s12, s12, s28
	s_or_b32 exec_lo, exec_lo, s29
	s_and_saveexec_b32 s28, s12
	s_cbranch_execnz .LBB4_1811
	s_branch .LBB4_1812
.LBB4_2179:                             ;   in Loop: Header=BB4_1589 Depth=2
	s_mov_b32 s28, -1
	s_mov_b32 vcc_hi, exec_lo
                                        ; implicit-def: $sgpr29
	v_cmpx_eq_u16_e32 0x80, v15
; %bb.2180:                             ;   in Loop: Header=BB4_1589 Depth=2
	s_mov_b32 s29, 0x7f800001
	s_xor_b32 s28, exec_lo, -1
; %bb.2181:                             ;   in Loop: Header=BB4_1589 Depth=2
	s_or_b32 exec_lo, exec_lo, vcc_hi
	s_delay_alu instid0(SALU_CYCLE_1)
	s_and_b32 s28, s28, exec_lo
	s_or_saveexec_b32 s12, s12
	v_mov_b32_e32 v113, s29
	s_xor_b32 exec_lo, exec_lo, s12
	s_cbranch_execz .LBB4_1824
.LBB4_2182:                             ;   in Loop: Header=BB4_1589 Depth=2
	v_cmp_ne_u16_e32 vcc_lo, 0, v15
	v_mov_b32_e32 v113, 0
	s_and_not1_b32 s28, s28, exec_lo
	s_and_b32 s29, vcc_lo, exec_lo
	s_delay_alu instid0(SALU_CYCLE_1)
	s_or_b32 s28, s28, s29
	s_or_b32 exec_lo, exec_lo, s12
	s_and_saveexec_b32 s12, s28
	s_cbranch_execnz .LBB4_1825
	s_branch .LBB4_1826
.LBB4_2183:                             ;   in Loop: Header=BB4_1589 Depth=2
	s_mov_b32 s12, -1
	s_mov_b32 vcc_hi, exec_lo
                                        ; implicit-def: $sgpr28
	v_cmpx_eq_u16_e32 0x80, v115
; %bb.2184:                             ;   in Loop: Header=BB4_1589 Depth=2
	s_mov_b32 s28, 0x7f800001
	s_xor_b32 s12, exec_lo, -1
; %bb.2185:                             ;   in Loop: Header=BB4_1589 Depth=2
	s_or_b32 exec_lo, exec_lo, vcc_hi
	s_delay_alu instid0(SALU_CYCLE_1)
	s_and_b32 s12, s12, exec_lo
                                        ; implicit-def: $vgpr115
	s_or_saveexec_b32 s29, s29
	v_mov_b32_e32 v114, s28
	s_xor_b32 exec_lo, exec_lo, s29
	s_cbranch_execz .LBB4_1828
.LBB4_2186:                             ;   in Loop: Header=BB4_1589 Depth=2
	v_cmp_ne_u16_e32 vcc_lo, 0, v115
	v_mov_b32_e32 v114, 0
	s_and_not1_b32 s12, s12, exec_lo
	s_and_b32 s28, vcc_lo, exec_lo
	s_delay_alu instid0(SALU_CYCLE_1)
	s_or_b32 s12, s12, s28
	s_or_b32 exec_lo, exec_lo, s29
	s_and_saveexec_b32 s28, s12
	s_cbranch_execnz .LBB4_1829
	s_branch .LBB4_1830
.LBB4_2187:                             ;   in Loop: Header=BB4_1589 Depth=2
	s_mov_b32 s12, -1
	s_mov_b32 vcc_hi, exec_lo
                                        ; implicit-def: $sgpr28
	v_cmpx_eq_u16_e32 0x80, v15
; %bb.2188:                             ;   in Loop: Header=BB4_1589 Depth=2
	s_mov_b32 s28, 0x7f800001
	s_xor_b32 s12, exec_lo, -1
; %bb.2189:                             ;   in Loop: Header=BB4_1589 Depth=2
	s_or_b32 exec_lo, exec_lo, vcc_hi
	s_delay_alu instid0(SALU_CYCLE_1)
	s_and_b32 s12, s12, exec_lo
                                        ; implicit-def: $vgpr15
	s_or_saveexec_b32 s29, s29
	v_mov_b32_e32 v113, s28
	s_xor_b32 exec_lo, exec_lo, s29
	s_cbranch_execz .LBB4_1835
.LBB4_2190:                             ;   in Loop: Header=BB4_1589 Depth=2
	v_cmp_ne_u16_e32 vcc_lo, 0, v15
	v_mov_b32_e32 v113, 0
	s_and_not1_b32 s12, s12, exec_lo
	s_and_b32 s28, vcc_lo, exec_lo
	s_delay_alu instid0(SALU_CYCLE_1)
	s_or_b32 s12, s12, s28
	s_or_b32 exec_lo, exec_lo, s29
	s_and_saveexec_b32 s28, s12
	s_cbranch_execnz .LBB4_1836
	s_branch .LBB4_1837
.LBB4_2191:                             ;   in Loop: Header=BB4_1589 Depth=2
	s_mov_b32 s12, -1
	s_mov_b32 vcc_hi, exec_lo
                                        ; implicit-def: $sgpr28
	v_cmpx_eq_u16_e32 0x80, v114
; %bb.2192:                             ;   in Loop: Header=BB4_1589 Depth=2
	s_mov_b32 s28, 0x7f800001
	s_xor_b32 s12, exec_lo, -1
; %bb.2193:                             ;   in Loop: Header=BB4_1589 Depth=2
	s_or_b32 exec_lo, exec_lo, vcc_hi
	s_delay_alu instid0(SALU_CYCLE_1)
	s_and_b32 s12, s12, exec_lo
                                        ; implicit-def: $vgpr114
	s_or_saveexec_b32 s29, s29
	v_mov_b32_e32 v15, s28
	s_xor_b32 exec_lo, exec_lo, s29
	s_cbranch_execz .LBB4_1839
.LBB4_2194:                             ;   in Loop: Header=BB4_1589 Depth=2
	v_cmp_ne_u16_e32 vcc_lo, 0, v114
	v_mov_b32_e32 v15, 0
	s_and_not1_b32 s12, s12, exec_lo
	s_and_b32 s28, vcc_lo, exec_lo
	s_delay_alu instid0(SALU_CYCLE_1)
	s_or_b32 s12, s12, s28
	s_or_b32 exec_lo, exec_lo, s29
	s_and_saveexec_b32 s28, s12
	s_cbranch_execnz .LBB4_1840
	s_branch .LBB4_1841
.LBB4_2195:                             ;   in Loop: Header=BB4_1589 Depth=2
	s_mov_b32 s28, -1
	s_mov_b32 vcc_hi, exec_lo
                                        ; implicit-def: $sgpr29
	v_cmpx_eq_u16_e32 0x80, v114
; %bb.2196:                             ;   in Loop: Header=BB4_1589 Depth=2
	s_mov_b32 s29, 0x7f800001
	s_xor_b32 s28, exec_lo, -1
; %bb.2197:                             ;   in Loop: Header=BB4_1589 Depth=2
	s_or_b32 exec_lo, exec_lo, vcc_hi
	s_delay_alu instid0(SALU_CYCLE_1)
	s_and_b32 s28, s28, exec_lo
	s_or_saveexec_b32 s12, s12
	v_mov_b32_e32 v115, s29
	s_xor_b32 exec_lo, exec_lo, s12
	s_cbranch_execz .LBB4_1853
.LBB4_2198:                             ;   in Loop: Header=BB4_1589 Depth=2
	v_cmp_ne_u16_e32 vcc_lo, 0, v114
	v_mov_b32_e32 v115, 0
	s_and_not1_b32 s28, s28, exec_lo
	s_and_b32 s29, vcc_lo, exec_lo
	s_delay_alu instid0(SALU_CYCLE_1)
	s_or_b32 s28, s28, s29
	s_or_b32 exec_lo, exec_lo, s12
	s_and_saveexec_b32 s12, s28
	s_cbranch_execnz .LBB4_1854
	s_branch .LBB4_1855
.LBB4_2199:                             ;   in Loop: Header=BB4_1589 Depth=2
	s_mov_b32 s12, -1
	s_mov_b32 vcc_hi, exec_lo
                                        ; implicit-def: $sgpr28
	v_cmpx_eq_u16_e32 0x80, v113
; %bb.2200:                             ;   in Loop: Header=BB4_1589 Depth=2
	s_mov_b32 s28, 0x7f800001
	s_xor_b32 s12, exec_lo, -1
; %bb.2201:                             ;   in Loop: Header=BB4_1589 Depth=2
	s_or_b32 exec_lo, exec_lo, vcc_hi
	s_delay_alu instid0(SALU_CYCLE_1)
	s_and_b32 s12, s12, exec_lo
	s_or_saveexec_b32 s29, s29
	v_mov_b32_e32 v116, s28
	s_xor_b32 exec_lo, exec_lo, s29
	s_cbranch_execz .LBB4_1857
.LBB4_2202:                             ;   in Loop: Header=BB4_1589 Depth=2
	v_cmp_ne_u16_e32 vcc_lo, 0, v113
	v_mov_b32_e32 v116, 0
	s_and_not1_b32 s12, s12, exec_lo
	s_and_b32 s28, vcc_lo, exec_lo
	s_delay_alu instid0(SALU_CYCLE_1)
	s_or_b32 s12, s12, s28
	s_or_b32 exec_lo, exec_lo, s29
	s_and_saveexec_b32 s28, s12
	s_cbranch_execnz .LBB4_1858
	s_branch .LBB4_1859
.LBB4_2203:                             ;   in Loop: Header=BB4_1589 Depth=2
	s_mov_b32 s12, -1
	s_mov_b32 vcc_hi, exec_lo
                                        ; implicit-def: $sgpr28
	v_cmpx_eq_u16_e32 0x80, v114
; %bb.2204:                             ;   in Loop: Header=BB4_1589 Depth=2
	s_mov_b32 s28, 0x7f800001
	s_xor_b32 s12, exec_lo, -1
; %bb.2205:                             ;   in Loop: Header=BB4_1589 Depth=2
	s_or_b32 exec_lo, exec_lo, vcc_hi
	s_delay_alu instid0(SALU_CYCLE_1)
	s_and_b32 s12, s12, exec_lo
	s_or_saveexec_b32 s29, s29
	v_mov_b32_e32 v115, s28
	s_xor_b32 exec_lo, exec_lo, s29
	s_cbranch_execz .LBB4_1864
.LBB4_2206:                             ;   in Loop: Header=BB4_1589 Depth=2
	v_cmp_ne_u16_e32 vcc_lo, 0, v114
	v_mov_b32_e32 v115, 0
	s_and_not1_b32 s12, s12, exec_lo
	s_and_b32 s28, vcc_lo, exec_lo
	s_delay_alu instid0(SALU_CYCLE_1)
	s_or_b32 s12, s12, s28
	s_or_b32 exec_lo, exec_lo, s29
	s_and_saveexec_b32 s28, s12
	s_cbranch_execnz .LBB4_1865
	s_branch .LBB4_1866
.LBB4_2207:                             ;   in Loop: Header=BB4_1589 Depth=2
	s_mov_b32 s12, -1
	s_mov_b32 vcc_hi, exec_lo
                                        ; implicit-def: $sgpr28
	v_cmpx_eq_u16_e32 0x80, v113
; %bb.2208:                             ;   in Loop: Header=BB4_1589 Depth=2
	s_mov_b32 s28, 0x7f800001
	s_xor_b32 s12, exec_lo, -1
; %bb.2209:                             ;   in Loop: Header=BB4_1589 Depth=2
	s_or_b32 exec_lo, exec_lo, vcc_hi
	s_delay_alu instid0(SALU_CYCLE_1)
	s_and_b32 s12, s12, exec_lo
	s_or_saveexec_b32 s29, s29
	v_mov_b32_e32 v114, s28
	s_xor_b32 exec_lo, exec_lo, s29
	s_cbranch_execz .LBB4_1868
.LBB4_2210:                             ;   in Loop: Header=BB4_1589 Depth=2
	v_cmp_ne_u16_e32 vcc_lo, 0, v113
	v_mov_b32_e32 v114, 0
	s_and_not1_b32 s12, s12, exec_lo
	s_and_b32 s28, vcc_lo, exec_lo
	s_delay_alu instid0(SALU_CYCLE_1)
	s_or_b32 s12, s12, s28
	s_or_b32 exec_lo, exec_lo, s29
	s_and_saveexec_b32 s28, s12
	s_cbranch_execnz .LBB4_1869
	s_branch .LBB4_1870
.LBB4_2211:                             ;   in Loop: Header=BB4_1589 Depth=2
	s_mov_b32 s28, -1
	s_mov_b32 vcc_hi, exec_lo
                                        ; implicit-def: $sgpr29
	v_cmpx_eq_u16_e32 0x80, v116
; %bb.2212:                             ;   in Loop: Header=BB4_1589 Depth=2
	s_mov_b32 s29, 0x7f800001
	s_xor_b32 s28, exec_lo, -1
; %bb.2213:                             ;   in Loop: Header=BB4_1589 Depth=2
	s_or_b32 exec_lo, exec_lo, vcc_hi
	s_delay_alu instid0(SALU_CYCLE_1)
	s_and_b32 s28, s28, exec_lo
	s_or_saveexec_b32 s12, s12
	v_mov_b32_e32 v117, s29
	s_xor_b32 exec_lo, exec_lo, s12
	s_cbranch_execz .LBB4_1882
.LBB4_2214:                             ;   in Loop: Header=BB4_1589 Depth=2
	v_cmp_ne_u16_e32 vcc_lo, 0, v116
	v_mov_b32_e32 v117, 0
	s_and_not1_b32 s28, s28, exec_lo
	s_and_b32 s29, vcc_lo, exec_lo
	s_delay_alu instid0(SALU_CYCLE_1)
	s_or_b32 s28, s28, s29
	s_or_b32 exec_lo, exec_lo, s12
	s_and_saveexec_b32 s12, s28
	s_cbranch_execnz .LBB4_1883
	s_branch .LBB4_1884
.LBB4_2215:                             ;   in Loop: Header=BB4_1589 Depth=2
	s_mov_b32 s12, -1
	s_mov_b32 vcc_hi, exec_lo
                                        ; implicit-def: $sgpr28
	v_cmpx_eq_u16_e32 0x80, v119
; %bb.2216:                             ;   in Loop: Header=BB4_1589 Depth=2
	s_mov_b32 s28, 0x7f800001
	s_xor_b32 s12, exec_lo, -1
; %bb.2217:                             ;   in Loop: Header=BB4_1589 Depth=2
	s_or_b32 exec_lo, exec_lo, vcc_hi
	s_delay_alu instid0(SALU_CYCLE_1)
	s_and_b32 s12, s12, exec_lo
                                        ; implicit-def: $vgpr119
	s_or_saveexec_b32 s29, s29
	v_mov_b32_e32 v118, s28
	s_xor_b32 exec_lo, exec_lo, s29
	s_cbranch_execz .LBB4_1886
.LBB4_2218:                             ;   in Loop: Header=BB4_1589 Depth=2
	v_cmp_ne_u16_e32 vcc_lo, 0, v119
	v_mov_b32_e32 v118, 0
	s_and_not1_b32 s12, s12, exec_lo
	s_and_b32 s28, vcc_lo, exec_lo
	s_delay_alu instid0(SALU_CYCLE_1)
	s_or_b32 s12, s12, s28
	s_or_b32 exec_lo, exec_lo, s29
	s_and_saveexec_b32 s28, s12
	s_cbranch_execnz .LBB4_1887
	s_branch .LBB4_1888
.LBB4_2219:                             ;   in Loop: Header=BB4_1589 Depth=2
	s_mov_b32 s12, -1
	s_mov_b32 vcc_hi, exec_lo
                                        ; implicit-def: $sgpr28
	v_cmpx_eq_u16_e32 0x80, v116
; %bb.2220:                             ;   in Loop: Header=BB4_1589 Depth=2
	s_mov_b32 s28, 0x7f800001
	s_xor_b32 s12, exec_lo, -1
; %bb.2221:                             ;   in Loop: Header=BB4_1589 Depth=2
	s_or_b32 exec_lo, exec_lo, vcc_hi
	s_delay_alu instid0(SALU_CYCLE_1)
	s_and_b32 s12, s12, exec_lo
                                        ; implicit-def: $vgpr116
	s_or_saveexec_b32 s29, s29
	v_mov_b32_e32 v117, s28
	s_xor_b32 exec_lo, exec_lo, s29
	s_cbranch_execz .LBB4_1893
.LBB4_2222:                             ;   in Loop: Header=BB4_1589 Depth=2
	v_cmp_ne_u16_e32 vcc_lo, 0, v116
	v_mov_b32_e32 v117, 0
	s_and_not1_b32 s12, s12, exec_lo
	s_and_b32 s28, vcc_lo, exec_lo
	s_delay_alu instid0(SALU_CYCLE_1)
	s_or_b32 s12, s12, s28
	s_or_b32 exec_lo, exec_lo, s29
	s_and_saveexec_b32 s28, s12
	s_cbranch_execnz .LBB4_1894
	s_branch .LBB4_1895
.LBB4_2223:                             ;   in Loop: Header=BB4_1589 Depth=2
	s_mov_b32 s12, -1
	s_mov_b32 vcc_hi, exec_lo
                                        ; implicit-def: $sgpr28
	v_cmpx_eq_u16_e32 0x80, v116
; %bb.2224:                             ;   in Loop: Header=BB4_1589 Depth=2
	s_mov_b32 s28, 0x7f800001
	s_xor_b32 s12, exec_lo, -1
; %bb.2225:                             ;   in Loop: Header=BB4_1589 Depth=2
	s_or_b32 exec_lo, exec_lo, vcc_hi
	s_delay_alu instid0(SALU_CYCLE_1)
	s_and_b32 s12, s12, exec_lo
                                        ; implicit-def: $vgpr116
	s_or_saveexec_b32 s29, s29
	v_mov_b32_e32 v115, s28
	s_xor_b32 exec_lo, exec_lo, s29
	s_cbranch_execz .LBB4_1897
.LBB4_2226:                             ;   in Loop: Header=BB4_1589 Depth=2
	v_cmp_ne_u16_e32 vcc_lo, 0, v116
	v_mov_b32_e32 v115, 0
	s_and_not1_b32 s12, s12, exec_lo
	s_and_b32 s28, vcc_lo, exec_lo
	s_delay_alu instid0(SALU_CYCLE_1)
	s_or_b32 s12, s12, s28
	s_or_b32 exec_lo, exec_lo, s29
	s_and_saveexec_b32 s28, s12
	s_cbranch_execnz .LBB4_1898
	s_branch .LBB4_1899
.LBB4_2227:                             ;   in Loop: Header=BB4_1589 Depth=2
	s_mov_b32 s28, -1
	s_mov_b32 vcc_hi, exec_lo
                                        ; implicit-def: $sgpr29
	v_cmpx_eq_u16_e32 0x80, v116
; %bb.2228:                             ;   in Loop: Header=BB4_1589 Depth=2
	s_mov_b32 s29, 0x7f800001
	s_xor_b32 s28, exec_lo, -1
; %bb.2229:                             ;   in Loop: Header=BB4_1589 Depth=2
	s_or_b32 exec_lo, exec_lo, vcc_hi
	s_delay_alu instid0(SALU_CYCLE_1)
	s_and_b32 s28, s28, exec_lo
	s_or_saveexec_b32 s12, s12
	v_mov_b32_e32 v117, s29
	s_xor_b32 exec_lo, exec_lo, s12
	s_cbranch_execz .LBB4_1911
.LBB4_2230:                             ;   in Loop: Header=BB4_1589 Depth=2
	v_cmp_ne_u16_e32 vcc_lo, 0, v116
	v_mov_b32_e32 v117, 0
	s_and_not1_b32 s28, s28, exec_lo
	s_and_b32 s29, vcc_lo, exec_lo
	s_delay_alu instid0(SALU_CYCLE_1)
	s_or_b32 s28, s28, s29
	s_or_b32 exec_lo, exec_lo, s12
	s_and_saveexec_b32 s12, s28
	s_cbranch_execnz .LBB4_1912
	s_branch .LBB4_1913
.LBB4_2231:                             ;   in Loop: Header=BB4_1589 Depth=2
	s_mov_b32 s12, -1
	s_mov_b32 vcc_hi, exec_lo
                                        ; implicit-def: $sgpr28
	v_cmpx_eq_u16_e32 0x80, v115
; %bb.2232:                             ;   in Loop: Header=BB4_1589 Depth=2
	s_mov_b32 s28, 0x7f800001
	s_xor_b32 s12, exec_lo, -1
; %bb.2233:                             ;   in Loop: Header=BB4_1589 Depth=2
	s_or_b32 exec_lo, exec_lo, vcc_hi
	s_delay_alu instid0(SALU_CYCLE_1)
	s_and_b32 s12, s12, exec_lo
	s_or_saveexec_b32 s29, s29
	v_mov_b32_e32 v118, s28
	s_xor_b32 exec_lo, exec_lo, s29
	s_cbranch_execz .LBB4_1915
.LBB4_2234:                             ;   in Loop: Header=BB4_1589 Depth=2
	v_cmp_ne_u16_e32 vcc_lo, 0, v115
	v_mov_b32_e32 v118, 0
	s_and_not1_b32 s12, s12, exec_lo
	s_and_b32 s28, vcc_lo, exec_lo
	s_delay_alu instid0(SALU_CYCLE_1)
	s_or_b32 s12, s12, s28
	s_or_b32 exec_lo, exec_lo, s29
	s_and_saveexec_b32 s28, s12
	s_cbranch_execnz .LBB4_1916
	s_branch .LBB4_1917
.LBB4_2235:                             ;   in Loop: Header=BB4_1589 Depth=2
	s_mov_b32 s12, -1
	s_mov_b32 vcc_hi, exec_lo
                                        ; implicit-def: $sgpr28
	v_cmpx_eq_u16_e32 0x80, v116
; %bb.2236:                             ;   in Loop: Header=BB4_1589 Depth=2
	s_mov_b32 s28, 0x7f800001
	s_xor_b32 s12, exec_lo, -1
; %bb.2237:                             ;   in Loop: Header=BB4_1589 Depth=2
	s_or_b32 exec_lo, exec_lo, vcc_hi
	s_delay_alu instid0(SALU_CYCLE_1)
	s_and_b32 s12, s12, exec_lo
	s_or_saveexec_b32 s29, s29
	v_mov_b32_e32 v117, s28
	s_xor_b32 exec_lo, exec_lo, s29
	s_cbranch_execz .LBB4_1922
.LBB4_2238:                             ;   in Loop: Header=BB4_1589 Depth=2
	v_cmp_ne_u16_e32 vcc_lo, 0, v116
	v_mov_b32_e32 v117, 0
	s_and_not1_b32 s12, s12, exec_lo
	s_and_b32 s28, vcc_lo, exec_lo
	s_delay_alu instid0(SALU_CYCLE_1)
	s_or_b32 s12, s12, s28
	s_or_b32 exec_lo, exec_lo, s29
	s_and_saveexec_b32 s28, s12
	s_cbranch_execnz .LBB4_1923
	s_branch .LBB4_1924
.LBB4_2239:                             ;   in Loop: Header=BB4_1589 Depth=2
	s_mov_b32 s12, -1
	s_mov_b32 vcc_hi, exec_lo
                                        ; implicit-def: $sgpr28
	v_cmpx_eq_u16_e32 0x80, v115
; %bb.2240:                             ;   in Loop: Header=BB4_1589 Depth=2
	s_mov_b32 s28, 0x7f800001
	s_xor_b32 s12, exec_lo, -1
; %bb.2241:                             ;   in Loop: Header=BB4_1589 Depth=2
	s_or_b32 exec_lo, exec_lo, vcc_hi
	s_delay_alu instid0(SALU_CYCLE_1)
	s_and_b32 s12, s12, exec_lo
	s_or_saveexec_b32 s29, s29
	v_mov_b32_e32 v16, s28
	s_xor_b32 exec_lo, exec_lo, s29
	s_cbranch_execz .LBB4_1926
.LBB4_2242:                             ;   in Loop: Header=BB4_1589 Depth=2
	v_cmp_ne_u16_e32 vcc_lo, 0, v115
	v_mov_b32_e32 v16, 0
	s_and_not1_b32 s12, s12, exec_lo
	s_and_b32 s28, vcc_lo, exec_lo
	s_delay_alu instid0(SALU_CYCLE_1)
	s_or_b32 s12, s12, s28
	s_or_b32 exec_lo, exec_lo, s29
	s_and_saveexec_b32 s28, s12
	s_cbranch_execnz .LBB4_1927
	s_branch .LBB4_1928
.LBB4_2243:                             ;   in Loop: Header=BB4_1589 Depth=2
	s_mov_b32 s28, -1
	s_mov_b32 vcc_hi, exec_lo
                                        ; implicit-def: $sgpr29
	v_cmpx_eq_u16_e32 0x80, v16
; %bb.2244:                             ;   in Loop: Header=BB4_1589 Depth=2
	s_mov_b32 s29, 0x7f800001
	s_xor_b32 s28, exec_lo, -1
; %bb.2245:                             ;   in Loop: Header=BB4_1589 Depth=2
	s_or_b32 exec_lo, exec_lo, vcc_hi
	s_delay_alu instid0(SALU_CYCLE_1)
	s_and_b32 s28, s28, exec_lo
	s_or_saveexec_b32 s12, s12
	v_mov_b32_e32 v115, s29
	s_xor_b32 exec_lo, exec_lo, s12
	s_cbranch_execz .LBB4_1940
.LBB4_2246:                             ;   in Loop: Header=BB4_1589 Depth=2
	v_cmp_ne_u16_e32 vcc_lo, 0, v16
	v_mov_b32_e32 v115, 0
	s_and_not1_b32 s28, s28, exec_lo
	s_and_b32 s29, vcc_lo, exec_lo
	s_delay_alu instid0(SALU_CYCLE_1)
	s_or_b32 s28, s28, s29
	s_or_b32 exec_lo, exec_lo, s12
	s_and_saveexec_b32 s12, s28
	s_cbranch_execnz .LBB4_1941
	s_branch .LBB4_1942
.LBB4_2247:                             ;   in Loop: Header=BB4_1589 Depth=2
	s_mov_b32 s12, -1
	s_mov_b32 vcc_hi, exec_lo
                                        ; implicit-def: $sgpr28
	v_cmpx_eq_u16_e32 0x80, v117
; %bb.2248:                             ;   in Loop: Header=BB4_1589 Depth=2
	s_mov_b32 s28, 0x7f800001
	s_xor_b32 s12, exec_lo, -1
; %bb.2249:                             ;   in Loop: Header=BB4_1589 Depth=2
	s_or_b32 exec_lo, exec_lo, vcc_hi
	s_delay_alu instid0(SALU_CYCLE_1)
	s_and_b32 s12, s12, exec_lo
                                        ; implicit-def: $vgpr117
	s_or_saveexec_b32 s29, s29
	v_mov_b32_e32 v116, s28
	s_xor_b32 exec_lo, exec_lo, s29
	s_cbranch_execz .LBB4_1944
.LBB4_2250:                             ;   in Loop: Header=BB4_1589 Depth=2
	v_cmp_ne_u16_e32 vcc_lo, 0, v117
	v_mov_b32_e32 v116, 0
	s_and_not1_b32 s12, s12, exec_lo
	s_and_b32 s28, vcc_lo, exec_lo
	s_delay_alu instid0(SALU_CYCLE_1)
	s_or_b32 s12, s12, s28
	s_or_b32 exec_lo, exec_lo, s29
	s_and_saveexec_b32 s28, s12
	s_cbranch_execnz .LBB4_1945
	s_branch .LBB4_1946
.LBB4_2251:                             ;   in Loop: Header=BB4_1589 Depth=2
	s_mov_b32 s12, -1
	s_mov_b32 vcc_hi, exec_lo
                                        ; implicit-def: $sgpr28
	v_cmpx_eq_u16_e32 0x80, v16
; %bb.2252:                             ;   in Loop: Header=BB4_1589 Depth=2
	s_mov_b32 s28, 0x7f800001
	s_xor_b32 s12, exec_lo, -1
; %bb.2253:                             ;   in Loop: Header=BB4_1589 Depth=2
	s_or_b32 exec_lo, exec_lo, vcc_hi
	s_delay_alu instid0(SALU_CYCLE_1)
	s_and_b32 s12, s12, exec_lo
                                        ; implicit-def: $vgpr16
	s_or_saveexec_b32 s29, s29
	v_mov_b32_e32 v115, s28
	s_xor_b32 exec_lo, exec_lo, s29
	s_cbranch_execz .LBB4_1951
.LBB4_2254:                             ;   in Loop: Header=BB4_1589 Depth=2
	v_cmp_ne_u16_e32 vcc_lo, 0, v16
	v_mov_b32_e32 v115, 0
	s_and_not1_b32 s12, s12, exec_lo
	s_and_b32 s28, vcc_lo, exec_lo
	s_delay_alu instid0(SALU_CYCLE_1)
	s_or_b32 s12, s12, s28
	s_or_b32 exec_lo, exec_lo, s29
	s_and_saveexec_b32 s28, s12
	s_cbranch_execnz .LBB4_1952
	s_branch .LBB4_1953
.LBB4_2255:                             ;   in Loop: Header=BB4_1589 Depth=2
	s_mov_b32 s12, -1
	s_mov_b32 vcc_hi, exec_lo
                                        ; implicit-def: $sgpr28
	v_cmpx_eq_u16_e32 0x80, v116
; %bb.2256:                             ;   in Loop: Header=BB4_1589 Depth=2
	s_mov_b32 s28, 0x7f800001
	s_xor_b32 s12, exec_lo, -1
; %bb.2257:                             ;   in Loop: Header=BB4_1589 Depth=2
	s_or_b32 exec_lo, exec_lo, vcc_hi
	s_delay_alu instid0(SALU_CYCLE_1)
	s_and_b32 s12, s12, exec_lo
                                        ; implicit-def: $vgpr116
	s_or_saveexec_b32 s29, s29
	v_mov_b32_e32 v16, s28
	s_xor_b32 exec_lo, exec_lo, s29
	s_cbranch_execz .LBB4_1955
.LBB4_2258:                             ;   in Loop: Header=BB4_1589 Depth=2
	v_cmp_ne_u16_e32 vcc_lo, 0, v116
	v_mov_b32_e32 v16, 0
	s_and_not1_b32 s12, s12, exec_lo
	s_and_b32 s28, vcc_lo, exec_lo
	s_delay_alu instid0(SALU_CYCLE_1)
	s_or_b32 s12, s12, s28
	s_or_b32 exec_lo, exec_lo, s29
	s_and_saveexec_b32 s28, s12
	s_cbranch_execnz .LBB4_1956
	s_branch .LBB4_1957
.LBB4_2259:                             ;   in Loop: Header=BB4_1589 Depth=2
	s_mov_b32 s28, -1
	s_mov_b32 vcc_hi, exec_lo
                                        ; implicit-def: $sgpr29
	v_cmpx_eq_u16_e32 0x80, v116
; %bb.2260:                             ;   in Loop: Header=BB4_1589 Depth=2
	s_mov_b32 s29, 0x7f800001
	s_xor_b32 s28, exec_lo, -1
; %bb.2261:                             ;   in Loop: Header=BB4_1589 Depth=2
	s_or_b32 exec_lo, exec_lo, vcc_hi
	s_delay_alu instid0(SALU_CYCLE_1)
	s_and_b32 s28, s28, exec_lo
	s_or_saveexec_b32 s12, s12
	v_mov_b32_e32 v117, s29
	s_xor_b32 exec_lo, exec_lo, s12
	s_cbranch_execz .LBB4_1969
.LBB4_2262:                             ;   in Loop: Header=BB4_1589 Depth=2
	v_cmp_ne_u16_e32 vcc_lo, 0, v116
	v_mov_b32_e32 v117, 0
	s_and_not1_b32 s28, s28, exec_lo
	s_and_b32 s29, vcc_lo, exec_lo
	s_delay_alu instid0(SALU_CYCLE_1)
	s_or_b32 s28, s28, s29
	s_or_b32 exec_lo, exec_lo, s12
	s_and_saveexec_b32 s12, s28
	s_cbranch_execnz .LBB4_1970
	s_branch .LBB4_1971
.LBB4_2263:                             ;   in Loop: Header=BB4_1589 Depth=2
	s_mov_b32 s12, -1
	s_mov_b32 vcc_hi, exec_lo
                                        ; implicit-def: $sgpr28
	v_cmpx_eq_u16_e32 0x80, v115
; %bb.2264:                             ;   in Loop: Header=BB4_1589 Depth=2
	s_mov_b32 s28, 0x7f800001
	s_xor_b32 s12, exec_lo, -1
; %bb.2265:                             ;   in Loop: Header=BB4_1589 Depth=2
	s_or_b32 exec_lo, exec_lo, vcc_hi
	s_delay_alu instid0(SALU_CYCLE_1)
	s_and_b32 s12, s12, exec_lo
	s_or_saveexec_b32 s29, s29
	v_mov_b32_e32 v118, s28
	s_xor_b32 exec_lo, exec_lo, s29
	s_cbranch_execz .LBB4_1973
.LBB4_2266:                             ;   in Loop: Header=BB4_1589 Depth=2
	v_cmp_ne_u16_e32 vcc_lo, 0, v115
	v_mov_b32_e32 v118, 0
	s_and_not1_b32 s12, s12, exec_lo
	s_and_b32 s28, vcc_lo, exec_lo
	s_delay_alu instid0(SALU_CYCLE_1)
	s_or_b32 s12, s12, s28
	s_or_b32 exec_lo, exec_lo, s29
	s_and_saveexec_b32 s28, s12
	s_cbranch_execnz .LBB4_1974
	s_branch .LBB4_1975
.LBB4_2267:                             ;   in Loop: Header=BB4_1589 Depth=2
	s_mov_b32 s12, -1
	s_mov_b32 vcc_hi, exec_lo
                                        ; implicit-def: $sgpr28
	v_cmpx_eq_u16_e32 0x80, v116
; %bb.2268:                             ;   in Loop: Header=BB4_1589 Depth=2
	s_mov_b32 s28, 0x7f800001
	s_xor_b32 s12, exec_lo, -1
; %bb.2269:                             ;   in Loop: Header=BB4_1589 Depth=2
	s_or_b32 exec_lo, exec_lo, vcc_hi
	s_delay_alu instid0(SALU_CYCLE_1)
	s_and_b32 s12, s12, exec_lo
	s_or_saveexec_b32 s29, s29
	v_mov_b32_e32 v117, s28
	s_xor_b32 exec_lo, exec_lo, s29
	s_cbranch_execz .LBB4_1980
.LBB4_2270:                             ;   in Loop: Header=BB4_1589 Depth=2
	v_cmp_ne_u16_e32 vcc_lo, 0, v116
	v_mov_b32_e32 v117, 0
	s_and_not1_b32 s12, s12, exec_lo
	s_and_b32 s28, vcc_lo, exec_lo
	s_delay_alu instid0(SALU_CYCLE_1)
	s_or_b32 s12, s12, s28
	s_or_b32 exec_lo, exec_lo, s29
	s_and_saveexec_b32 s28, s12
	s_cbranch_execnz .LBB4_1981
	s_branch .LBB4_1982
.LBB4_2271:                             ;   in Loop: Header=BB4_1589 Depth=2
	s_mov_b32 s12, -1
	s_mov_b32 vcc_hi, exec_lo
                                        ; implicit-def: $sgpr28
	v_cmpx_eq_u16_e32 0x80, v115
; %bb.2272:                             ;   in Loop: Header=BB4_1589 Depth=2
	s_mov_b32 s28, 0x7f800001
	s_xor_b32 s12, exec_lo, -1
; %bb.2273:                             ;   in Loop: Header=BB4_1589 Depth=2
	s_or_b32 exec_lo, exec_lo, vcc_hi
	s_delay_alu instid0(SALU_CYCLE_1)
	s_and_b32 s12, s12, exec_lo
	s_or_saveexec_b32 s29, s29
	v_mov_b32_e32 v116, s28
	s_xor_b32 exec_lo, exec_lo, s29
	s_cbranch_execz .LBB4_1984
.LBB4_2274:                             ;   in Loop: Header=BB4_1589 Depth=2
	v_cmp_ne_u16_e32 vcc_lo, 0, v115
	v_mov_b32_e32 v116, 0
	s_and_not1_b32 s12, s12, exec_lo
	s_and_b32 s28, vcc_lo, exec_lo
	s_delay_alu instid0(SALU_CYCLE_1)
	s_or_b32 s12, s12, s28
	s_or_b32 exec_lo, exec_lo, s29
	s_and_saveexec_b32 s28, s12
	s_cbranch_execnz .LBB4_1985
	s_branch .LBB4_1986
.LBB4_2275:                             ;   in Loop: Header=BB4_1589 Depth=2
	s_mov_b32 s28, -1
	s_mov_b32 vcc_hi, exec_lo
                                        ; implicit-def: $sgpr29
	v_cmpx_eq_u16_e32 0x80, v118
; %bb.2276:                             ;   in Loop: Header=BB4_1589 Depth=2
	s_mov_b32 s29, 0x7f800001
	s_xor_b32 s28, exec_lo, -1
; %bb.2277:                             ;   in Loop: Header=BB4_1589 Depth=2
	s_or_b32 exec_lo, exec_lo, vcc_hi
	s_delay_alu instid0(SALU_CYCLE_1)
	s_and_b32 s28, s28, exec_lo
	s_or_saveexec_b32 s12, s12
	v_mov_b32_e32 v119, s29
	s_xor_b32 exec_lo, exec_lo, s12
	s_cbranch_execz .LBB4_1998
.LBB4_2278:                             ;   in Loop: Header=BB4_1589 Depth=2
	v_cmp_ne_u16_e32 vcc_lo, 0, v118
	v_mov_b32_e32 v119, 0
	s_and_not1_b32 s28, s28, exec_lo
	s_and_b32 s29, vcc_lo, exec_lo
	s_delay_alu instid0(SALU_CYCLE_1)
	s_or_b32 s28, s28, s29
	s_or_b32 exec_lo, exec_lo, s12
	s_and_saveexec_b32 s12, s28
	s_cbranch_execnz .LBB4_1999
	s_branch .LBB4_2000
.LBB4_2279:                             ;   in Loop: Header=BB4_1589 Depth=2
	s_mov_b32 s12, -1
	s_mov_b32 vcc_hi, exec_lo
                                        ; implicit-def: $sgpr28
	v_cmpx_eq_u16_e64 0x80, v129
; %bb.2280:                             ;   in Loop: Header=BB4_1589 Depth=2
	s_mov_b32 s28, 0x7f800001
	s_xor_b32 s12, exec_lo, -1
; %bb.2281:                             ;   in Loop: Header=BB4_1589 Depth=2
	s_or_b32 exec_lo, exec_lo, vcc_hi
	s_delay_alu instid0(SALU_CYCLE_1)
	s_and_b32 s12, s12, exec_lo
                                        ; implicit-def: $vgpr129
	s_or_saveexec_b32 s29, s29
	v_mov_b32_e32 v128, s28
	s_xor_b32 exec_lo, exec_lo, s29
	s_cbranch_execz .LBB4_2002
.LBB4_2282:                             ;   in Loop: Header=BB4_1589 Depth=2
	v_cmp_ne_u16_e64 vcc_lo, 0, v129
	v_mov_b32_e32 v128, 0
	s_and_not1_b32 s12, s12, exec_lo
	s_delay_alu instid0(VALU_DEP_2) | instskip(NEXT) | instid1(SALU_CYCLE_1)
	s_and_b32 s28, vcc_lo, exec_lo
	s_or_b32 s12, s12, s28
	s_or_b32 exec_lo, exec_lo, s29
	s_and_saveexec_b32 s28, s12
	s_cbranch_execnz .LBB4_2003
	s_branch .LBB4_2004
.LBB4_2283:                             ;   in Loop: Header=BB4_1589 Depth=2
	s_mov_b32 s12, -1
	s_mov_b32 vcc_hi, exec_lo
                                        ; implicit-def: $sgpr28
	v_cmpx_eq_u16_e32 0x80, v118
; %bb.2284:                             ;   in Loop: Header=BB4_1589 Depth=2
	s_mov_b32 s28, 0x7f800001
	s_xor_b32 s12, exec_lo, -1
; %bb.2285:                             ;   in Loop: Header=BB4_1589 Depth=2
	s_or_b32 exec_lo, exec_lo, vcc_hi
	s_delay_alu instid0(SALU_CYCLE_1)
	s_and_b32 s12, s12, exec_lo
                                        ; implicit-def: $vgpr118
	s_or_saveexec_b32 s29, s29
	v_mov_b32_e32 v119, s28
	s_xor_b32 exec_lo, exec_lo, s29
	s_cbranch_execz .LBB4_2009
.LBB4_2286:                             ;   in Loop: Header=BB4_1589 Depth=2
	v_cmp_ne_u16_e32 vcc_lo, 0, v118
	v_mov_b32_e32 v119, 0
	s_and_not1_b32 s12, s12, exec_lo
	s_and_b32 s28, vcc_lo, exec_lo
	s_delay_alu instid0(SALU_CYCLE_1)
	s_or_b32 s12, s12, s28
	s_or_b32 exec_lo, exec_lo, s29
	s_and_saveexec_b32 s28, s12
	s_cbranch_execnz .LBB4_2010
	s_branch .LBB4_2011
.LBB4_2287:                             ;   in Loop: Header=BB4_1589 Depth=2
	s_mov_b32 s12, -1
	s_mov_b32 vcc_hi, exec_lo
                                        ; implicit-def: $sgpr28
	v_cmpx_eq_u16_e32 0x80, v118
; %bb.2288:                             ;   in Loop: Header=BB4_1589 Depth=2
	s_mov_b32 s28, 0x7f800001
	s_xor_b32 s12, exec_lo, -1
; %bb.2289:                             ;   in Loop: Header=BB4_1589 Depth=2
	s_or_b32 exec_lo, exec_lo, vcc_hi
	s_delay_alu instid0(SALU_CYCLE_1)
	s_and_b32 s12, s12, exec_lo
                                        ; implicit-def: $vgpr118
	s_or_saveexec_b32 s29, s29
	v_mov_b32_e32 v117, s28
	s_xor_b32 exec_lo, exec_lo, s29
	s_cbranch_execz .LBB4_2013
.LBB4_2290:                             ;   in Loop: Header=BB4_1589 Depth=2
	v_cmp_ne_u16_e32 vcc_lo, 0, v118
	v_mov_b32_e32 v117, 0
	s_and_not1_b32 s12, s12, exec_lo
	s_and_b32 s28, vcc_lo, exec_lo
	s_delay_alu instid0(SALU_CYCLE_1)
	s_or_b32 s12, s12, s28
	s_or_b32 exec_lo, exec_lo, s29
	s_and_saveexec_b32 s28, s12
	s_cbranch_execnz .LBB4_2014
	s_branch .LBB4_2015
.LBB4_2291:                             ;   in Loop: Header=BB4_1589 Depth=2
	s_mov_b32 s28, -1
	s_mov_b32 vcc_hi, exec_lo
                                        ; implicit-def: $sgpr29
	v_cmpx_eq_u16_e32 0x80, v118
; %bb.2292:                             ;   in Loop: Header=BB4_1589 Depth=2
	s_mov_b32 s29, 0x7f800001
	s_xor_b32 s28, exec_lo, -1
; %bb.2293:                             ;   in Loop: Header=BB4_1589 Depth=2
	s_or_b32 exec_lo, exec_lo, vcc_hi
	s_delay_alu instid0(SALU_CYCLE_1)
	s_and_b32 s28, s28, exec_lo
	s_or_saveexec_b32 s12, s12
	v_mov_b32_e32 v119, s29
	s_xor_b32 exec_lo, exec_lo, s12
	s_cbranch_execz .LBB4_2027
.LBB4_2294:                             ;   in Loop: Header=BB4_1589 Depth=2
	v_cmp_ne_u16_e32 vcc_lo, 0, v118
	v_mov_b32_e32 v119, 0
	s_and_not1_b32 s28, s28, exec_lo
	s_and_b32 s29, vcc_lo, exec_lo
	s_delay_alu instid0(SALU_CYCLE_1)
	s_or_b32 s28, s28, s29
	s_or_b32 exec_lo, exec_lo, s12
	s_and_saveexec_b32 s12, s28
	s_cbranch_execnz .LBB4_2028
	s_branch .LBB4_2029
.LBB4_2295:                             ;   in Loop: Header=BB4_1589 Depth=2
	s_mov_b32 s12, -1
	s_mov_b32 vcc_hi, exec_lo
                                        ; implicit-def: $sgpr28
	v_cmpx_eq_u16_e32 0x80, v117
; %bb.2296:                             ;   in Loop: Header=BB4_1589 Depth=2
	s_mov_b32 s28, 0x7f800001
	s_xor_b32 s12, exec_lo, -1
; %bb.2297:                             ;   in Loop: Header=BB4_1589 Depth=2
	s_or_b32 exec_lo, exec_lo, vcc_hi
	s_delay_alu instid0(SALU_CYCLE_1)
	s_and_b32 s12, s12, exec_lo
	s_or_saveexec_b32 s29, s29
	v_mov_b32_e32 v128, s28
	s_xor_b32 exec_lo, exec_lo, s29
	s_cbranch_execz .LBB4_2031
.LBB4_2298:                             ;   in Loop: Header=BB4_1589 Depth=2
	v_cmp_ne_u16_e32 vcc_lo, 0, v117
	v_mov_b32_e32 v128, 0
	s_and_not1_b32 s12, s12, exec_lo
	s_and_b32 s28, vcc_lo, exec_lo
	s_delay_alu instid0(SALU_CYCLE_1)
	s_or_b32 s12, s12, s28
	s_or_b32 exec_lo, exec_lo, s29
	s_and_saveexec_b32 s28, s12
	s_cbranch_execnz .LBB4_2032
	s_branch .LBB4_2033
.LBB4_2299:                             ;   in Loop: Header=BB4_1589 Depth=2
	s_mov_b32 s12, -1
	s_mov_b32 vcc_hi, exec_lo
                                        ; implicit-def: $sgpr28
	v_cmpx_eq_u16_e32 0x80, v118
; %bb.2300:                             ;   in Loop: Header=BB4_1589 Depth=2
	s_mov_b32 s28, 0x7f800001
	s_xor_b32 s12, exec_lo, -1
; %bb.2301:                             ;   in Loop: Header=BB4_1589 Depth=2
	s_or_b32 exec_lo, exec_lo, vcc_hi
	s_delay_alu instid0(SALU_CYCLE_1)
	s_and_b32 s12, s12, exec_lo
	s_or_saveexec_b32 s29, s29
	v_mov_b32_e32 v119, s28
	s_xor_b32 exec_lo, exec_lo, s29
	s_cbranch_execz .LBB4_2038
.LBB4_2302:                             ;   in Loop: Header=BB4_1589 Depth=2
	v_cmp_ne_u16_e32 vcc_lo, 0, v118
	v_mov_b32_e32 v119, 0
	s_and_not1_b32 s12, s12, exec_lo
	s_and_b32 s28, vcc_lo, exec_lo
	s_delay_alu instid0(SALU_CYCLE_1)
	s_or_b32 s12, s12, s28
	s_or_b32 exec_lo, exec_lo, s29
	s_and_saveexec_b32 s28, s12
	s_cbranch_execnz .LBB4_2039
	s_branch .LBB4_2040
.LBB4_2303:                             ;   in Loop: Header=BB4_1589 Depth=2
	s_mov_b32 s12, -1
	s_mov_b32 vcc_hi, exec_lo
                                        ; implicit-def: $sgpr28
	v_cmpx_eq_u16_e32 0x80, v117
; %bb.2304:                             ;   in Loop: Header=BB4_1589 Depth=2
	s_mov_b32 s28, 0x7f800001
	s_xor_b32 s12, exec_lo, -1
; %bb.2305:                             ;   in Loop: Header=BB4_1589 Depth=2
	s_or_b32 exec_lo, exec_lo, vcc_hi
	s_delay_alu instid0(SALU_CYCLE_1)
	s_and_b32 s12, s12, exec_lo
	s_or_saveexec_b32 s29, s29
	v_mov_b32_e32 v17, s28
	s_xor_b32 exec_lo, exec_lo, s29
	s_cbranch_execz .LBB4_2042
.LBB4_2306:                             ;   in Loop: Header=BB4_1589 Depth=2
	v_cmp_ne_u16_e32 vcc_lo, 0, v117
	v_mov_b32_e32 v17, 0
	s_and_not1_b32 s12, s12, exec_lo
	s_and_b32 s28, vcc_lo, exec_lo
	s_delay_alu instid0(SALU_CYCLE_1)
	s_or_b32 s12, s12, s28
	s_or_b32 exec_lo, exec_lo, s29
	s_and_saveexec_b32 s28, s12
	s_cbranch_execnz .LBB4_2043
	s_branch .LBB4_2044
.LBB4_2307:                             ;   in Loop: Header=BB4_53 Depth=1
	s_or_b32 exec_lo, exec_lo, s26
.LBB4_2308:                             ;   in Loop: Header=BB4_53 Depth=1
	s_delay_alu instid0(SALU_CYCLE_1) | instskip(SKIP_3) | instid1(VALU_DEP_1)
	s_or_b32 exec_lo, exec_lo, s25
	v_dual_mov_b32 v16, 0 :: v_dual_and_b32 v11, 15, v52
	s_mov_b32 s12, 0
	s_mov_b32 s25, exec_lo
                                        ; implicit-def: $vgpr18
                                        ; implicit-def: $vgpr10
	v_cndmask_b32_e64 v17, v25, v11, s11
	s_delay_alu instid0(VALU_DEP_1)
	v_cmpx_ne_u32_e32 0, v17
	s_cbranch_execz .LBB4_2310
; %bb.2309:                             ;   in Loop: Header=BB4_53 Depth=1
	v_cmp_lt_i32_e32 vcc_lo, 0, v66
	v_sub_nc_u32_e32 v11, v25, v11
	v_and_b32_e32 v12, 0x3ffffe00, v52
	s_mov_b32 s12, exec_lo
	v_cndmask_b32_e32 v10, 0, v83, vcc_lo
	s_delay_alu instid0(VALU_DEP_3) | instskip(NEXT) | instid1(VALU_DEP_2)
	v_cndmask_b32_e64 v11, 0, v11, s11
	v_sub_nc_u32_e32 v10, v10, v66
	s_delay_alu instid0(VALU_DEP_2) | instskip(NEXT) | instid1(VALU_DEP_2)
	v_add_nc_u32_e32 v16, v11, v12
	v_lshl_add_u32 v18, v10, 5, v24
	s_delay_alu instid0(VALU_DEP_1) | instskip(NEXT) | instid1(VALU_DEP_1)
	v_ashrrev_i32_e32 v10, 31, v18
	v_lshrrev_b32_e32 v10, 27, v10
	s_delay_alu instid0(VALU_DEP_1) | instskip(NEXT) | instid1(VALU_DEP_1)
	v_add_nc_u32_e32 v10, v18, v10
	v_ashrrev_i32_e32 v10, 5, v10
.LBB4_2310:                             ;   in Loop: Header=BB4_53 Depth=1
	s_or_b32 exec_lo, exec_lo, s25
	s_delay_alu instid0(SALU_CYCLE_1)
	s_and_b32 s11, s12, exec_lo
.LBB4_2311:                             ;   in Loop: Header=BB4_53 Depth=1
	s_or_b32 exec_lo, exec_lo, s24
.LBB4_2312:                             ;   in Loop: Header=BB4_53 Depth=1
	s_and_saveexec_b32 s12, s11
	s_cbranch_execz .LBB4_3088
; %bb.2313:                             ;   in Loop: Header=BB4_53 Depth=1
	s_delay_alu instid0(VALU_DEP_1) | instskip(SKIP_1) | instid1(VALU_DEP_1)
	v_ashrrev_i32_e32 v11, 31, v17
	s_mov_b32 s24, exec_lo
	v_lshrrev_b32_e32 v11, 23, v11
	s_delay_alu instid0(VALU_DEP_1) | instskip(NEXT) | instid1(VALU_DEP_1)
	v_add_nc_u32_e32 v11, v17, v11
	v_ashrrev_i32_e32 v20, 9, v11
	s_waitcnt vmcnt(0)
	s_delay_alu instid0(VALU_DEP_1) | instskip(NEXT) | instid1(VALU_DEP_1)
	v_sub_nc_u32_e32 v19, v20, v10
	v_cmpx_lt_i32_e32 0, v19
	s_cbranch_execz .LBB4_3038
; %bb.2314:                             ;   in Loop: Header=BB4_53 Depth=1
	s_cbranch_execz .LBB4_2315
; %bb.6867:
	s_getpc_b64 s[34:35]
.Lpost_getpc73:
	s_add_u32 s34, s34, (.LBB4_6735-.Lpost_getpc73)&4294967295
	s_addc_u32 s35, s35, (.LBB4_6735-.Lpost_getpc73)>>32
	s_setpc_b64 s[34:35]
.LBB4_2315:                             ;   in Loop: Header=BB4_53 Depth=1
	v_ashrrev_i32_e32 v11, 31, v18
	ds_load_b64 v[21:22], v0
	v_lshlrev_b32_e32 v10, 9, v10
	s_bitcmp1_b32 s23, 0
	s_mov_b32 s26, 0
	v_lshrrev_b32_e32 v11, 27, v11
	s_cselect_b32 s25, -1, 0
	s_delay_alu instid0(VALU_DEP_1) | instskip(NEXT) | instid1(VALU_DEP_1)
	v_add_nc_u32_e32 v11, v18, v11
	v_and_b32_e32 v15, 0xffffffe0, v11
	ds_load_b128 v[11:14], v0
	v_sub_nc_u32_e32 v15, v18, v15
	s_waitcnt lgkmcnt(1)
	v_add_co_u32 v21, vcc_lo, 0x1e0, v21
	v_add_co_ci_u32_e32 v22, vcc_lo, 0, v22, vcc_lo
	s_delay_alu instid0(VALU_DEP_3) | instskip(NEXT) | instid1(VALU_DEP_1)
	v_add3_u32 v15, v16, v15, v10
	v_ashrrev_i32_e32 v23, 31, v15
	s_waitcnt lgkmcnt(0)
	v_add_co_u32 v10, vcc_lo, v11, v15
	s_delay_alu instid0(VALU_DEP_2)
	v_add_co_ci_u32_e32 v11, vcc_lo, v12, v23, vcc_lo
	v_add_co_u32 v12, vcc_lo, v13, v15
	v_add_co_ci_u32_e32 v13, vcc_lo, v14, v23, vcc_lo
	v_add_co_u32 v14, vcc_lo, v21, v15
	v_add_co_ci_u32_e32 v15, vcc_lo, v22, v23, vcc_lo
	s_branch .LBB4_2319
.LBB4_2316:                             ;   in Loop: Header=BB4_2319 Depth=2
	s_or_b32 exec_lo, exec_lo, s11
	s_delay_alu instid0(VALU_DEP_1) | instskip(NEXT) | instid1(VALU_DEP_2)
	v_lshrrev_b32_e32 v22, 20, v22
	v_cmp_gt_i32_e32 vcc_lo, 16, v21
	v_lshrrev_b32_e32 v25, 24, v25
	v_min_i32_e32 v68, 15, v21
	s_delay_alu instid0(VALU_DEP_2) | instskip(NEXT) | instid1(VALU_DEP_1)
	v_dual_cndmask_b32 v22, 7, v22 :: v_dual_and_b32 v25, 0x80, v25
	v_or_b32_e32 v21, v21, v22
	v_and_b32_e32 v71, 7, v22
	s_delay_alu instid0(VALU_DEP_2) | instskip(SKIP_1) | instid1(VALU_DEP_1)
	v_cmp_ne_u32_e32 vcc_lo, 0, v21
	v_lshlrev_b32_e32 v68, 3, v68
	v_or3_b32 v22, v68, v25, v71
	s_delay_alu instid0(VALU_DEP_1)
	v_cndmask_b32_e32 v21, 0, v22, vcc_lo
.LBB4_2317:                             ;   in Loop: Header=BB4_2319 Depth=2
	s_or_b32 exec_lo, exec_lo, s28
.LBB4_2318:                             ;   in Loop: Header=BB4_2319 Depth=2
	s_delay_alu instid0(SALU_CYCLE_1)
	s_or_b32 exec_lo, exec_lo, s27
	v_add_co_u32 v133, vcc_lo, 0xfffffe20, v14
	v_add_co_ci_u32_e32 v134, vcc_lo, -1, v15, vcc_lo
	v_add_co_u32 v144, vcc_lo, 0xfffffe40, v14
	v_add_co_ci_u32_e32 v145, vcc_lo, -1, v15, vcc_lo
	;; [unrolled: 2-line block ×5, first 2 shown]
	v_add_co_u32 v22, vcc_lo, 0xfffffec0, v14
	flat_store_b8 v[133:134], v23 glc slc dlc
	flat_store_b8 v[144:145], v66 glc slc dlc
	;; [unrolled: 1-line block ×5, first 2 shown]
	v_add_co_ci_u32_e32 v23, vcc_lo, -1, v15, vcc_lo
	v_add_co_u32 v68, vcc_lo, 0xfffffee0, v14
	v_add_co_ci_u32_e32 v69, vcc_lo, -1, v15, vcc_lo
	v_add_co_u32 v114, vcc_lo, 0xffffff00, v14
	v_add_co_ci_u32_e32 v115, vcc_lo, -1, v15, vcc_lo
	v_add_co_u32 v133, vcc_lo, 0xffffff20, v14
	v_add_co_ci_u32_e32 v134, vcc_lo, -1, v15, vcc_lo
	v_add_co_u32 v144, vcc_lo, 0xffffff40, v14
	v_add_co_ci_u32_e32 v145, vcc_lo, -1, v15, vcc_lo
	flat_store_b8 v[22:23], v118 glc slc dlc
	flat_store_b8 v[68:69], v129 glc slc dlc
	;; [unrolled: 1-line block ×5, first 2 shown]
	v_add_co_u32 v22, vcc_lo, 0xffffff60, v14
	v_add_co_ci_u32_e32 v23, vcc_lo, -1, v15, vcc_lo
	v_add_co_u32 v68, vcc_lo, 0xffffff80, v14
	v_add_co_ci_u32_e32 v69, vcc_lo, -1, v15, vcc_lo
	;; [unrolled: 2-line block ×5, first 2 shown]
	v_add_co_u32 v10, vcc_lo, v10, v100
	v_sub_nc_u32_e32 v19, v19, v83
	v_add_co_ci_u32_e32 v11, vcc_lo, v11, v101, vcc_lo
	v_add_co_u32 v12, vcc_lo, v12, v100
	v_add_co_ci_u32_e32 v13, vcc_lo, v13, v101, vcc_lo
	flat_store_b8 v[22:23], v116 glc slc dlc
	flat_store_b8 v[68:69], v113 glc slc dlc
	;; [unrolled: 1-line block ×6, first 2 shown]
	v_cmp_gt_i32_e32 vcc_lo, 1, v19
	v_add_co_u32 v14, s11, v14, v100
	s_delay_alu instid0(VALU_DEP_1) | instskip(SKIP_1) | instid1(SALU_CYCLE_1)
	v_add_co_ci_u32_e64 v15, s11, v15, v101, s11
	s_or_b32 s26, vcc_lo, s26
	s_and_not1_b32 exec_lo, exec_lo, s26
	s_cbranch_execz .LBB4_3037
.LBB4_2319:                             ;   Parent Loop BB4_53 Depth=1
                                        ; =>  This Inner Loop Header: Depth=2
	s_clause 0xf
	flat_load_u8 v148, v[10:11] slc dlc
	flat_load_u8 v147, v[10:11] offset:32 slc dlc
	flat_load_u8 v146, v[10:11] offset:64 slc dlc
	;; [unrolled: 1-line block ×15, first 2 shown]
	s_clause 0xf
	flat_load_u8 v23, v[12:13] slc dlc
	flat_load_u8 v66, v[12:13] offset:32 slc dlc
	flat_load_u8 v69, v[12:13] offset:64 slc dlc
	;; [unrolled: 1-line block ×15, first 2 shown]
	s_and_b32 vcc_lo, exec_lo, s25
	s_cbranch_vccz .LBB4_2329
; %bb.2320:                             ;   in Loop: Header=BB4_2319 Depth=2
	s_waitcnt vmcnt(31) lgkmcnt(31)
	v_and_b32_e32 v150, 0xff, v148
	s_mov_b32 s11, 0
	s_mov_b32 s28, exec_lo
                                        ; implicit-def: $sgpr27
	s_delay_alu instid0(VALU_DEP_1)
	v_cmpx_lt_i16_e64 0x7f, v150
	s_xor_b32 s28, exec_lo, s28
	s_cbranch_execnz .LBB4_2781
; %bb.2321:                             ;   in Loop: Header=BB4_2319 Depth=2
	s_or_saveexec_b32 s28, s28
	v_mov_b32_e32 v149, s27
	s_xor_b32 exec_lo, exec_lo, s28
	s_cbranch_execnz .LBB4_2784
.LBB4_2322:                             ;   in Loop: Header=BB4_2319 Depth=2
	s_or_b32 exec_lo, exec_lo, s28
	s_and_saveexec_b32 s27, s11
	s_cbranch_execz .LBB4_2324
.LBB4_2323:                             ;   in Loop: Header=BB4_2319 Depth=2
	v_lshrrev_b16 v160, 3, v148
	v_lshlrev_b32_e32 v161, 24, v148
	s_delay_alu instid0(VALU_DEP_2) | instskip(NEXT) | instid1(VALU_DEP_1)
	v_and_b32_e32 v160, 15, v160
	v_cmp_eq_u32_e32 vcc_lo, 0, v160
	v_and_b32_e32 v149, 7, v148
	s_delay_alu instid0(VALU_DEP_1) | instskip(NEXT) | instid1(VALU_DEP_1)
	v_clz_i32_u32_e32 v150, v149
	v_min_u32_e32 v150, 32, v150
	s_delay_alu instid0(VALU_DEP_1) | instskip(SKIP_1) | instid1(VALU_DEP_1)
	v_subrev_nc_u32_e32 v151, 28, v150
	v_sub_nc_u32_e32 v150, 29, v150
	v_dual_cndmask_b32 v150, v160, v150 :: v_dual_lshlrev_b32 v151, v151, v148
	s_delay_alu instid0(VALU_DEP_1) | instskip(NEXT) | instid1(VALU_DEP_2)
	v_and_b32_e32 v151, 7, v151
	v_lshl_add_u32 v150, v150, 23, 0x3b800000
	s_delay_alu instid0(VALU_DEP_2) | instskip(SKIP_1) | instid1(VALU_DEP_2)
	v_cndmask_b32_e32 v149, v149, v151, vcc_lo
	v_and_b32_e32 v151, 0x80000000, v161
	v_lshlrev_b32_e32 v149, 20, v149
	s_delay_alu instid0(VALU_DEP_1)
	v_or3_b32 v149, v151, v150, v149
.LBB4_2324:                             ;   in Loop: Header=BB4_2319 Depth=2
	s_or_b32 exec_lo, exec_lo, s27
	s_waitcnt vmcnt(15) lgkmcnt(15)
	v_and_b32_e32 v151, 0xff, v23
	s_mov_b32 s11, 0
	s_mov_b32 s28, exec_lo
                                        ; implicit-def: $sgpr27
	s_delay_alu instid0(VALU_DEP_1)
	v_cmpx_lt_i16_e64 0x7f, v151
	s_xor_b32 s28, exec_lo, s28
	s_cbranch_execnz .LBB4_2785
; %bb.2325:                             ;   in Loop: Header=BB4_2319 Depth=2
	s_or_saveexec_b32 s28, s28
	v_mov_b32_e32 v150, s27
	s_xor_b32 exec_lo, exec_lo, s28
	s_cbranch_execnz .LBB4_2788
.LBB4_2326:                             ;   in Loop: Header=BB4_2319 Depth=2
	s_or_b32 exec_lo, exec_lo, s28
	s_and_saveexec_b32 s27, s11
	s_cbranch_execz .LBB4_2328
.LBB4_2327:                             ;   in Loop: Header=BB4_2319 Depth=2
	v_and_b32_e32 v150, 7, v23
	v_lshrrev_b16 v161, 3, v23
	v_lshlrev_b32_e32 v162, 24, v23
	s_delay_alu instid0(VALU_DEP_3) | instskip(NEXT) | instid1(VALU_DEP_1)
	v_clz_i32_u32_e32 v151, v150
	v_min_u32_e32 v151, 32, v151
	s_delay_alu instid0(VALU_DEP_1) | instskip(SKIP_1) | instid1(VALU_DEP_2)
	v_subrev_nc_u32_e32 v160, 28, v151
	v_sub_nc_u32_e32 v151, 29, v151
	v_lshlrev_b32_e32 v160, v160, v23
	s_delay_alu instid0(VALU_DEP_1) | instskip(SKIP_1) | instid1(VALU_DEP_1)
	v_and_b32_e32 v160, 7, v160
	v_and_b32_e32 v161, 15, v161
	v_cmp_eq_u32_e32 vcc_lo, 0, v161
	s_delay_alu instid0(VALU_DEP_3) | instskip(SKIP_1) | instid1(VALU_DEP_2)
	v_dual_cndmask_b32 v150, v150, v160 :: v_dual_cndmask_b32 v151, v161, v151
	v_and_b32_e32 v160, 0x80000000, v162
	v_lshlrev_b32_e32 v150, 20, v150
	s_delay_alu instid0(VALU_DEP_3) | instskip(NEXT) | instid1(VALU_DEP_1)
	v_lshl_add_u32 v151, v151, 23, 0x3b800000
	v_or3_b32 v150, v160, v151, v150
.LBB4_2328:                             ;   in Loop: Header=BB4_2319 Depth=2
	s_or_b32 exec_lo, exec_lo, s27
	s_delay_alu instid0(VALU_DEP_1) | instskip(SKIP_1) | instid1(VALU_DEP_1)
	v_dual_max_f32 v150, v150, v150 :: v_dual_max_f32 v149, v149, v149
	s_mov_b32 s11, 0
	v_max_f32_e32 v149, v149, v150
	s_branch .LBB4_2330
.LBB4_2329:                             ;   in Loop: Header=BB4_2319 Depth=2
	s_mov_b32 s11, -1
                                        ; implicit-def: $vgpr149
.LBB4_2330:                             ;   in Loop: Header=BB4_2319 Depth=2
	s_delay_alu instid0(SALU_CYCLE_1)
	s_and_b32 vcc_lo, exec_lo, s11
	s_cbranch_vccz .LBB4_2340
; %bb.2331:                             ;   in Loop: Header=BB4_2319 Depth=2
	s_waitcnt vmcnt(31) lgkmcnt(31)
	v_and_b32_e32 v150, 0xff, v148
	s_mov_b32 s11, 0
	s_mov_b32 s28, exec_lo
                                        ; implicit-def: $sgpr27
	s_delay_alu instid0(VALU_DEP_1)
	v_cmpx_lt_i16_e64 0x7f, v150
	s_xor_b32 s28, exec_lo, s28
	s_cbranch_execnz .LBB4_2789
; %bb.2332:                             ;   in Loop: Header=BB4_2319 Depth=2
	s_or_saveexec_b32 s28, s28
	v_mov_b32_e32 v149, s27
	s_xor_b32 exec_lo, exec_lo, s28
	s_cbranch_execnz .LBB4_2792
.LBB4_2333:                             ;   in Loop: Header=BB4_2319 Depth=2
	s_or_b32 exec_lo, exec_lo, s28
	s_and_saveexec_b32 s27, s11
	s_cbranch_execz .LBB4_2335
.LBB4_2334:                             ;   in Loop: Header=BB4_2319 Depth=2
	v_lshrrev_b16 v160, 3, v148
	s_delay_alu instid0(VALU_DEP_1) | instskip(NEXT) | instid1(VALU_DEP_1)
	v_and_b32_e32 v160, 15, v160
	v_cmp_eq_u32_e32 vcc_lo, 0, v160
	v_and_b32_e32 v149, 7, v148
	s_delay_alu instid0(VALU_DEP_1) | instskip(NEXT) | instid1(VALU_DEP_1)
	v_clz_i32_u32_e32 v150, v149
	v_min_u32_e32 v150, 32, v150
	s_delay_alu instid0(VALU_DEP_1) | instskip(SKIP_1) | instid1(VALU_DEP_1)
	v_subrev_nc_u32_e32 v151, 28, v150
	v_sub_nc_u32_e32 v150, 29, v150
	v_dual_cndmask_b32 v150, v160, v150 :: v_dual_lshlrev_b32 v151, v151, v148
	v_lshlrev_b32_e32 v148, 24, v148
	s_delay_alu instid0(VALU_DEP_2) | instskip(NEXT) | instid1(VALU_DEP_3)
	v_and_b32_e32 v151, 7, v151
	v_lshl_add_u32 v150, v150, 23, 0x3b800000
	s_delay_alu instid0(VALU_DEP_2) | instskip(NEXT) | instid1(VALU_DEP_1)
	v_dual_cndmask_b32 v149, v149, v151 :: v_dual_and_b32 v148, 0x80000000, v148
	v_lshlrev_b32_e32 v149, 20, v149
	s_delay_alu instid0(VALU_DEP_1)
	v_or3_b32 v149, v148, v150, v149
.LBB4_2335:                             ;   in Loop: Header=BB4_2319 Depth=2
	s_or_b32 exec_lo, exec_lo, s27
	s_waitcnt vmcnt(15) lgkmcnt(15)
	v_and_b32_e32 v150, 0xff, v23
	s_mov_b32 s11, 0
	s_mov_b32 s28, exec_lo
                                        ; implicit-def: $sgpr27
	s_delay_alu instid0(VALU_DEP_1)
	v_cmpx_lt_i16_e64 0x7f, v150
	s_xor_b32 s28, exec_lo, s28
	s_cbranch_execnz .LBB4_2793
; %bb.2336:                             ;   in Loop: Header=BB4_2319 Depth=2
	s_or_saveexec_b32 s28, s28
	v_mov_b32_e32 v148, s27
	s_xor_b32 exec_lo, exec_lo, s28
	s_cbranch_execnz .LBB4_2796
.LBB4_2337:                             ;   in Loop: Header=BB4_2319 Depth=2
	s_or_b32 exec_lo, exec_lo, s28
	s_and_saveexec_b32 s27, s11
	s_cbranch_execz .LBB4_2339
.LBB4_2338:                             ;   in Loop: Header=BB4_2319 Depth=2
	v_and_b32_e32 v148, 7, v23
	v_lshrrev_b16 v160, 3, v23
	s_delay_alu instid0(VALU_DEP_2) | instskip(NEXT) | instid1(VALU_DEP_2)
	v_clz_i32_u32_e32 v150, v148
	v_and_b32_e32 v160, 15, v160
	s_delay_alu instid0(VALU_DEP_2) | instskip(NEXT) | instid1(VALU_DEP_2)
	v_min_u32_e32 v150, 32, v150
	v_cmp_eq_u32_e32 vcc_lo, 0, v160
	s_delay_alu instid0(VALU_DEP_2) | instskip(SKIP_1) | instid1(VALU_DEP_1)
	v_subrev_nc_u32_e32 v151, 28, v150
	v_sub_nc_u32_e32 v150, 29, v150
	v_dual_cndmask_b32 v150, v160, v150 :: v_dual_lshlrev_b32 v151, v151, v23
	v_lshlrev_b32_e32 v23, 24, v23
	s_delay_alu instid0(VALU_DEP_2) | instskip(NEXT) | instid1(VALU_DEP_3)
	v_and_b32_e32 v151, 7, v151
	v_lshl_add_u32 v150, v150, 23, 0x3b800000
	s_delay_alu instid0(VALU_DEP_3) | instskip(NEXT) | instid1(VALU_DEP_3)
	v_and_b32_e32 v23, 0x80000000, v23
	v_cndmask_b32_e32 v148, v148, v151, vcc_lo
	s_delay_alu instid0(VALU_DEP_1) | instskip(NEXT) | instid1(VALU_DEP_1)
	v_lshlrev_b32_e32 v148, 20, v148
	v_or3_b32 v148, v23, v150, v148
.LBB4_2339:                             ;   in Loop: Header=BB4_2319 Depth=2
	s_or_b32 exec_lo, exec_lo, s27
	s_delay_alu instid0(VALU_DEP_1) | instskip(NEXT) | instid1(VALU_DEP_1)
	v_dual_max_f32 v23, v148, v148 :: v_dual_max_f32 v148, v149, v149
	v_min_f32_e32 v149, v148, v23
.LBB4_2340:                             ;   in Loop: Header=BB4_2319 Depth=2
	s_waitcnt vmcnt(15) lgkmcnt(15)
	s_delay_alu instid0(VALU_DEP_1) | instskip(NEXT) | instid1(VALU_DEP_1)
	v_and_b32_e32 v23, 0x7f800000, v149
	v_cmp_ne_u32_e32 vcc_lo, 0x7f800000, v23
	v_mov_b32_e32 v23, 0x80
	s_and_saveexec_b32 s27, vcc_lo
	s_cbranch_execz .LBB4_2348
; %bb.2341:                             ;   in Loop: Header=BB4_2319 Depth=2
	v_mov_b32_e32 v23, 0
	s_mov_b32 s28, exec_lo
	v_cmpx_ne_u32_e32 0, v149
	s_cbranch_execz .LBB4_2347
; %bb.2342:                             ;   in Loop: Header=BB4_2319 Depth=2
	v_bfe_u32 v23, v149, 23, 8
	v_and_b32_e32 v148, 0x7fffff, v149
	s_delay_alu instid0(VALU_DEP_2) | instskip(SKIP_1) | instid1(VALU_DEP_3)
	v_sub_nc_u32_e32 v150, 0x78, v23
	v_cmp_gt_u32_e32 vcc_lo, 0x79, v23
	v_or_b32_e32 v151, 0x800000, v148
	s_delay_alu instid0(VALU_DEP_3) | instskip(SKIP_2) | instid1(VALU_DEP_3)
	v_cndmask_b32_e32 v150, 0, v150, vcc_lo
	v_cmp_eq_u32_e32 vcc_lo, 0, v23
	v_add_nc_u32_e32 v23, 0xffffff89, v23
	v_cndmask_b32_e64 v150, v150, 0x77, vcc_lo
	v_cndmask_b32_e32 v148, v151, v148, vcc_lo
	s_delay_alu instid0(VALU_DEP_3) | instskip(NEXT) | instid1(VALU_DEP_3)
	v_cndmask_b32_e64 v23, v23, 0xffffff8a, vcc_lo
	v_lshl_add_u32 v151, 0x100000, v150, -1
	s_delay_alu instid0(VALU_DEP_3) | instskip(SKIP_1) | instid1(VALU_DEP_4)
	v_lshrrev_b32_e32 v160, v150, v148
	v_lshlrev_b32_e64 v162, v150, 0x80000
	v_add_nc_u32_e32 v150, v150, v23
	s_delay_alu instid0(VALU_DEP_4) | instskip(NEXT) | instid1(VALU_DEP_4)
	v_and_b32_e32 v148, v151, v148
	v_bfe_u32 v161, v160, 20, 1
	s_delay_alu instid0(VALU_DEP_2) | instskip(NEXT) | instid1(VALU_DEP_2)
	v_cmp_eq_u32_e64 s11, v148, v162
	v_add_nc_u32_e32 v151, -1, v161
	s_delay_alu instid0(VALU_DEP_1) | instskip(SKIP_2) | instid1(VALU_DEP_2)
	v_cndmask_b32_e64 v148, 0, v151, s11
	v_lshrrev_b32_e32 v151, 23, v160
	s_mov_b32 s11, exec_lo
	v_add_nc_u32_e32 v148, v148, v160
	s_delay_alu instid0(VALU_DEP_2) | instskip(NEXT) | instid1(VALU_DEP_2)
	v_xor_b32_e32 v151, 1, v151
	v_and_b32_e32 v23, 0xfffff, v148
	s_delay_alu instid0(VALU_DEP_1) | instskip(NEXT) | instid1(VALU_DEP_3)
	v_add_nc_u32_e32 v148, v23, v160
                                        ; implicit-def: $vgpr23
	v_cmpx_ne_u32_e64 v150, v151
	s_xor_b32 s11, exec_lo, s11
; %bb.2343:                             ;   in Loop: Header=BB4_2319 Depth=2
	s_delay_alu instid0(VALU_DEP_2) | instskip(SKIP_2) | instid1(VALU_DEP_2)
	v_cmp_lt_u32_e32 vcc_lo, 0xffffff, v148
	v_sub_nc_u32_e32 v23, v150, v151
	v_cndmask_b32_e64 v150, 0, 1, vcc_lo
	v_add_co_ci_u32_e32 v23, vcc_lo, 0, v23, vcc_lo
	s_delay_alu instid0(VALU_DEP_2)
	v_lshrrev_b32_e32 v148, v150, v148
; %bb.2344:                             ;   in Loop: Header=BB4_2319 Depth=2
	s_and_not1_saveexec_b32 s11, s11
; %bb.2345:                             ;   in Loop: Header=BB4_2319 Depth=2
	s_delay_alu instid0(VALU_DEP_1)
	v_bfe_u32 v23, v148, 23, 1
; %bb.2346:                             ;   in Loop: Header=BB4_2319 Depth=2
	s_or_b32 exec_lo, exec_lo, s11
	v_lshrrev_b32_e32 v148, 20, v148
	s_delay_alu instid0(VALU_DEP_2) | instskip(SKIP_2) | instid1(VALU_DEP_2)
	v_cmp_gt_i32_e32 vcc_lo, 16, v23
	v_lshrrev_b32_e32 v149, 24, v149
	v_min_i32_e32 v150, 15, v23
	v_dual_cndmask_b32 v148, 7, v148 :: v_dual_and_b32 v149, 0x80, v149
	s_delay_alu instid0(VALU_DEP_1) | instskip(SKIP_1) | instid1(VALU_DEP_2)
	v_or_b32_e32 v23, v23, v148
	v_and_b32_e32 v151, 7, v148
	v_cmp_ne_u32_e32 vcc_lo, 0, v23
	v_lshlrev_b32_e32 v150, 3, v150
	s_delay_alu instid0(VALU_DEP_1) | instskip(NEXT) | instid1(VALU_DEP_1)
	v_or3_b32 v148, v150, v149, v151
	v_cndmask_b32_e32 v23, 0, v148, vcc_lo
.LBB4_2347:                             ;   in Loop: Header=BB4_2319 Depth=2
	s_or_b32 exec_lo, exec_lo, s28
.LBB4_2348:                             ;   in Loop: Header=BB4_2319 Depth=2
	s_delay_alu instid0(SALU_CYCLE_1) | instskip(NEXT) | instid1(SALU_CYCLE_1)
	s_or_b32 exec_lo, exec_lo, s27
	s_and_not1_b32 vcc_lo, exec_lo, s25
	s_cbranch_vccnz .LBB4_2358
; %bb.2349:                             ;   in Loop: Header=BB4_2319 Depth=2
	v_and_b32_e32 v149, 0xff, v147
	s_mov_b32 s11, 0
	s_mov_b32 s28, exec_lo
                                        ; implicit-def: $sgpr27
	s_delay_alu instid0(VALU_DEP_1)
	v_cmpx_lt_i16_e64 0x7f, v149
	s_xor_b32 s28, exec_lo, s28
	s_cbranch_execnz .LBB4_2797
; %bb.2350:                             ;   in Loop: Header=BB4_2319 Depth=2
	s_or_saveexec_b32 s28, s28
	v_mov_b32_e32 v148, s27
	s_xor_b32 exec_lo, exec_lo, s28
	s_cbranch_execnz .LBB4_2800
.LBB4_2351:                             ;   in Loop: Header=BB4_2319 Depth=2
	s_or_b32 exec_lo, exec_lo, s28
	s_and_saveexec_b32 s27, s11
	s_cbranch_execz .LBB4_2353
.LBB4_2352:                             ;   in Loop: Header=BB4_2319 Depth=2
	v_lshrrev_b16 v151, 3, v147
	v_lshlrev_b32_e32 v160, 24, v147
	s_delay_alu instid0(VALU_DEP_2) | instskip(NEXT) | instid1(VALU_DEP_1)
	v_and_b32_e32 v151, 15, v151
	v_cmp_eq_u32_e32 vcc_lo, 0, v151
	v_and_b32_e32 v148, 7, v147
	s_delay_alu instid0(VALU_DEP_1) | instskip(NEXT) | instid1(VALU_DEP_1)
	v_clz_i32_u32_e32 v149, v148
	v_min_u32_e32 v149, 32, v149
	s_delay_alu instid0(VALU_DEP_1) | instskip(SKIP_1) | instid1(VALU_DEP_1)
	v_subrev_nc_u32_e32 v150, 28, v149
	v_sub_nc_u32_e32 v149, 29, v149
	v_dual_cndmask_b32 v149, v151, v149 :: v_dual_lshlrev_b32 v150, v150, v147
	s_delay_alu instid0(VALU_DEP_1) | instskip(NEXT) | instid1(VALU_DEP_2)
	v_and_b32_e32 v150, 7, v150
	v_lshl_add_u32 v149, v149, 23, 0x3b800000
	s_delay_alu instid0(VALU_DEP_2) | instskip(SKIP_1) | instid1(VALU_DEP_2)
	v_cndmask_b32_e32 v148, v148, v150, vcc_lo
	v_and_b32_e32 v150, 0x80000000, v160
	v_lshlrev_b32_e32 v148, 20, v148
	s_delay_alu instid0(VALU_DEP_1)
	v_or3_b32 v148, v150, v149, v148
.LBB4_2353:                             ;   in Loop: Header=BB4_2319 Depth=2
	s_or_b32 exec_lo, exec_lo, s27
	s_waitcnt vmcnt(14) lgkmcnt(14)
	v_and_b32_e32 v150, 0xff, v66
	s_mov_b32 s11, 0
	s_mov_b32 s28, exec_lo
                                        ; implicit-def: $sgpr27
	s_delay_alu instid0(VALU_DEP_1)
	v_cmpx_lt_i16_e64 0x7f, v150
	s_xor_b32 s28, exec_lo, s28
	s_cbranch_execnz .LBB4_2801
; %bb.2354:                             ;   in Loop: Header=BB4_2319 Depth=2
	s_or_saveexec_b32 s28, s28
	v_mov_b32_e32 v149, s27
	s_xor_b32 exec_lo, exec_lo, s28
	s_cbranch_execnz .LBB4_2804
.LBB4_2355:                             ;   in Loop: Header=BB4_2319 Depth=2
	s_or_b32 exec_lo, exec_lo, s28
	s_and_saveexec_b32 s27, s11
	s_cbranch_execz .LBB4_2357
.LBB4_2356:                             ;   in Loop: Header=BB4_2319 Depth=2
	v_and_b32_e32 v149, 7, v66
	v_lshrrev_b16 v160, 3, v66
	v_lshlrev_b32_e32 v161, 24, v66
	s_delay_alu instid0(VALU_DEP_3) | instskip(NEXT) | instid1(VALU_DEP_1)
	v_clz_i32_u32_e32 v150, v149
	v_min_u32_e32 v150, 32, v150
	s_delay_alu instid0(VALU_DEP_1) | instskip(SKIP_1) | instid1(VALU_DEP_2)
	v_subrev_nc_u32_e32 v151, 28, v150
	v_sub_nc_u32_e32 v150, 29, v150
	v_lshlrev_b32_e32 v151, v151, v66
	s_delay_alu instid0(VALU_DEP_1) | instskip(SKIP_1) | instid1(VALU_DEP_1)
	v_and_b32_e32 v151, 7, v151
	v_and_b32_e32 v160, 15, v160
	v_cmp_eq_u32_e32 vcc_lo, 0, v160
	s_delay_alu instid0(VALU_DEP_3) | instskip(SKIP_1) | instid1(VALU_DEP_2)
	v_dual_cndmask_b32 v149, v149, v151 :: v_dual_cndmask_b32 v150, v160, v150
	v_and_b32_e32 v151, 0x80000000, v161
	v_lshlrev_b32_e32 v149, 20, v149
	s_delay_alu instid0(VALU_DEP_3) | instskip(NEXT) | instid1(VALU_DEP_1)
	v_lshl_add_u32 v150, v150, 23, 0x3b800000
	v_or3_b32 v149, v151, v150, v149
.LBB4_2357:                             ;   in Loop: Header=BB4_2319 Depth=2
	s_or_b32 exec_lo, exec_lo, s27
	s_delay_alu instid0(VALU_DEP_1) | instskip(SKIP_1) | instid1(VALU_DEP_1)
	v_dual_max_f32 v149, v149, v149 :: v_dual_max_f32 v148, v148, v148
	s_mov_b32 s11, 0
	v_max_f32_e32 v148, v148, v149
	s_branch .LBB4_2359
.LBB4_2358:                             ;   in Loop: Header=BB4_2319 Depth=2
	s_mov_b32 s11, -1
                                        ; implicit-def: $vgpr148
.LBB4_2359:                             ;   in Loop: Header=BB4_2319 Depth=2
	s_delay_alu instid0(SALU_CYCLE_1)
	s_and_b32 vcc_lo, exec_lo, s11
	s_cbranch_vccz .LBB4_2369
; %bb.2360:                             ;   in Loop: Header=BB4_2319 Depth=2
	v_and_b32_e32 v149, 0xff, v147
	s_mov_b32 s11, 0
	s_mov_b32 s28, exec_lo
                                        ; implicit-def: $sgpr27
	s_delay_alu instid0(VALU_DEP_1)
	v_cmpx_lt_i16_e64 0x7f, v149
	s_xor_b32 s28, exec_lo, s28
	s_cbranch_execnz .LBB4_2805
; %bb.2361:                             ;   in Loop: Header=BB4_2319 Depth=2
	s_or_saveexec_b32 s28, s28
	v_mov_b32_e32 v148, s27
	s_xor_b32 exec_lo, exec_lo, s28
	s_cbranch_execnz .LBB4_2808
.LBB4_2362:                             ;   in Loop: Header=BB4_2319 Depth=2
	s_or_b32 exec_lo, exec_lo, s28
	s_and_saveexec_b32 s27, s11
	s_cbranch_execz .LBB4_2364
.LBB4_2363:                             ;   in Loop: Header=BB4_2319 Depth=2
	v_lshrrev_b16 v151, 3, v147
	s_delay_alu instid0(VALU_DEP_1) | instskip(NEXT) | instid1(VALU_DEP_1)
	v_and_b32_e32 v151, 15, v151
	v_cmp_eq_u32_e32 vcc_lo, 0, v151
	v_and_b32_e32 v148, 7, v147
	s_delay_alu instid0(VALU_DEP_1) | instskip(NEXT) | instid1(VALU_DEP_1)
	v_clz_i32_u32_e32 v149, v148
	v_min_u32_e32 v149, 32, v149
	s_delay_alu instid0(VALU_DEP_1) | instskip(SKIP_1) | instid1(VALU_DEP_1)
	v_subrev_nc_u32_e32 v150, 28, v149
	v_sub_nc_u32_e32 v149, 29, v149
	v_dual_cndmask_b32 v149, v151, v149 :: v_dual_lshlrev_b32 v150, v150, v147
	v_lshlrev_b32_e32 v147, 24, v147
	s_delay_alu instid0(VALU_DEP_2) | instskip(NEXT) | instid1(VALU_DEP_3)
	v_and_b32_e32 v150, 7, v150
	v_lshl_add_u32 v149, v149, 23, 0x3b800000
	s_delay_alu instid0(VALU_DEP_2) | instskip(NEXT) | instid1(VALU_DEP_1)
	v_dual_cndmask_b32 v148, v148, v150 :: v_dual_and_b32 v147, 0x80000000, v147
	v_lshlrev_b32_e32 v148, 20, v148
	s_delay_alu instid0(VALU_DEP_1)
	v_or3_b32 v148, v147, v149, v148
.LBB4_2364:                             ;   in Loop: Header=BB4_2319 Depth=2
	s_or_b32 exec_lo, exec_lo, s27
	s_waitcnt vmcnt(14) lgkmcnt(14)
	v_and_b32_e32 v149, 0xff, v66
	s_mov_b32 s11, 0
	s_mov_b32 s28, exec_lo
                                        ; implicit-def: $sgpr27
	s_delay_alu instid0(VALU_DEP_1)
	v_cmpx_lt_i16_e64 0x7f, v149
	s_xor_b32 s28, exec_lo, s28
	s_cbranch_execnz .LBB4_2809
; %bb.2365:                             ;   in Loop: Header=BB4_2319 Depth=2
	s_or_saveexec_b32 s28, s28
	v_mov_b32_e32 v147, s27
	s_xor_b32 exec_lo, exec_lo, s28
	s_cbranch_execnz .LBB4_2812
.LBB4_2366:                             ;   in Loop: Header=BB4_2319 Depth=2
	s_or_b32 exec_lo, exec_lo, s28
	s_and_saveexec_b32 s27, s11
	s_cbranch_execz .LBB4_2368
.LBB4_2367:                             ;   in Loop: Header=BB4_2319 Depth=2
	v_and_b32_e32 v147, 7, v66
	v_lshrrev_b16 v151, 3, v66
	s_delay_alu instid0(VALU_DEP_2) | instskip(NEXT) | instid1(VALU_DEP_2)
	v_clz_i32_u32_e32 v149, v147
	v_and_b32_e32 v151, 15, v151
	s_delay_alu instid0(VALU_DEP_2) | instskip(NEXT) | instid1(VALU_DEP_2)
	v_min_u32_e32 v149, 32, v149
	v_cmp_eq_u32_e32 vcc_lo, 0, v151
	s_delay_alu instid0(VALU_DEP_2) | instskip(SKIP_1) | instid1(VALU_DEP_1)
	v_subrev_nc_u32_e32 v150, 28, v149
	v_sub_nc_u32_e32 v149, 29, v149
	v_dual_cndmask_b32 v149, v151, v149 :: v_dual_lshlrev_b32 v150, v150, v66
	v_lshlrev_b32_e32 v66, 24, v66
	s_delay_alu instid0(VALU_DEP_2) | instskip(NEXT) | instid1(VALU_DEP_3)
	v_and_b32_e32 v150, 7, v150
	v_lshl_add_u32 v149, v149, 23, 0x3b800000
	s_delay_alu instid0(VALU_DEP_3) | instskip(NEXT) | instid1(VALU_DEP_3)
	v_and_b32_e32 v66, 0x80000000, v66
	v_cndmask_b32_e32 v147, v147, v150, vcc_lo
	s_delay_alu instid0(VALU_DEP_1) | instskip(NEXT) | instid1(VALU_DEP_1)
	v_lshlrev_b32_e32 v147, 20, v147
	v_or3_b32 v147, v66, v149, v147
.LBB4_2368:                             ;   in Loop: Header=BB4_2319 Depth=2
	s_or_b32 exec_lo, exec_lo, s27
	s_delay_alu instid0(VALU_DEP_1) | instskip(NEXT) | instid1(VALU_DEP_1)
	v_dual_max_f32 v66, v147, v147 :: v_dual_max_f32 v147, v148, v148
	v_min_f32_e32 v148, v147, v66
.LBB4_2369:                             ;   in Loop: Header=BB4_2319 Depth=2
	s_waitcnt vmcnt(14) lgkmcnt(14)
	s_delay_alu instid0(VALU_DEP_1) | instskip(NEXT) | instid1(VALU_DEP_1)
	v_and_b32_e32 v66, 0x7f800000, v148
	v_cmp_ne_u32_e32 vcc_lo, 0x7f800000, v66
	v_mov_b32_e32 v66, 0x80
	s_and_saveexec_b32 s27, vcc_lo
	s_cbranch_execz .LBB4_2377
; %bb.2370:                             ;   in Loop: Header=BB4_2319 Depth=2
	v_mov_b32_e32 v66, 0
	s_mov_b32 s28, exec_lo
	v_cmpx_ne_u32_e32 0, v148
	s_cbranch_execz .LBB4_2376
; %bb.2371:                             ;   in Loop: Header=BB4_2319 Depth=2
	v_bfe_u32 v66, v148, 23, 8
	v_and_b32_e32 v147, 0x7fffff, v148
	s_delay_alu instid0(VALU_DEP_2) | instskip(SKIP_1) | instid1(VALU_DEP_3)
	v_sub_nc_u32_e32 v149, 0x78, v66
	v_cmp_gt_u32_e32 vcc_lo, 0x79, v66
	v_or_b32_e32 v150, 0x800000, v147
	s_delay_alu instid0(VALU_DEP_3) | instskip(SKIP_2) | instid1(VALU_DEP_3)
	v_cndmask_b32_e32 v149, 0, v149, vcc_lo
	v_cmp_eq_u32_e32 vcc_lo, 0, v66
	v_add_nc_u32_e32 v66, 0xffffff89, v66
	v_cndmask_b32_e64 v149, v149, 0x77, vcc_lo
	v_cndmask_b32_e32 v147, v150, v147, vcc_lo
	s_delay_alu instid0(VALU_DEP_3) | instskip(NEXT) | instid1(VALU_DEP_3)
	v_cndmask_b32_e64 v66, v66, 0xffffff8a, vcc_lo
	v_lshl_add_u32 v150, 0x100000, v149, -1
	s_delay_alu instid0(VALU_DEP_3) | instskip(SKIP_1) | instid1(VALU_DEP_4)
	v_lshrrev_b32_e32 v151, v149, v147
	v_lshlrev_b32_e64 v161, v149, 0x80000
	v_add_nc_u32_e32 v149, v149, v66
	s_delay_alu instid0(VALU_DEP_4) | instskip(NEXT) | instid1(VALU_DEP_4)
	v_and_b32_e32 v147, v150, v147
	v_bfe_u32 v160, v151, 20, 1
	s_delay_alu instid0(VALU_DEP_2) | instskip(NEXT) | instid1(VALU_DEP_2)
	v_cmp_eq_u32_e64 s11, v147, v161
	v_add_nc_u32_e32 v150, -1, v160
	s_delay_alu instid0(VALU_DEP_1) | instskip(SKIP_2) | instid1(VALU_DEP_2)
	v_cndmask_b32_e64 v147, 0, v150, s11
	v_lshrrev_b32_e32 v150, 23, v151
	s_mov_b32 s11, exec_lo
	v_add_nc_u32_e32 v147, v147, v151
	s_delay_alu instid0(VALU_DEP_2) | instskip(NEXT) | instid1(VALU_DEP_2)
	v_xor_b32_e32 v150, 1, v150
	v_and_b32_e32 v66, 0xfffff, v147
	s_delay_alu instid0(VALU_DEP_1) | instskip(NEXT) | instid1(VALU_DEP_3)
	v_add_nc_u32_e32 v147, v66, v151
                                        ; implicit-def: $vgpr66
	v_cmpx_ne_u32_e64 v149, v150
	s_xor_b32 s11, exec_lo, s11
; %bb.2372:                             ;   in Loop: Header=BB4_2319 Depth=2
	s_delay_alu instid0(VALU_DEP_2) | instskip(SKIP_2) | instid1(VALU_DEP_2)
	v_cmp_lt_u32_e32 vcc_lo, 0xffffff, v147
	v_sub_nc_u32_e32 v66, v149, v150
	v_cndmask_b32_e64 v149, 0, 1, vcc_lo
	v_add_co_ci_u32_e32 v66, vcc_lo, 0, v66, vcc_lo
	s_delay_alu instid0(VALU_DEP_2)
	v_lshrrev_b32_e32 v147, v149, v147
; %bb.2373:                             ;   in Loop: Header=BB4_2319 Depth=2
	s_and_not1_saveexec_b32 s11, s11
; %bb.2374:                             ;   in Loop: Header=BB4_2319 Depth=2
	s_delay_alu instid0(VALU_DEP_1)
	v_bfe_u32 v66, v147, 23, 1
; %bb.2375:                             ;   in Loop: Header=BB4_2319 Depth=2
	s_or_b32 exec_lo, exec_lo, s11
	v_lshrrev_b32_e32 v147, 20, v147
	s_delay_alu instid0(VALU_DEP_2) | instskip(SKIP_2) | instid1(VALU_DEP_2)
	v_cmp_gt_i32_e32 vcc_lo, 16, v66
	v_lshrrev_b32_e32 v148, 24, v148
	v_min_i32_e32 v149, 15, v66
	v_dual_cndmask_b32 v147, 7, v147 :: v_dual_and_b32 v148, 0x80, v148
	s_delay_alu instid0(VALU_DEP_1) | instskip(SKIP_1) | instid1(VALU_DEP_2)
	v_or_b32_e32 v66, v66, v147
	v_and_b32_e32 v150, 7, v147
	v_cmp_ne_u32_e32 vcc_lo, 0, v66
	v_lshlrev_b32_e32 v149, 3, v149
	s_delay_alu instid0(VALU_DEP_1) | instskip(NEXT) | instid1(VALU_DEP_1)
	v_or3_b32 v147, v149, v148, v150
	v_cndmask_b32_e32 v66, 0, v147, vcc_lo
.LBB4_2376:                             ;   in Loop: Header=BB4_2319 Depth=2
	s_or_b32 exec_lo, exec_lo, s28
.LBB4_2377:                             ;   in Loop: Header=BB4_2319 Depth=2
	s_delay_alu instid0(SALU_CYCLE_1) | instskip(NEXT) | instid1(SALU_CYCLE_1)
	s_or_b32 exec_lo, exec_lo, s27
	s_and_not1_b32 vcc_lo, exec_lo, s25
	s_cbranch_vccnz .LBB4_2387
; %bb.2378:                             ;   in Loop: Header=BB4_2319 Depth=2
	v_and_b32_e32 v148, 0xff, v146
	s_mov_b32 s11, 0
	s_mov_b32 s28, exec_lo
                                        ; implicit-def: $sgpr27
	s_delay_alu instid0(VALU_DEP_1)
	v_cmpx_lt_i16_e64 0x7f, v148
	s_xor_b32 s28, exec_lo, s28
	s_cbranch_execnz .LBB4_2813
; %bb.2379:                             ;   in Loop: Header=BB4_2319 Depth=2
	s_or_saveexec_b32 s28, s28
	v_mov_b32_e32 v147, s27
	s_xor_b32 exec_lo, exec_lo, s28
	s_cbranch_execnz .LBB4_2816
.LBB4_2380:                             ;   in Loop: Header=BB4_2319 Depth=2
	s_or_b32 exec_lo, exec_lo, s28
	s_and_saveexec_b32 s27, s11
	s_cbranch_execz .LBB4_2382
.LBB4_2381:                             ;   in Loop: Header=BB4_2319 Depth=2
	v_lshrrev_b16 v150, 3, v146
	v_lshlrev_b32_e32 v151, 24, v146
	s_delay_alu instid0(VALU_DEP_2) | instskip(NEXT) | instid1(VALU_DEP_1)
	v_and_b32_e32 v150, 15, v150
	v_cmp_eq_u32_e32 vcc_lo, 0, v150
	v_and_b32_e32 v147, 7, v146
	s_delay_alu instid0(VALU_DEP_1) | instskip(NEXT) | instid1(VALU_DEP_1)
	v_clz_i32_u32_e32 v148, v147
	v_min_u32_e32 v148, 32, v148
	s_delay_alu instid0(VALU_DEP_1) | instskip(SKIP_1) | instid1(VALU_DEP_1)
	v_subrev_nc_u32_e32 v149, 28, v148
	v_sub_nc_u32_e32 v148, 29, v148
	v_dual_cndmask_b32 v148, v150, v148 :: v_dual_lshlrev_b32 v149, v149, v146
	s_delay_alu instid0(VALU_DEP_1) | instskip(NEXT) | instid1(VALU_DEP_2)
	v_and_b32_e32 v149, 7, v149
	v_lshl_add_u32 v148, v148, 23, 0x3b800000
	s_delay_alu instid0(VALU_DEP_2) | instskip(SKIP_1) | instid1(VALU_DEP_2)
	v_cndmask_b32_e32 v147, v147, v149, vcc_lo
	v_and_b32_e32 v149, 0x80000000, v151
	v_lshlrev_b32_e32 v147, 20, v147
	s_delay_alu instid0(VALU_DEP_1)
	v_or3_b32 v147, v149, v148, v147
.LBB4_2382:                             ;   in Loop: Header=BB4_2319 Depth=2
	s_or_b32 exec_lo, exec_lo, s27
	s_waitcnt vmcnt(13) lgkmcnt(13)
	v_and_b32_e32 v149, 0xff, v69
	s_mov_b32 s11, 0
	s_mov_b32 s28, exec_lo
                                        ; implicit-def: $sgpr27
	s_delay_alu instid0(VALU_DEP_1)
	v_cmpx_lt_i16_e64 0x7f, v149
	s_xor_b32 s28, exec_lo, s28
	s_cbranch_execnz .LBB4_2817
; %bb.2383:                             ;   in Loop: Header=BB4_2319 Depth=2
	s_or_saveexec_b32 s28, s28
	v_mov_b32_e32 v148, s27
	s_xor_b32 exec_lo, exec_lo, s28
	s_cbranch_execnz .LBB4_2820
.LBB4_2384:                             ;   in Loop: Header=BB4_2319 Depth=2
	s_or_b32 exec_lo, exec_lo, s28
	s_and_saveexec_b32 s27, s11
	s_cbranch_execz .LBB4_2386
.LBB4_2385:                             ;   in Loop: Header=BB4_2319 Depth=2
	v_and_b32_e32 v148, 7, v69
	v_lshrrev_b16 v151, 3, v69
	v_lshlrev_b32_e32 v160, 24, v69
	s_delay_alu instid0(VALU_DEP_3) | instskip(NEXT) | instid1(VALU_DEP_1)
	v_clz_i32_u32_e32 v149, v148
	v_min_u32_e32 v149, 32, v149
	s_delay_alu instid0(VALU_DEP_1) | instskip(SKIP_1) | instid1(VALU_DEP_2)
	v_subrev_nc_u32_e32 v150, 28, v149
	v_sub_nc_u32_e32 v149, 29, v149
	v_lshlrev_b32_e32 v150, v150, v69
	s_delay_alu instid0(VALU_DEP_1) | instskip(SKIP_1) | instid1(VALU_DEP_1)
	v_and_b32_e32 v150, 7, v150
	v_and_b32_e32 v151, 15, v151
	v_cmp_eq_u32_e32 vcc_lo, 0, v151
	s_delay_alu instid0(VALU_DEP_3) | instskip(SKIP_1) | instid1(VALU_DEP_2)
	v_dual_cndmask_b32 v148, v148, v150 :: v_dual_cndmask_b32 v149, v151, v149
	v_and_b32_e32 v150, 0x80000000, v160
	v_lshlrev_b32_e32 v148, 20, v148
	s_delay_alu instid0(VALU_DEP_3) | instskip(NEXT) | instid1(VALU_DEP_1)
	v_lshl_add_u32 v149, v149, 23, 0x3b800000
	v_or3_b32 v148, v150, v149, v148
.LBB4_2386:                             ;   in Loop: Header=BB4_2319 Depth=2
	s_or_b32 exec_lo, exec_lo, s27
	s_delay_alu instid0(VALU_DEP_1) | instskip(SKIP_1) | instid1(VALU_DEP_1)
	v_dual_max_f32 v148, v148, v148 :: v_dual_max_f32 v147, v147, v147
	s_mov_b32 s11, 0
	v_max_f32_e32 v147, v147, v148
	s_branch .LBB4_2388
.LBB4_2387:                             ;   in Loop: Header=BB4_2319 Depth=2
	s_mov_b32 s11, -1
                                        ; implicit-def: $vgpr147
.LBB4_2388:                             ;   in Loop: Header=BB4_2319 Depth=2
	s_delay_alu instid0(SALU_CYCLE_1)
	s_and_b32 vcc_lo, exec_lo, s11
	s_cbranch_vccz .LBB4_2398
; %bb.2389:                             ;   in Loop: Header=BB4_2319 Depth=2
	v_and_b32_e32 v148, 0xff, v146
	s_mov_b32 s11, 0
	s_mov_b32 s28, exec_lo
                                        ; implicit-def: $sgpr27
	s_delay_alu instid0(VALU_DEP_1)
	v_cmpx_lt_i16_e64 0x7f, v148
	s_xor_b32 s28, exec_lo, s28
	s_cbranch_execnz .LBB4_2821
; %bb.2390:                             ;   in Loop: Header=BB4_2319 Depth=2
	s_or_saveexec_b32 s28, s28
	v_mov_b32_e32 v147, s27
	s_xor_b32 exec_lo, exec_lo, s28
	s_cbranch_execnz .LBB4_2824
.LBB4_2391:                             ;   in Loop: Header=BB4_2319 Depth=2
	s_or_b32 exec_lo, exec_lo, s28
	s_and_saveexec_b32 s27, s11
	s_cbranch_execz .LBB4_2393
.LBB4_2392:                             ;   in Loop: Header=BB4_2319 Depth=2
	v_lshrrev_b16 v150, 3, v146
	s_delay_alu instid0(VALU_DEP_1) | instskip(NEXT) | instid1(VALU_DEP_1)
	v_and_b32_e32 v150, 15, v150
	v_cmp_eq_u32_e32 vcc_lo, 0, v150
	v_and_b32_e32 v147, 7, v146
	s_delay_alu instid0(VALU_DEP_1) | instskip(NEXT) | instid1(VALU_DEP_1)
	v_clz_i32_u32_e32 v148, v147
	v_min_u32_e32 v148, 32, v148
	s_delay_alu instid0(VALU_DEP_1) | instskip(SKIP_1) | instid1(VALU_DEP_1)
	v_subrev_nc_u32_e32 v149, 28, v148
	v_sub_nc_u32_e32 v148, 29, v148
	v_dual_cndmask_b32 v148, v150, v148 :: v_dual_lshlrev_b32 v149, v149, v146
	v_lshlrev_b32_e32 v146, 24, v146
	s_delay_alu instid0(VALU_DEP_2) | instskip(NEXT) | instid1(VALU_DEP_3)
	v_and_b32_e32 v149, 7, v149
	v_lshl_add_u32 v148, v148, 23, 0x3b800000
	s_delay_alu instid0(VALU_DEP_2) | instskip(NEXT) | instid1(VALU_DEP_1)
	v_dual_cndmask_b32 v147, v147, v149 :: v_dual_and_b32 v146, 0x80000000, v146
	v_lshlrev_b32_e32 v147, 20, v147
	s_delay_alu instid0(VALU_DEP_1)
	v_or3_b32 v147, v146, v148, v147
.LBB4_2393:                             ;   in Loop: Header=BB4_2319 Depth=2
	s_or_b32 exec_lo, exec_lo, s27
	s_waitcnt vmcnt(13) lgkmcnt(13)
	v_and_b32_e32 v148, 0xff, v69
	s_mov_b32 s11, 0
	s_mov_b32 s28, exec_lo
                                        ; implicit-def: $sgpr27
	s_delay_alu instid0(VALU_DEP_1)
	v_cmpx_lt_i16_e64 0x7f, v148
	s_xor_b32 s28, exec_lo, s28
	s_cbranch_execnz .LBB4_2825
; %bb.2394:                             ;   in Loop: Header=BB4_2319 Depth=2
	s_or_saveexec_b32 s28, s28
	v_mov_b32_e32 v146, s27
	s_xor_b32 exec_lo, exec_lo, s28
	s_cbranch_execnz .LBB4_2828
.LBB4_2395:                             ;   in Loop: Header=BB4_2319 Depth=2
	s_or_b32 exec_lo, exec_lo, s28
	s_and_saveexec_b32 s27, s11
	s_cbranch_execz .LBB4_2397
.LBB4_2396:                             ;   in Loop: Header=BB4_2319 Depth=2
	v_and_b32_e32 v146, 7, v69
	v_lshrrev_b16 v150, 3, v69
	s_delay_alu instid0(VALU_DEP_2) | instskip(NEXT) | instid1(VALU_DEP_2)
	v_clz_i32_u32_e32 v148, v146
	v_and_b32_e32 v150, 15, v150
	s_delay_alu instid0(VALU_DEP_2) | instskip(NEXT) | instid1(VALU_DEP_2)
	v_min_u32_e32 v148, 32, v148
	v_cmp_eq_u32_e32 vcc_lo, 0, v150
	s_delay_alu instid0(VALU_DEP_2) | instskip(SKIP_1) | instid1(VALU_DEP_1)
	v_subrev_nc_u32_e32 v149, 28, v148
	v_sub_nc_u32_e32 v148, 29, v148
	v_dual_cndmask_b32 v148, v150, v148 :: v_dual_lshlrev_b32 v149, v149, v69
	v_lshlrev_b32_e32 v69, 24, v69
	s_delay_alu instid0(VALU_DEP_2) | instskip(NEXT) | instid1(VALU_DEP_3)
	v_and_b32_e32 v149, 7, v149
	v_lshl_add_u32 v148, v148, 23, 0x3b800000
	s_delay_alu instid0(VALU_DEP_3) | instskip(NEXT) | instid1(VALU_DEP_3)
	v_and_b32_e32 v69, 0x80000000, v69
	v_cndmask_b32_e32 v146, v146, v149, vcc_lo
	s_delay_alu instid0(VALU_DEP_1) | instskip(NEXT) | instid1(VALU_DEP_1)
	v_lshlrev_b32_e32 v146, 20, v146
	v_or3_b32 v146, v69, v148, v146
.LBB4_2397:                             ;   in Loop: Header=BB4_2319 Depth=2
	s_or_b32 exec_lo, exec_lo, s27
	s_delay_alu instid0(VALU_DEP_1) | instskip(NEXT) | instid1(VALU_DEP_1)
	v_dual_max_f32 v69, v146, v146 :: v_dual_max_f32 v146, v147, v147
	v_min_f32_e32 v147, v146, v69
.LBB4_2398:                             ;   in Loop: Header=BB4_2319 Depth=2
	s_waitcnt vmcnt(13) lgkmcnt(13)
	s_delay_alu instid0(VALU_DEP_1) | instskip(NEXT) | instid1(VALU_DEP_1)
	v_and_b32_e32 v69, 0x7f800000, v147
	v_cmp_ne_u32_e32 vcc_lo, 0x7f800000, v69
	v_mov_b32_e32 v69, 0x80
	s_and_saveexec_b32 s27, vcc_lo
	s_cbranch_execz .LBB4_2406
; %bb.2399:                             ;   in Loop: Header=BB4_2319 Depth=2
	v_mov_b32_e32 v69, 0
	s_mov_b32 s28, exec_lo
	v_cmpx_ne_u32_e32 0, v147
	s_cbranch_execz .LBB4_2405
; %bb.2400:                             ;   in Loop: Header=BB4_2319 Depth=2
	v_bfe_u32 v69, v147, 23, 8
	v_and_b32_e32 v146, 0x7fffff, v147
	s_delay_alu instid0(VALU_DEP_2) | instskip(SKIP_1) | instid1(VALU_DEP_3)
	v_sub_nc_u32_e32 v148, 0x78, v69
	v_cmp_gt_u32_e32 vcc_lo, 0x79, v69
	v_or_b32_e32 v149, 0x800000, v146
	s_delay_alu instid0(VALU_DEP_3) | instskip(SKIP_2) | instid1(VALU_DEP_3)
	v_cndmask_b32_e32 v148, 0, v148, vcc_lo
	v_cmp_eq_u32_e32 vcc_lo, 0, v69
	v_add_nc_u32_e32 v69, 0xffffff89, v69
	v_cndmask_b32_e64 v148, v148, 0x77, vcc_lo
	v_cndmask_b32_e32 v146, v149, v146, vcc_lo
	s_delay_alu instid0(VALU_DEP_3) | instskip(NEXT) | instid1(VALU_DEP_3)
	v_cndmask_b32_e64 v69, v69, 0xffffff8a, vcc_lo
	v_lshl_add_u32 v149, 0x100000, v148, -1
	s_delay_alu instid0(VALU_DEP_3) | instskip(SKIP_1) | instid1(VALU_DEP_4)
	v_lshrrev_b32_e32 v150, v148, v146
	v_lshlrev_b32_e64 v160, v148, 0x80000
	v_add_nc_u32_e32 v148, v148, v69
	s_delay_alu instid0(VALU_DEP_4) | instskip(NEXT) | instid1(VALU_DEP_4)
	v_and_b32_e32 v146, v149, v146
	v_bfe_u32 v151, v150, 20, 1
	s_delay_alu instid0(VALU_DEP_2) | instskip(NEXT) | instid1(VALU_DEP_2)
	v_cmp_eq_u32_e64 s11, v146, v160
	v_add_nc_u32_e32 v149, -1, v151
	s_delay_alu instid0(VALU_DEP_1) | instskip(SKIP_2) | instid1(VALU_DEP_2)
	v_cndmask_b32_e64 v146, 0, v149, s11
	v_lshrrev_b32_e32 v149, 23, v150
	s_mov_b32 s11, exec_lo
	v_add_nc_u32_e32 v146, v146, v150
	s_delay_alu instid0(VALU_DEP_2) | instskip(NEXT) | instid1(VALU_DEP_2)
	v_xor_b32_e32 v149, 1, v149
	v_and_b32_e32 v69, 0xfffff, v146
	s_delay_alu instid0(VALU_DEP_1) | instskip(NEXT) | instid1(VALU_DEP_3)
	v_add_nc_u32_e32 v146, v69, v150
                                        ; implicit-def: $vgpr69
	v_cmpx_ne_u32_e64 v148, v149
	s_xor_b32 s11, exec_lo, s11
; %bb.2401:                             ;   in Loop: Header=BB4_2319 Depth=2
	s_delay_alu instid0(VALU_DEP_2) | instskip(SKIP_2) | instid1(VALU_DEP_2)
	v_cmp_lt_u32_e32 vcc_lo, 0xffffff, v146
	v_sub_nc_u32_e32 v69, v148, v149
	v_cndmask_b32_e64 v148, 0, 1, vcc_lo
	v_add_co_ci_u32_e32 v69, vcc_lo, 0, v69, vcc_lo
	s_delay_alu instid0(VALU_DEP_2)
	v_lshrrev_b32_e32 v146, v148, v146
; %bb.2402:                             ;   in Loop: Header=BB4_2319 Depth=2
	s_and_not1_saveexec_b32 s11, s11
; %bb.2403:                             ;   in Loop: Header=BB4_2319 Depth=2
	s_delay_alu instid0(VALU_DEP_1)
	v_bfe_u32 v69, v146, 23, 1
; %bb.2404:                             ;   in Loop: Header=BB4_2319 Depth=2
	s_or_b32 exec_lo, exec_lo, s11
	v_lshrrev_b32_e32 v146, 20, v146
	s_delay_alu instid0(VALU_DEP_2) | instskip(SKIP_2) | instid1(VALU_DEP_2)
	v_cmp_gt_i32_e32 vcc_lo, 16, v69
	v_lshrrev_b32_e32 v147, 24, v147
	v_min_i32_e32 v148, 15, v69
	v_dual_cndmask_b32 v146, 7, v146 :: v_dual_and_b32 v147, 0x80, v147
	s_delay_alu instid0(VALU_DEP_1) | instskip(SKIP_1) | instid1(VALU_DEP_2)
	v_or_b32_e32 v69, v69, v146
	v_and_b32_e32 v149, 7, v146
	v_cmp_ne_u32_e32 vcc_lo, 0, v69
	v_lshlrev_b32_e32 v148, 3, v148
	s_delay_alu instid0(VALU_DEP_1) | instskip(NEXT) | instid1(VALU_DEP_1)
	v_or3_b32 v146, v148, v147, v149
	v_cndmask_b32_e32 v69, 0, v146, vcc_lo
.LBB4_2405:                             ;   in Loop: Header=BB4_2319 Depth=2
	s_or_b32 exec_lo, exec_lo, s28
.LBB4_2406:                             ;   in Loop: Header=BB4_2319 Depth=2
	s_delay_alu instid0(SALU_CYCLE_1) | instskip(NEXT) | instid1(SALU_CYCLE_1)
	s_or_b32 exec_lo, exec_lo, s27
	s_and_not1_b32 vcc_lo, exec_lo, s25
	s_cbranch_vccnz .LBB4_2416
; %bb.2407:                             ;   in Loop: Header=BB4_2319 Depth=2
	v_and_b32_e32 v147, 0xff, v145
	s_mov_b32 s11, 0
	s_mov_b32 s28, exec_lo
                                        ; implicit-def: $sgpr27
	s_delay_alu instid0(VALU_DEP_1)
	v_cmpx_lt_i16_e64 0x7f, v147
	s_xor_b32 s28, exec_lo, s28
	s_cbranch_execnz .LBB4_2829
; %bb.2408:                             ;   in Loop: Header=BB4_2319 Depth=2
	s_or_saveexec_b32 s28, s28
	v_mov_b32_e32 v146, s27
	s_xor_b32 exec_lo, exec_lo, s28
	s_cbranch_execnz .LBB4_2832
.LBB4_2409:                             ;   in Loop: Header=BB4_2319 Depth=2
	s_or_b32 exec_lo, exec_lo, s28
	s_and_saveexec_b32 s27, s11
	s_cbranch_execz .LBB4_2411
.LBB4_2410:                             ;   in Loop: Header=BB4_2319 Depth=2
	v_lshrrev_b16 v149, 3, v145
	v_lshlrev_b32_e32 v150, 24, v145
	s_delay_alu instid0(VALU_DEP_2) | instskip(NEXT) | instid1(VALU_DEP_1)
	v_and_b32_e32 v149, 15, v149
	v_cmp_eq_u32_e32 vcc_lo, 0, v149
	v_and_b32_e32 v146, 7, v145
	s_delay_alu instid0(VALU_DEP_1) | instskip(NEXT) | instid1(VALU_DEP_1)
	v_clz_i32_u32_e32 v147, v146
	v_min_u32_e32 v147, 32, v147
	s_delay_alu instid0(VALU_DEP_1) | instskip(SKIP_1) | instid1(VALU_DEP_1)
	v_subrev_nc_u32_e32 v148, 28, v147
	v_sub_nc_u32_e32 v147, 29, v147
	v_dual_cndmask_b32 v147, v149, v147 :: v_dual_lshlrev_b32 v148, v148, v145
	s_delay_alu instid0(VALU_DEP_1) | instskip(NEXT) | instid1(VALU_DEP_2)
	v_and_b32_e32 v148, 7, v148
	v_lshl_add_u32 v147, v147, 23, 0x3b800000
	s_delay_alu instid0(VALU_DEP_2) | instskip(SKIP_1) | instid1(VALU_DEP_2)
	v_cndmask_b32_e32 v146, v146, v148, vcc_lo
	v_and_b32_e32 v148, 0x80000000, v150
	v_lshlrev_b32_e32 v146, 20, v146
	s_delay_alu instid0(VALU_DEP_1)
	v_or3_b32 v146, v148, v147, v146
.LBB4_2411:                             ;   in Loop: Header=BB4_2319 Depth=2
	s_or_b32 exec_lo, exec_lo, s27
	s_waitcnt vmcnt(12) lgkmcnt(12)
	v_and_b32_e32 v148, 0xff, v112
	s_mov_b32 s11, 0
	s_mov_b32 s28, exec_lo
                                        ; implicit-def: $sgpr27
	s_delay_alu instid0(VALU_DEP_1)
	v_cmpx_lt_i16_e64 0x7f, v148
	s_xor_b32 s28, exec_lo, s28
	s_cbranch_execnz .LBB4_2833
; %bb.2412:                             ;   in Loop: Header=BB4_2319 Depth=2
	s_or_saveexec_b32 s28, s28
	v_mov_b32_e32 v147, s27
	s_xor_b32 exec_lo, exec_lo, s28
	s_cbranch_execnz .LBB4_2836
.LBB4_2413:                             ;   in Loop: Header=BB4_2319 Depth=2
	s_or_b32 exec_lo, exec_lo, s28
	s_and_saveexec_b32 s27, s11
	s_cbranch_execz .LBB4_2415
.LBB4_2414:                             ;   in Loop: Header=BB4_2319 Depth=2
	v_and_b32_e32 v147, 7, v112
	v_lshrrev_b16 v150, 3, v112
	v_lshlrev_b32_e32 v151, 24, v112
	s_delay_alu instid0(VALU_DEP_3) | instskip(NEXT) | instid1(VALU_DEP_1)
	v_clz_i32_u32_e32 v148, v147
	v_min_u32_e32 v148, 32, v148
	s_delay_alu instid0(VALU_DEP_1) | instskip(SKIP_1) | instid1(VALU_DEP_2)
	v_subrev_nc_u32_e32 v149, 28, v148
	v_sub_nc_u32_e32 v148, 29, v148
	v_lshlrev_b32_e32 v149, v149, v112
	s_delay_alu instid0(VALU_DEP_1) | instskip(SKIP_1) | instid1(VALU_DEP_1)
	v_and_b32_e32 v149, 7, v149
	v_and_b32_e32 v150, 15, v150
	v_cmp_eq_u32_e32 vcc_lo, 0, v150
	s_delay_alu instid0(VALU_DEP_3) | instskip(SKIP_1) | instid1(VALU_DEP_2)
	v_dual_cndmask_b32 v147, v147, v149 :: v_dual_cndmask_b32 v148, v150, v148
	v_and_b32_e32 v149, 0x80000000, v151
	v_lshlrev_b32_e32 v147, 20, v147
	s_delay_alu instid0(VALU_DEP_3) | instskip(NEXT) | instid1(VALU_DEP_1)
	v_lshl_add_u32 v148, v148, 23, 0x3b800000
	v_or3_b32 v147, v149, v148, v147
.LBB4_2415:                             ;   in Loop: Header=BB4_2319 Depth=2
	s_or_b32 exec_lo, exec_lo, s27
	s_delay_alu instid0(VALU_DEP_1) | instskip(SKIP_1) | instid1(VALU_DEP_1)
	v_dual_max_f32 v147, v147, v147 :: v_dual_max_f32 v146, v146, v146
	s_mov_b32 s11, 0
	v_max_f32_e32 v146, v146, v147
	s_branch .LBB4_2417
.LBB4_2416:                             ;   in Loop: Header=BB4_2319 Depth=2
	s_mov_b32 s11, -1
                                        ; implicit-def: $vgpr146
.LBB4_2417:                             ;   in Loop: Header=BB4_2319 Depth=2
	s_delay_alu instid0(SALU_CYCLE_1)
	s_and_b32 vcc_lo, exec_lo, s11
	s_cbranch_vccz .LBB4_2427
; %bb.2418:                             ;   in Loop: Header=BB4_2319 Depth=2
	v_and_b32_e32 v147, 0xff, v145
	s_mov_b32 s11, 0
	s_mov_b32 s28, exec_lo
                                        ; implicit-def: $sgpr27
	s_delay_alu instid0(VALU_DEP_1)
	v_cmpx_lt_i16_e64 0x7f, v147
	s_xor_b32 s28, exec_lo, s28
	s_cbranch_execnz .LBB4_2837
; %bb.2419:                             ;   in Loop: Header=BB4_2319 Depth=2
	s_or_saveexec_b32 s28, s28
	v_mov_b32_e32 v146, s27
	s_xor_b32 exec_lo, exec_lo, s28
	s_cbranch_execnz .LBB4_2840
.LBB4_2420:                             ;   in Loop: Header=BB4_2319 Depth=2
	s_or_b32 exec_lo, exec_lo, s28
	s_and_saveexec_b32 s27, s11
	s_cbranch_execz .LBB4_2422
.LBB4_2421:                             ;   in Loop: Header=BB4_2319 Depth=2
	v_lshrrev_b16 v149, 3, v145
	s_delay_alu instid0(VALU_DEP_1) | instskip(NEXT) | instid1(VALU_DEP_1)
	v_and_b32_e32 v149, 15, v149
	v_cmp_eq_u32_e32 vcc_lo, 0, v149
	v_and_b32_e32 v146, 7, v145
	s_delay_alu instid0(VALU_DEP_1) | instskip(NEXT) | instid1(VALU_DEP_1)
	v_clz_i32_u32_e32 v147, v146
	v_min_u32_e32 v147, 32, v147
	s_delay_alu instid0(VALU_DEP_1) | instskip(SKIP_1) | instid1(VALU_DEP_1)
	v_subrev_nc_u32_e32 v148, 28, v147
	v_sub_nc_u32_e32 v147, 29, v147
	v_dual_cndmask_b32 v147, v149, v147 :: v_dual_lshlrev_b32 v148, v148, v145
	v_lshlrev_b32_e32 v145, 24, v145
	s_delay_alu instid0(VALU_DEP_2) | instskip(NEXT) | instid1(VALU_DEP_3)
	v_and_b32_e32 v148, 7, v148
	v_lshl_add_u32 v147, v147, 23, 0x3b800000
	s_delay_alu instid0(VALU_DEP_2) | instskip(NEXT) | instid1(VALU_DEP_1)
	v_dual_cndmask_b32 v146, v146, v148 :: v_dual_and_b32 v145, 0x80000000, v145
	v_lshlrev_b32_e32 v146, 20, v146
	s_delay_alu instid0(VALU_DEP_1)
	v_or3_b32 v146, v145, v147, v146
.LBB4_2422:                             ;   in Loop: Header=BB4_2319 Depth=2
	s_or_b32 exec_lo, exec_lo, s27
	s_waitcnt vmcnt(12) lgkmcnt(12)
	v_and_b32_e32 v147, 0xff, v112
	s_mov_b32 s11, 0
	s_mov_b32 s28, exec_lo
                                        ; implicit-def: $sgpr27
	s_delay_alu instid0(VALU_DEP_1)
	v_cmpx_lt_i16_e64 0x7f, v147
	s_xor_b32 s28, exec_lo, s28
	s_cbranch_execnz .LBB4_2841
; %bb.2423:                             ;   in Loop: Header=BB4_2319 Depth=2
	s_or_saveexec_b32 s28, s28
	v_mov_b32_e32 v145, s27
	s_xor_b32 exec_lo, exec_lo, s28
	s_cbranch_execnz .LBB4_2844
.LBB4_2424:                             ;   in Loop: Header=BB4_2319 Depth=2
	s_or_b32 exec_lo, exec_lo, s28
	s_and_saveexec_b32 s27, s11
	s_cbranch_execz .LBB4_2426
.LBB4_2425:                             ;   in Loop: Header=BB4_2319 Depth=2
	v_and_b32_e32 v145, 7, v112
	v_lshrrev_b16 v149, 3, v112
	s_delay_alu instid0(VALU_DEP_2) | instskip(NEXT) | instid1(VALU_DEP_2)
	v_clz_i32_u32_e32 v147, v145
	v_and_b32_e32 v149, 15, v149
	s_delay_alu instid0(VALU_DEP_2) | instskip(NEXT) | instid1(VALU_DEP_2)
	v_min_u32_e32 v147, 32, v147
	v_cmp_eq_u32_e32 vcc_lo, 0, v149
	s_delay_alu instid0(VALU_DEP_2) | instskip(SKIP_1) | instid1(VALU_DEP_1)
	v_subrev_nc_u32_e32 v148, 28, v147
	v_sub_nc_u32_e32 v147, 29, v147
	v_dual_cndmask_b32 v147, v149, v147 :: v_dual_lshlrev_b32 v148, v148, v112
	v_lshlrev_b32_e32 v112, 24, v112
	s_delay_alu instid0(VALU_DEP_2) | instskip(NEXT) | instid1(VALU_DEP_3)
	v_and_b32_e32 v148, 7, v148
	v_lshl_add_u32 v147, v147, 23, 0x3b800000
	s_delay_alu instid0(VALU_DEP_3) | instskip(NEXT) | instid1(VALU_DEP_3)
	v_and_b32_e32 v112, 0x80000000, v112
	v_cndmask_b32_e32 v145, v145, v148, vcc_lo
	s_delay_alu instid0(VALU_DEP_1) | instskip(NEXT) | instid1(VALU_DEP_1)
	v_lshlrev_b32_e32 v145, 20, v145
	v_or3_b32 v145, v112, v147, v145
.LBB4_2426:                             ;   in Loop: Header=BB4_2319 Depth=2
	s_or_b32 exec_lo, exec_lo, s27
	s_delay_alu instid0(VALU_DEP_1) | instskip(NEXT) | instid1(VALU_DEP_1)
	v_dual_max_f32 v112, v145, v145 :: v_dual_max_f32 v145, v146, v146
	v_min_f32_e32 v146, v145, v112
.LBB4_2427:                             ;   in Loop: Header=BB4_2319 Depth=2
	s_waitcnt vmcnt(12) lgkmcnt(12)
	s_delay_alu instid0(VALU_DEP_1) | instskip(NEXT) | instid1(VALU_DEP_1)
	v_and_b32_e32 v112, 0x7f800000, v146
	v_cmp_ne_u32_e32 vcc_lo, 0x7f800000, v112
	v_mov_b32_e32 v112, 0x80
	s_and_saveexec_b32 s27, vcc_lo
	s_cbranch_execz .LBB4_2435
; %bb.2428:                             ;   in Loop: Header=BB4_2319 Depth=2
	v_mov_b32_e32 v112, 0
	s_mov_b32 s28, exec_lo
	v_cmpx_ne_u32_e32 0, v146
	s_cbranch_execz .LBB4_2434
; %bb.2429:                             ;   in Loop: Header=BB4_2319 Depth=2
	v_bfe_u32 v112, v146, 23, 8
	v_and_b32_e32 v145, 0x7fffff, v146
	s_delay_alu instid0(VALU_DEP_2) | instskip(SKIP_1) | instid1(VALU_DEP_3)
	v_sub_nc_u32_e32 v147, 0x78, v112
	v_cmp_gt_u32_e32 vcc_lo, 0x79, v112
	v_or_b32_e32 v148, 0x800000, v145
	s_delay_alu instid0(VALU_DEP_3) | instskip(SKIP_2) | instid1(VALU_DEP_3)
	v_cndmask_b32_e32 v147, 0, v147, vcc_lo
	v_cmp_eq_u32_e32 vcc_lo, 0, v112
	v_add_nc_u32_e32 v112, 0xffffff89, v112
	v_cndmask_b32_e64 v147, v147, 0x77, vcc_lo
	v_cndmask_b32_e32 v145, v148, v145, vcc_lo
	s_delay_alu instid0(VALU_DEP_3) | instskip(NEXT) | instid1(VALU_DEP_3)
	v_cndmask_b32_e64 v112, v112, 0xffffff8a, vcc_lo
	v_lshl_add_u32 v148, 0x100000, v147, -1
	s_delay_alu instid0(VALU_DEP_3) | instskip(SKIP_1) | instid1(VALU_DEP_4)
	v_lshrrev_b32_e32 v149, v147, v145
	v_lshlrev_b32_e64 v151, v147, 0x80000
	v_add_nc_u32_e32 v147, v147, v112
	s_delay_alu instid0(VALU_DEP_4) | instskip(NEXT) | instid1(VALU_DEP_4)
	v_and_b32_e32 v145, v148, v145
	v_bfe_u32 v150, v149, 20, 1
	s_delay_alu instid0(VALU_DEP_2) | instskip(NEXT) | instid1(VALU_DEP_2)
	v_cmp_eq_u32_e64 s11, v145, v151
	v_add_nc_u32_e32 v148, -1, v150
	s_delay_alu instid0(VALU_DEP_1) | instskip(SKIP_2) | instid1(VALU_DEP_2)
	v_cndmask_b32_e64 v145, 0, v148, s11
	v_lshrrev_b32_e32 v148, 23, v149
	s_mov_b32 s11, exec_lo
	v_add_nc_u32_e32 v145, v145, v149
	s_delay_alu instid0(VALU_DEP_2) | instskip(NEXT) | instid1(VALU_DEP_2)
	v_xor_b32_e32 v148, 1, v148
	v_and_b32_e32 v112, 0xfffff, v145
	s_delay_alu instid0(VALU_DEP_1) | instskip(NEXT) | instid1(VALU_DEP_3)
	v_add_nc_u32_e32 v145, v112, v149
                                        ; implicit-def: $vgpr112
	v_cmpx_ne_u32_e64 v147, v148
	s_xor_b32 s11, exec_lo, s11
; %bb.2430:                             ;   in Loop: Header=BB4_2319 Depth=2
	s_delay_alu instid0(VALU_DEP_2) | instskip(SKIP_2) | instid1(VALU_DEP_2)
	v_cmp_lt_u32_e32 vcc_lo, 0xffffff, v145
	v_sub_nc_u32_e32 v112, v147, v148
	v_cndmask_b32_e64 v147, 0, 1, vcc_lo
	v_add_co_ci_u32_e32 v112, vcc_lo, 0, v112, vcc_lo
	s_delay_alu instid0(VALU_DEP_2)
	v_lshrrev_b32_e32 v145, v147, v145
; %bb.2431:                             ;   in Loop: Header=BB4_2319 Depth=2
	s_and_not1_saveexec_b32 s11, s11
; %bb.2432:                             ;   in Loop: Header=BB4_2319 Depth=2
	s_delay_alu instid0(VALU_DEP_1)
	v_bfe_u32 v112, v145, 23, 1
; %bb.2433:                             ;   in Loop: Header=BB4_2319 Depth=2
	s_or_b32 exec_lo, exec_lo, s11
	v_lshrrev_b32_e32 v145, 20, v145
	s_delay_alu instid0(VALU_DEP_2) | instskip(SKIP_2) | instid1(VALU_DEP_2)
	v_cmp_gt_i32_e32 vcc_lo, 16, v112
	v_lshrrev_b32_e32 v146, 24, v146
	v_min_i32_e32 v147, 15, v112
	v_dual_cndmask_b32 v145, 7, v145 :: v_dual_and_b32 v146, 0x80, v146
	s_delay_alu instid0(VALU_DEP_1) | instskip(SKIP_1) | instid1(VALU_DEP_2)
	v_or_b32_e32 v112, v112, v145
	v_and_b32_e32 v148, 7, v145
	v_cmp_ne_u32_e32 vcc_lo, 0, v112
	v_lshlrev_b32_e32 v147, 3, v147
	s_delay_alu instid0(VALU_DEP_1) | instskip(NEXT) | instid1(VALU_DEP_1)
	v_or3_b32 v145, v147, v146, v148
	v_cndmask_b32_e32 v112, 0, v145, vcc_lo
.LBB4_2434:                             ;   in Loop: Header=BB4_2319 Depth=2
	s_or_b32 exec_lo, exec_lo, s28
.LBB4_2435:                             ;   in Loop: Header=BB4_2319 Depth=2
	s_delay_alu instid0(SALU_CYCLE_1) | instskip(NEXT) | instid1(SALU_CYCLE_1)
	s_or_b32 exec_lo, exec_lo, s27
	s_and_not1_b32 vcc_lo, exec_lo, s25
	s_cbranch_vccnz .LBB4_2445
; %bb.2436:                             ;   in Loop: Header=BB4_2319 Depth=2
	v_and_b32_e32 v146, 0xff, v144
	s_mov_b32 s11, 0
	s_mov_b32 s28, exec_lo
                                        ; implicit-def: $sgpr27
	s_delay_alu instid0(VALU_DEP_1)
	v_cmpx_lt_i16_e64 0x7f, v146
	s_xor_b32 s28, exec_lo, s28
	s_cbranch_execnz .LBB4_2845
; %bb.2437:                             ;   in Loop: Header=BB4_2319 Depth=2
	s_or_saveexec_b32 s28, s28
	v_mov_b32_e32 v145, s27
	s_xor_b32 exec_lo, exec_lo, s28
	s_cbranch_execnz .LBB4_2848
.LBB4_2438:                             ;   in Loop: Header=BB4_2319 Depth=2
	s_or_b32 exec_lo, exec_lo, s28
	s_and_saveexec_b32 s27, s11
	s_cbranch_execz .LBB4_2440
.LBB4_2439:                             ;   in Loop: Header=BB4_2319 Depth=2
	v_lshrrev_b16 v148, 3, v144
	v_lshlrev_b32_e32 v149, 24, v144
	s_delay_alu instid0(VALU_DEP_2) | instskip(NEXT) | instid1(VALU_DEP_1)
	v_and_b32_e32 v148, 15, v148
	v_cmp_eq_u32_e32 vcc_lo, 0, v148
	v_and_b32_e32 v145, 7, v144
	s_delay_alu instid0(VALU_DEP_1) | instskip(NEXT) | instid1(VALU_DEP_1)
	v_clz_i32_u32_e32 v146, v145
	v_min_u32_e32 v146, 32, v146
	s_delay_alu instid0(VALU_DEP_1) | instskip(SKIP_1) | instid1(VALU_DEP_1)
	v_subrev_nc_u32_e32 v147, 28, v146
	v_sub_nc_u32_e32 v146, 29, v146
	v_dual_cndmask_b32 v146, v148, v146 :: v_dual_lshlrev_b32 v147, v147, v144
	s_delay_alu instid0(VALU_DEP_1) | instskip(NEXT) | instid1(VALU_DEP_2)
	v_and_b32_e32 v147, 7, v147
	v_lshl_add_u32 v146, v146, 23, 0x3b800000
	s_delay_alu instid0(VALU_DEP_2) | instskip(SKIP_1) | instid1(VALU_DEP_2)
	v_cndmask_b32_e32 v145, v145, v147, vcc_lo
	v_and_b32_e32 v147, 0x80000000, v149
	v_lshlrev_b32_e32 v145, 20, v145
	s_delay_alu instid0(VALU_DEP_1)
	v_or3_b32 v145, v147, v146, v145
.LBB4_2440:                             ;   in Loop: Header=BB4_2319 Depth=2
	s_or_b32 exec_lo, exec_lo, s27
	s_waitcnt vmcnt(11) lgkmcnt(11)
	v_and_b32_e32 v147, 0xff, v115
	s_mov_b32 s11, 0
	s_mov_b32 s28, exec_lo
                                        ; implicit-def: $sgpr27
	s_delay_alu instid0(VALU_DEP_1)
	v_cmpx_lt_i16_e64 0x7f, v147
	s_xor_b32 s28, exec_lo, s28
	s_cbranch_execnz .LBB4_2849
; %bb.2441:                             ;   in Loop: Header=BB4_2319 Depth=2
	s_or_saveexec_b32 s28, s28
	v_mov_b32_e32 v146, s27
	s_xor_b32 exec_lo, exec_lo, s28
	s_cbranch_execnz .LBB4_2852
.LBB4_2442:                             ;   in Loop: Header=BB4_2319 Depth=2
	s_or_b32 exec_lo, exec_lo, s28
	s_and_saveexec_b32 s27, s11
	s_cbranch_execz .LBB4_2444
.LBB4_2443:                             ;   in Loop: Header=BB4_2319 Depth=2
	v_and_b32_e32 v146, 7, v115
	v_lshrrev_b16 v149, 3, v115
	v_lshlrev_b32_e32 v150, 24, v115
	s_delay_alu instid0(VALU_DEP_3) | instskip(NEXT) | instid1(VALU_DEP_1)
	v_clz_i32_u32_e32 v147, v146
	v_min_u32_e32 v147, 32, v147
	s_delay_alu instid0(VALU_DEP_1) | instskip(SKIP_1) | instid1(VALU_DEP_2)
	v_subrev_nc_u32_e32 v148, 28, v147
	v_sub_nc_u32_e32 v147, 29, v147
	v_lshlrev_b32_e32 v148, v148, v115
	s_delay_alu instid0(VALU_DEP_1) | instskip(SKIP_1) | instid1(VALU_DEP_1)
	v_and_b32_e32 v148, 7, v148
	v_and_b32_e32 v149, 15, v149
	v_cmp_eq_u32_e32 vcc_lo, 0, v149
	s_delay_alu instid0(VALU_DEP_3) | instskip(SKIP_1) | instid1(VALU_DEP_2)
	v_dual_cndmask_b32 v146, v146, v148 :: v_dual_cndmask_b32 v147, v149, v147
	v_and_b32_e32 v148, 0x80000000, v150
	v_lshlrev_b32_e32 v146, 20, v146
	s_delay_alu instid0(VALU_DEP_3) | instskip(NEXT) | instid1(VALU_DEP_1)
	v_lshl_add_u32 v147, v147, 23, 0x3b800000
	v_or3_b32 v146, v148, v147, v146
.LBB4_2444:                             ;   in Loop: Header=BB4_2319 Depth=2
	s_or_b32 exec_lo, exec_lo, s27
	s_delay_alu instid0(VALU_DEP_1) | instskip(SKIP_1) | instid1(VALU_DEP_1)
	v_dual_max_f32 v146, v146, v146 :: v_dual_max_f32 v145, v145, v145
	s_mov_b32 s11, 0
	v_max_f32_e32 v145, v145, v146
	s_branch .LBB4_2446
.LBB4_2445:                             ;   in Loop: Header=BB4_2319 Depth=2
	s_mov_b32 s11, -1
                                        ; implicit-def: $vgpr145
.LBB4_2446:                             ;   in Loop: Header=BB4_2319 Depth=2
	s_delay_alu instid0(SALU_CYCLE_1)
	s_and_b32 vcc_lo, exec_lo, s11
	s_cbranch_vccz .LBB4_2456
; %bb.2447:                             ;   in Loop: Header=BB4_2319 Depth=2
	v_and_b32_e32 v146, 0xff, v144
	s_mov_b32 s11, 0
	s_mov_b32 s28, exec_lo
                                        ; implicit-def: $sgpr27
	s_delay_alu instid0(VALU_DEP_1)
	v_cmpx_lt_i16_e64 0x7f, v146
	s_xor_b32 s28, exec_lo, s28
	s_cbranch_execnz .LBB4_2853
; %bb.2448:                             ;   in Loop: Header=BB4_2319 Depth=2
	s_or_saveexec_b32 s28, s28
	v_mov_b32_e32 v145, s27
	s_xor_b32 exec_lo, exec_lo, s28
	s_cbranch_execnz .LBB4_2856
.LBB4_2449:                             ;   in Loop: Header=BB4_2319 Depth=2
	s_or_b32 exec_lo, exec_lo, s28
	s_and_saveexec_b32 s27, s11
	s_cbranch_execz .LBB4_2451
.LBB4_2450:                             ;   in Loop: Header=BB4_2319 Depth=2
	v_lshrrev_b16 v148, 3, v144
	s_delay_alu instid0(VALU_DEP_1) | instskip(NEXT) | instid1(VALU_DEP_1)
	v_and_b32_e32 v148, 15, v148
	v_cmp_eq_u32_e32 vcc_lo, 0, v148
	v_and_b32_e32 v145, 7, v144
	s_delay_alu instid0(VALU_DEP_1) | instskip(NEXT) | instid1(VALU_DEP_1)
	v_clz_i32_u32_e32 v146, v145
	v_min_u32_e32 v146, 32, v146
	s_delay_alu instid0(VALU_DEP_1) | instskip(SKIP_1) | instid1(VALU_DEP_1)
	v_subrev_nc_u32_e32 v147, 28, v146
	v_sub_nc_u32_e32 v146, 29, v146
	v_dual_cndmask_b32 v146, v148, v146 :: v_dual_lshlrev_b32 v147, v147, v144
	v_lshlrev_b32_e32 v144, 24, v144
	s_delay_alu instid0(VALU_DEP_2) | instskip(NEXT) | instid1(VALU_DEP_3)
	v_and_b32_e32 v147, 7, v147
	v_lshl_add_u32 v146, v146, 23, 0x3b800000
	s_delay_alu instid0(VALU_DEP_2) | instskip(NEXT) | instid1(VALU_DEP_1)
	v_dual_cndmask_b32 v145, v145, v147 :: v_dual_and_b32 v144, 0x80000000, v144
	v_lshlrev_b32_e32 v145, 20, v145
	s_delay_alu instid0(VALU_DEP_1)
	v_or3_b32 v145, v144, v146, v145
.LBB4_2451:                             ;   in Loop: Header=BB4_2319 Depth=2
	s_or_b32 exec_lo, exec_lo, s27
	s_waitcnt vmcnt(11) lgkmcnt(11)
	v_and_b32_e32 v146, 0xff, v115
	s_mov_b32 s11, 0
	s_mov_b32 s28, exec_lo
                                        ; implicit-def: $sgpr27
	s_delay_alu instid0(VALU_DEP_1)
	v_cmpx_lt_i16_e64 0x7f, v146
	s_xor_b32 s28, exec_lo, s28
	s_cbranch_execnz .LBB4_2857
; %bb.2452:                             ;   in Loop: Header=BB4_2319 Depth=2
	s_or_saveexec_b32 s28, s28
	v_mov_b32_e32 v144, s27
	s_xor_b32 exec_lo, exec_lo, s28
	s_cbranch_execnz .LBB4_2860
.LBB4_2453:                             ;   in Loop: Header=BB4_2319 Depth=2
	s_or_b32 exec_lo, exec_lo, s28
	s_and_saveexec_b32 s27, s11
	s_cbranch_execz .LBB4_2455
.LBB4_2454:                             ;   in Loop: Header=BB4_2319 Depth=2
	v_and_b32_e32 v144, 7, v115
	v_lshrrev_b16 v148, 3, v115
	s_delay_alu instid0(VALU_DEP_2) | instskip(NEXT) | instid1(VALU_DEP_2)
	v_clz_i32_u32_e32 v146, v144
	v_and_b32_e32 v148, 15, v148
	s_delay_alu instid0(VALU_DEP_2) | instskip(NEXT) | instid1(VALU_DEP_2)
	v_min_u32_e32 v146, 32, v146
	v_cmp_eq_u32_e32 vcc_lo, 0, v148
	s_delay_alu instid0(VALU_DEP_2) | instskip(SKIP_1) | instid1(VALU_DEP_1)
	v_subrev_nc_u32_e32 v147, 28, v146
	v_sub_nc_u32_e32 v146, 29, v146
	v_dual_cndmask_b32 v146, v148, v146 :: v_dual_lshlrev_b32 v147, v147, v115
	v_lshlrev_b32_e32 v115, 24, v115
	s_delay_alu instid0(VALU_DEP_2) | instskip(NEXT) | instid1(VALU_DEP_3)
	v_and_b32_e32 v147, 7, v147
	v_lshl_add_u32 v146, v146, 23, 0x3b800000
	s_delay_alu instid0(VALU_DEP_3) | instskip(NEXT) | instid1(VALU_DEP_3)
	v_and_b32_e32 v115, 0x80000000, v115
	v_cndmask_b32_e32 v144, v144, v147, vcc_lo
	s_delay_alu instid0(VALU_DEP_1) | instskip(NEXT) | instid1(VALU_DEP_1)
	v_lshlrev_b32_e32 v144, 20, v144
	v_or3_b32 v144, v115, v146, v144
.LBB4_2455:                             ;   in Loop: Header=BB4_2319 Depth=2
	s_or_b32 exec_lo, exec_lo, s27
	s_delay_alu instid0(VALU_DEP_1) | instskip(NEXT) | instid1(VALU_DEP_1)
	v_dual_max_f32 v115, v144, v144 :: v_dual_max_f32 v144, v145, v145
	v_min_f32_e32 v145, v144, v115
.LBB4_2456:                             ;   in Loop: Header=BB4_2319 Depth=2
	s_waitcnt vmcnt(11) lgkmcnt(11)
	s_delay_alu instid0(VALU_DEP_1) | instskip(NEXT) | instid1(VALU_DEP_1)
	v_and_b32_e32 v115, 0x7f800000, v145
	v_cmp_ne_u32_e32 vcc_lo, 0x7f800000, v115
	v_mov_b32_e32 v115, 0x80
	s_and_saveexec_b32 s27, vcc_lo
	s_cbranch_execz .LBB4_2464
; %bb.2457:                             ;   in Loop: Header=BB4_2319 Depth=2
	v_mov_b32_e32 v115, 0
	s_mov_b32 s28, exec_lo
	v_cmpx_ne_u32_e32 0, v145
	s_cbranch_execz .LBB4_2463
; %bb.2458:                             ;   in Loop: Header=BB4_2319 Depth=2
	v_bfe_u32 v115, v145, 23, 8
	v_and_b32_e32 v144, 0x7fffff, v145
	s_delay_alu instid0(VALU_DEP_2) | instskip(SKIP_1) | instid1(VALU_DEP_3)
	v_sub_nc_u32_e32 v146, 0x78, v115
	v_cmp_gt_u32_e32 vcc_lo, 0x79, v115
	v_or_b32_e32 v147, 0x800000, v144
	s_delay_alu instid0(VALU_DEP_3) | instskip(SKIP_2) | instid1(VALU_DEP_3)
	v_cndmask_b32_e32 v146, 0, v146, vcc_lo
	v_cmp_eq_u32_e32 vcc_lo, 0, v115
	v_add_nc_u32_e32 v115, 0xffffff89, v115
	v_cndmask_b32_e64 v146, v146, 0x77, vcc_lo
	v_cndmask_b32_e32 v144, v147, v144, vcc_lo
	s_delay_alu instid0(VALU_DEP_3) | instskip(NEXT) | instid1(VALU_DEP_3)
	v_cndmask_b32_e64 v115, v115, 0xffffff8a, vcc_lo
	v_lshl_add_u32 v147, 0x100000, v146, -1
	s_delay_alu instid0(VALU_DEP_3) | instskip(SKIP_1) | instid1(VALU_DEP_4)
	v_lshrrev_b32_e32 v148, v146, v144
	v_lshlrev_b32_e64 v150, v146, 0x80000
	v_add_nc_u32_e32 v146, v146, v115
	s_delay_alu instid0(VALU_DEP_4) | instskip(NEXT) | instid1(VALU_DEP_4)
	v_and_b32_e32 v144, v147, v144
	v_bfe_u32 v149, v148, 20, 1
	s_delay_alu instid0(VALU_DEP_2) | instskip(NEXT) | instid1(VALU_DEP_2)
	v_cmp_eq_u32_e64 s11, v144, v150
	v_add_nc_u32_e32 v147, -1, v149
	s_delay_alu instid0(VALU_DEP_1) | instskip(SKIP_2) | instid1(VALU_DEP_2)
	v_cndmask_b32_e64 v144, 0, v147, s11
	v_lshrrev_b32_e32 v147, 23, v148
	s_mov_b32 s11, exec_lo
	v_add_nc_u32_e32 v144, v144, v148
	s_delay_alu instid0(VALU_DEP_2) | instskip(NEXT) | instid1(VALU_DEP_2)
	v_xor_b32_e32 v147, 1, v147
	v_and_b32_e32 v115, 0xfffff, v144
	s_delay_alu instid0(VALU_DEP_1) | instskip(NEXT) | instid1(VALU_DEP_3)
	v_add_nc_u32_e32 v144, v115, v148
                                        ; implicit-def: $vgpr115
	v_cmpx_ne_u32_e64 v146, v147
	s_xor_b32 s11, exec_lo, s11
; %bb.2459:                             ;   in Loop: Header=BB4_2319 Depth=2
	s_delay_alu instid0(VALU_DEP_2) | instskip(SKIP_2) | instid1(VALU_DEP_2)
	v_cmp_lt_u32_e32 vcc_lo, 0xffffff, v144
	v_sub_nc_u32_e32 v115, v146, v147
	v_cndmask_b32_e64 v146, 0, 1, vcc_lo
	v_add_co_ci_u32_e32 v115, vcc_lo, 0, v115, vcc_lo
	s_delay_alu instid0(VALU_DEP_2)
	v_lshrrev_b32_e32 v144, v146, v144
; %bb.2460:                             ;   in Loop: Header=BB4_2319 Depth=2
	s_and_not1_saveexec_b32 s11, s11
; %bb.2461:                             ;   in Loop: Header=BB4_2319 Depth=2
	s_delay_alu instid0(VALU_DEP_1)
	v_bfe_u32 v115, v144, 23, 1
; %bb.2462:                             ;   in Loop: Header=BB4_2319 Depth=2
	s_or_b32 exec_lo, exec_lo, s11
	v_lshrrev_b32_e32 v144, 20, v144
	s_delay_alu instid0(VALU_DEP_2) | instskip(SKIP_2) | instid1(VALU_DEP_2)
	v_cmp_gt_i32_e32 vcc_lo, 16, v115
	v_lshrrev_b32_e32 v145, 24, v145
	v_min_i32_e32 v146, 15, v115
	v_dual_cndmask_b32 v144, 7, v144 :: v_dual_and_b32 v145, 0x80, v145
	s_delay_alu instid0(VALU_DEP_1) | instskip(SKIP_1) | instid1(VALU_DEP_2)
	v_or_b32_e32 v115, v115, v144
	v_and_b32_e32 v147, 7, v144
	v_cmp_ne_u32_e32 vcc_lo, 0, v115
	v_lshlrev_b32_e32 v146, 3, v146
	s_delay_alu instid0(VALU_DEP_1) | instskip(NEXT) | instid1(VALU_DEP_1)
	v_or3_b32 v144, v146, v145, v147
	v_cndmask_b32_e32 v115, 0, v144, vcc_lo
.LBB4_2463:                             ;   in Loop: Header=BB4_2319 Depth=2
	s_or_b32 exec_lo, exec_lo, s28
.LBB4_2464:                             ;   in Loop: Header=BB4_2319 Depth=2
	s_delay_alu instid0(SALU_CYCLE_1) | instskip(NEXT) | instid1(SALU_CYCLE_1)
	s_or_b32 exec_lo, exec_lo, s27
	s_and_not1_b32 vcc_lo, exec_lo, s25
	s_cbranch_vccnz .LBB4_2474
; %bb.2465:                             ;   in Loop: Header=BB4_2319 Depth=2
	v_and_b32_e32 v145, 0xff, v135
	s_mov_b32 s11, 0
	s_mov_b32 s28, exec_lo
                                        ; implicit-def: $sgpr27
	s_delay_alu instid0(VALU_DEP_1)
	v_cmpx_lt_i16_e64 0x7f, v145
	s_xor_b32 s28, exec_lo, s28
	s_cbranch_execnz .LBB4_2861
; %bb.2466:                             ;   in Loop: Header=BB4_2319 Depth=2
	s_or_saveexec_b32 s28, s28
	v_mov_b32_e32 v144, s27
	s_xor_b32 exec_lo, exec_lo, s28
	s_cbranch_execnz .LBB4_2864
.LBB4_2467:                             ;   in Loop: Header=BB4_2319 Depth=2
	s_or_b32 exec_lo, exec_lo, s28
	s_and_saveexec_b32 s27, s11
	s_cbranch_execz .LBB4_2469
.LBB4_2468:                             ;   in Loop: Header=BB4_2319 Depth=2
	v_lshrrev_b16 v147, 3, v135
	v_lshlrev_b32_e32 v148, 24, v135
	s_delay_alu instid0(VALU_DEP_2) | instskip(NEXT) | instid1(VALU_DEP_1)
	v_and_b32_e32 v147, 15, v147
	v_cmp_eq_u32_e32 vcc_lo, 0, v147
	v_and_b32_e32 v144, 7, v135
	s_delay_alu instid0(VALU_DEP_1) | instskip(NEXT) | instid1(VALU_DEP_1)
	v_clz_i32_u32_e32 v145, v144
	v_min_u32_e32 v145, 32, v145
	s_delay_alu instid0(VALU_DEP_1) | instskip(SKIP_1) | instid1(VALU_DEP_1)
	v_subrev_nc_u32_e32 v146, 28, v145
	v_sub_nc_u32_e32 v145, 29, v145
	v_dual_cndmask_b32 v145, v147, v145 :: v_dual_lshlrev_b32 v146, v146, v135
	s_delay_alu instid0(VALU_DEP_1) | instskip(NEXT) | instid1(VALU_DEP_2)
	v_and_b32_e32 v146, 7, v146
	v_lshl_add_u32 v145, v145, 23, 0x3b800000
	s_delay_alu instid0(VALU_DEP_2) | instskip(SKIP_1) | instid1(VALU_DEP_2)
	v_cndmask_b32_e32 v144, v144, v146, vcc_lo
	v_and_b32_e32 v146, 0x80000000, v148
	v_lshlrev_b32_e32 v144, 20, v144
	s_delay_alu instid0(VALU_DEP_1)
	v_or3_b32 v144, v146, v145, v144
.LBB4_2469:                             ;   in Loop: Header=BB4_2319 Depth=2
	s_or_b32 exec_lo, exec_lo, s27
	s_waitcnt vmcnt(10) lgkmcnt(10)
	v_and_b32_e32 v146, 0xff, v118
	s_mov_b32 s11, 0
	s_mov_b32 s28, exec_lo
                                        ; implicit-def: $sgpr27
	s_delay_alu instid0(VALU_DEP_1)
	v_cmpx_lt_i16_e64 0x7f, v146
	s_xor_b32 s28, exec_lo, s28
	s_cbranch_execnz .LBB4_2865
; %bb.2470:                             ;   in Loop: Header=BB4_2319 Depth=2
	s_or_saveexec_b32 s28, s28
	v_mov_b32_e32 v145, s27
	s_xor_b32 exec_lo, exec_lo, s28
	s_cbranch_execnz .LBB4_2868
.LBB4_2471:                             ;   in Loop: Header=BB4_2319 Depth=2
	s_or_b32 exec_lo, exec_lo, s28
	s_and_saveexec_b32 s27, s11
	s_cbranch_execz .LBB4_2473
.LBB4_2472:                             ;   in Loop: Header=BB4_2319 Depth=2
	v_and_b32_e32 v145, 7, v118
	v_lshrrev_b16 v148, 3, v118
	v_lshlrev_b32_e32 v149, 24, v118
	s_delay_alu instid0(VALU_DEP_3) | instskip(NEXT) | instid1(VALU_DEP_1)
	v_clz_i32_u32_e32 v146, v145
	v_min_u32_e32 v146, 32, v146
	s_delay_alu instid0(VALU_DEP_1) | instskip(SKIP_1) | instid1(VALU_DEP_2)
	v_subrev_nc_u32_e32 v147, 28, v146
	v_sub_nc_u32_e32 v146, 29, v146
	v_lshlrev_b32_e32 v147, v147, v118
	s_delay_alu instid0(VALU_DEP_1) | instskip(SKIP_1) | instid1(VALU_DEP_1)
	v_and_b32_e32 v147, 7, v147
	v_and_b32_e32 v148, 15, v148
	v_cmp_eq_u32_e32 vcc_lo, 0, v148
	s_delay_alu instid0(VALU_DEP_3) | instskip(SKIP_1) | instid1(VALU_DEP_2)
	v_dual_cndmask_b32 v145, v145, v147 :: v_dual_cndmask_b32 v146, v148, v146
	v_and_b32_e32 v147, 0x80000000, v149
	v_lshlrev_b32_e32 v145, 20, v145
	s_delay_alu instid0(VALU_DEP_3) | instskip(NEXT) | instid1(VALU_DEP_1)
	v_lshl_add_u32 v146, v146, 23, 0x3b800000
	v_or3_b32 v145, v147, v146, v145
.LBB4_2473:                             ;   in Loop: Header=BB4_2319 Depth=2
	s_or_b32 exec_lo, exec_lo, s27
	s_delay_alu instid0(VALU_DEP_1) | instskip(SKIP_1) | instid1(VALU_DEP_1)
	v_dual_max_f32 v145, v145, v145 :: v_dual_max_f32 v144, v144, v144
	s_mov_b32 s11, 0
	v_max_f32_e32 v144, v144, v145
	s_branch .LBB4_2475
.LBB4_2474:                             ;   in Loop: Header=BB4_2319 Depth=2
	s_mov_b32 s11, -1
                                        ; implicit-def: $vgpr144
.LBB4_2475:                             ;   in Loop: Header=BB4_2319 Depth=2
	s_delay_alu instid0(SALU_CYCLE_1)
	s_and_b32 vcc_lo, exec_lo, s11
	s_cbranch_vccz .LBB4_2485
; %bb.2476:                             ;   in Loop: Header=BB4_2319 Depth=2
	v_and_b32_e32 v145, 0xff, v135
	s_mov_b32 s11, 0
	s_mov_b32 s28, exec_lo
                                        ; implicit-def: $sgpr27
	s_delay_alu instid0(VALU_DEP_1)
	v_cmpx_lt_i16_e64 0x7f, v145
	s_xor_b32 s28, exec_lo, s28
	s_cbranch_execnz .LBB4_2869
; %bb.2477:                             ;   in Loop: Header=BB4_2319 Depth=2
	s_or_saveexec_b32 s28, s28
	v_mov_b32_e32 v144, s27
	s_xor_b32 exec_lo, exec_lo, s28
	s_cbranch_execnz .LBB4_2872
.LBB4_2478:                             ;   in Loop: Header=BB4_2319 Depth=2
	s_or_b32 exec_lo, exec_lo, s28
	s_and_saveexec_b32 s27, s11
	s_cbranch_execz .LBB4_2480
.LBB4_2479:                             ;   in Loop: Header=BB4_2319 Depth=2
	v_lshrrev_b16 v147, 3, v135
	s_delay_alu instid0(VALU_DEP_1) | instskip(NEXT) | instid1(VALU_DEP_1)
	v_and_b32_e32 v147, 15, v147
	v_cmp_eq_u32_e32 vcc_lo, 0, v147
	v_and_b32_e32 v144, 7, v135
	s_delay_alu instid0(VALU_DEP_1) | instskip(NEXT) | instid1(VALU_DEP_1)
	v_clz_i32_u32_e32 v145, v144
	v_min_u32_e32 v145, 32, v145
	s_delay_alu instid0(VALU_DEP_1) | instskip(SKIP_1) | instid1(VALU_DEP_1)
	v_subrev_nc_u32_e32 v146, 28, v145
	v_sub_nc_u32_e32 v145, 29, v145
	v_dual_cndmask_b32 v145, v147, v145 :: v_dual_lshlrev_b32 v146, v146, v135
	v_lshlrev_b32_e32 v135, 24, v135
	s_delay_alu instid0(VALU_DEP_2) | instskip(NEXT) | instid1(VALU_DEP_3)
	v_and_b32_e32 v146, 7, v146
	v_lshl_add_u32 v145, v145, 23, 0x3b800000
	s_delay_alu instid0(VALU_DEP_2) | instskip(NEXT) | instid1(VALU_DEP_1)
	v_dual_cndmask_b32 v144, v144, v146 :: v_dual_and_b32 v135, 0x80000000, v135
	v_lshlrev_b32_e32 v144, 20, v144
	s_delay_alu instid0(VALU_DEP_1)
	v_or3_b32 v144, v135, v145, v144
.LBB4_2480:                             ;   in Loop: Header=BB4_2319 Depth=2
	s_or_b32 exec_lo, exec_lo, s27
	s_waitcnt vmcnt(10) lgkmcnt(10)
	v_and_b32_e32 v145, 0xff, v118
	s_mov_b32 s11, 0
	s_mov_b32 s28, exec_lo
                                        ; implicit-def: $sgpr27
	s_delay_alu instid0(VALU_DEP_1)
	v_cmpx_lt_i16_e64 0x7f, v145
	s_xor_b32 s28, exec_lo, s28
	s_cbranch_execnz .LBB4_2873
; %bb.2481:                             ;   in Loop: Header=BB4_2319 Depth=2
	s_or_saveexec_b32 s28, s28
	v_mov_b32_e32 v135, s27
	s_xor_b32 exec_lo, exec_lo, s28
	s_cbranch_execnz .LBB4_2876
.LBB4_2482:                             ;   in Loop: Header=BB4_2319 Depth=2
	s_or_b32 exec_lo, exec_lo, s28
	s_and_saveexec_b32 s27, s11
	s_cbranch_execz .LBB4_2484
.LBB4_2483:                             ;   in Loop: Header=BB4_2319 Depth=2
	v_and_b32_e32 v135, 7, v118
	v_lshrrev_b16 v147, 3, v118
	s_delay_alu instid0(VALU_DEP_2) | instskip(NEXT) | instid1(VALU_DEP_2)
	v_clz_i32_u32_e32 v145, v135
	v_and_b32_e32 v147, 15, v147
	s_delay_alu instid0(VALU_DEP_2) | instskip(NEXT) | instid1(VALU_DEP_2)
	v_min_u32_e32 v145, 32, v145
	v_cmp_eq_u32_e32 vcc_lo, 0, v147
	s_delay_alu instid0(VALU_DEP_2) | instskip(SKIP_1) | instid1(VALU_DEP_1)
	v_subrev_nc_u32_e32 v146, 28, v145
	v_sub_nc_u32_e32 v145, 29, v145
	v_dual_cndmask_b32 v145, v147, v145 :: v_dual_lshlrev_b32 v146, v146, v118
	v_lshlrev_b32_e32 v118, 24, v118
	s_delay_alu instid0(VALU_DEP_2) | instskip(NEXT) | instid1(VALU_DEP_3)
	v_and_b32_e32 v146, 7, v146
	v_lshl_add_u32 v145, v145, 23, 0x3b800000
	s_delay_alu instid0(VALU_DEP_3) | instskip(NEXT) | instid1(VALU_DEP_3)
	v_and_b32_e32 v118, 0x80000000, v118
	v_cndmask_b32_e32 v135, v135, v146, vcc_lo
	s_delay_alu instid0(VALU_DEP_1) | instskip(NEXT) | instid1(VALU_DEP_1)
	v_lshlrev_b32_e32 v135, 20, v135
	v_or3_b32 v135, v118, v145, v135
.LBB4_2484:                             ;   in Loop: Header=BB4_2319 Depth=2
	s_or_b32 exec_lo, exec_lo, s27
	s_delay_alu instid0(VALU_DEP_1) | instskip(NEXT) | instid1(VALU_DEP_1)
	v_dual_max_f32 v118, v135, v135 :: v_dual_max_f32 v135, v144, v144
	v_min_f32_e32 v144, v135, v118
.LBB4_2485:                             ;   in Loop: Header=BB4_2319 Depth=2
	s_waitcnt vmcnt(10) lgkmcnt(10)
	s_delay_alu instid0(VALU_DEP_1) | instskip(NEXT) | instid1(VALU_DEP_1)
	v_and_b32_e32 v118, 0x7f800000, v144
	v_cmp_ne_u32_e32 vcc_lo, 0x7f800000, v118
	v_mov_b32_e32 v118, 0x80
	s_and_saveexec_b32 s27, vcc_lo
	s_cbranch_execz .LBB4_2493
; %bb.2486:                             ;   in Loop: Header=BB4_2319 Depth=2
	v_mov_b32_e32 v118, 0
	s_mov_b32 s28, exec_lo
	v_cmpx_ne_u32_e32 0, v144
	s_cbranch_execz .LBB4_2492
; %bb.2487:                             ;   in Loop: Header=BB4_2319 Depth=2
	v_bfe_u32 v118, v144, 23, 8
	v_and_b32_e32 v135, 0x7fffff, v144
	s_delay_alu instid0(VALU_DEP_2) | instskip(SKIP_1) | instid1(VALU_DEP_3)
	v_sub_nc_u32_e32 v145, 0x78, v118
	v_cmp_gt_u32_e32 vcc_lo, 0x79, v118
	v_or_b32_e32 v146, 0x800000, v135
	s_delay_alu instid0(VALU_DEP_3) | instskip(SKIP_2) | instid1(VALU_DEP_3)
	v_cndmask_b32_e32 v145, 0, v145, vcc_lo
	v_cmp_eq_u32_e32 vcc_lo, 0, v118
	v_add_nc_u32_e32 v118, 0xffffff89, v118
	v_cndmask_b32_e64 v145, v145, 0x77, vcc_lo
	v_cndmask_b32_e32 v135, v146, v135, vcc_lo
	s_delay_alu instid0(VALU_DEP_3) | instskip(NEXT) | instid1(VALU_DEP_3)
	v_cndmask_b32_e64 v118, v118, 0xffffff8a, vcc_lo
	v_lshl_add_u32 v146, 0x100000, v145, -1
	s_delay_alu instid0(VALU_DEP_3) | instskip(SKIP_1) | instid1(VALU_DEP_4)
	v_lshrrev_b32_e32 v147, v145, v135
	v_lshlrev_b32_e64 v149, v145, 0x80000
	v_add_nc_u32_e32 v145, v145, v118
	s_delay_alu instid0(VALU_DEP_4) | instskip(NEXT) | instid1(VALU_DEP_4)
	v_and_b32_e32 v135, v146, v135
	v_bfe_u32 v148, v147, 20, 1
	s_delay_alu instid0(VALU_DEP_2) | instskip(NEXT) | instid1(VALU_DEP_2)
	v_cmp_eq_u32_e64 s11, v135, v149
	v_add_nc_u32_e32 v146, -1, v148
	s_delay_alu instid0(VALU_DEP_1) | instskip(SKIP_2) | instid1(VALU_DEP_2)
	v_cndmask_b32_e64 v135, 0, v146, s11
	v_lshrrev_b32_e32 v146, 23, v147
	s_mov_b32 s11, exec_lo
	v_add_nc_u32_e32 v135, v135, v147
	s_delay_alu instid0(VALU_DEP_2) | instskip(NEXT) | instid1(VALU_DEP_2)
	v_xor_b32_e32 v146, 1, v146
	v_and_b32_e32 v118, 0xfffff, v135
	s_delay_alu instid0(VALU_DEP_1) | instskip(NEXT) | instid1(VALU_DEP_3)
	v_add_nc_u32_e32 v135, v118, v147
                                        ; implicit-def: $vgpr118
	v_cmpx_ne_u32_e64 v145, v146
	s_xor_b32 s11, exec_lo, s11
; %bb.2488:                             ;   in Loop: Header=BB4_2319 Depth=2
	s_delay_alu instid0(VALU_DEP_2) | instskip(SKIP_2) | instid1(VALU_DEP_2)
	v_cmp_lt_u32_e32 vcc_lo, 0xffffff, v135
	v_sub_nc_u32_e32 v118, v145, v146
	v_cndmask_b32_e64 v145, 0, 1, vcc_lo
	v_add_co_ci_u32_e32 v118, vcc_lo, 0, v118, vcc_lo
	s_delay_alu instid0(VALU_DEP_2)
	v_lshrrev_b32_e32 v135, v145, v135
; %bb.2489:                             ;   in Loop: Header=BB4_2319 Depth=2
	s_and_not1_saveexec_b32 s11, s11
; %bb.2490:                             ;   in Loop: Header=BB4_2319 Depth=2
	s_delay_alu instid0(VALU_DEP_1)
	v_bfe_u32 v118, v135, 23, 1
; %bb.2491:                             ;   in Loop: Header=BB4_2319 Depth=2
	s_or_b32 exec_lo, exec_lo, s11
	v_lshrrev_b32_e32 v135, 20, v135
	s_delay_alu instid0(VALU_DEP_2) | instskip(SKIP_2) | instid1(VALU_DEP_2)
	v_cmp_gt_i32_e32 vcc_lo, 16, v118
	v_lshrrev_b32_e32 v144, 24, v144
	v_min_i32_e32 v145, 15, v118
	v_dual_cndmask_b32 v135, 7, v135 :: v_dual_and_b32 v144, 0x80, v144
	s_delay_alu instid0(VALU_DEP_1) | instskip(SKIP_1) | instid1(VALU_DEP_2)
	v_or_b32_e32 v118, v118, v135
	v_and_b32_e32 v146, 7, v135
	v_cmp_ne_u32_e32 vcc_lo, 0, v118
	v_lshlrev_b32_e32 v145, 3, v145
	s_delay_alu instid0(VALU_DEP_1) | instskip(NEXT) | instid1(VALU_DEP_1)
	v_or3_b32 v135, v145, v144, v146
	v_cndmask_b32_e32 v118, 0, v135, vcc_lo
.LBB4_2492:                             ;   in Loop: Header=BB4_2319 Depth=2
	s_or_b32 exec_lo, exec_lo, s28
.LBB4_2493:                             ;   in Loop: Header=BB4_2319 Depth=2
	s_delay_alu instid0(SALU_CYCLE_1) | instskip(NEXT) | instid1(SALU_CYCLE_1)
	s_or_b32 exec_lo, exec_lo, s27
	s_and_not1_b32 vcc_lo, exec_lo, s25
	s_cbranch_vccnz .LBB4_2503
; %bb.2494:                             ;   in Loop: Header=BB4_2319 Depth=2
	v_and_b32_e32 v144, 0xff, v134
	s_mov_b32 s11, 0
	s_mov_b32 s28, exec_lo
                                        ; implicit-def: $sgpr27
	s_delay_alu instid0(VALU_DEP_1)
	v_cmpx_lt_i16_e64 0x7f, v144
	s_xor_b32 s28, exec_lo, s28
	s_cbranch_execnz .LBB4_2877
; %bb.2495:                             ;   in Loop: Header=BB4_2319 Depth=2
	s_or_saveexec_b32 s28, s28
	v_mov_b32_e32 v135, s27
	s_xor_b32 exec_lo, exec_lo, s28
	s_cbranch_execnz .LBB4_2880
.LBB4_2496:                             ;   in Loop: Header=BB4_2319 Depth=2
	s_or_b32 exec_lo, exec_lo, s28
	s_and_saveexec_b32 s27, s11
	s_cbranch_execz .LBB4_2498
.LBB4_2497:                             ;   in Loop: Header=BB4_2319 Depth=2
	v_lshrrev_b16 v146, 3, v134
	v_lshlrev_b32_e32 v147, 24, v134
	s_delay_alu instid0(VALU_DEP_2) | instskip(NEXT) | instid1(VALU_DEP_1)
	v_and_b32_e32 v146, 15, v146
	v_cmp_eq_u32_e32 vcc_lo, 0, v146
	v_and_b32_e32 v135, 7, v134
	s_delay_alu instid0(VALU_DEP_1) | instskip(NEXT) | instid1(VALU_DEP_1)
	v_clz_i32_u32_e32 v144, v135
	v_min_u32_e32 v144, 32, v144
	s_delay_alu instid0(VALU_DEP_1) | instskip(SKIP_1) | instid1(VALU_DEP_1)
	v_subrev_nc_u32_e32 v145, 28, v144
	v_sub_nc_u32_e32 v144, 29, v144
	v_dual_cndmask_b32 v144, v146, v144 :: v_dual_lshlrev_b32 v145, v145, v134
	s_delay_alu instid0(VALU_DEP_1) | instskip(NEXT) | instid1(VALU_DEP_2)
	v_and_b32_e32 v145, 7, v145
	v_lshl_add_u32 v144, v144, 23, 0x3b800000
	s_delay_alu instid0(VALU_DEP_2) | instskip(SKIP_1) | instid1(VALU_DEP_2)
	v_cndmask_b32_e32 v135, v135, v145, vcc_lo
	v_and_b32_e32 v145, 0x80000000, v147
	v_lshlrev_b32_e32 v135, 20, v135
	s_delay_alu instid0(VALU_DEP_1)
	v_or3_b32 v135, v145, v144, v135
.LBB4_2498:                             ;   in Loop: Header=BB4_2319 Depth=2
	s_or_b32 exec_lo, exec_lo, s27
	s_waitcnt vmcnt(9) lgkmcnt(9)
	v_and_b32_e32 v145, 0xff, v129
	s_mov_b32 s11, 0
	s_mov_b32 s28, exec_lo
                                        ; implicit-def: $sgpr27
	s_delay_alu instid0(VALU_DEP_1)
	v_cmpx_lt_i16_e64 0x7f, v145
	s_xor_b32 s28, exec_lo, s28
	s_cbranch_execnz .LBB4_2881
; %bb.2499:                             ;   in Loop: Header=BB4_2319 Depth=2
	s_or_saveexec_b32 s28, s28
	v_mov_b32_e32 v144, s27
	s_xor_b32 exec_lo, exec_lo, s28
	s_cbranch_execnz .LBB4_2884
.LBB4_2500:                             ;   in Loop: Header=BB4_2319 Depth=2
	s_or_b32 exec_lo, exec_lo, s28
	s_and_saveexec_b32 s27, s11
	s_cbranch_execz .LBB4_2502
.LBB4_2501:                             ;   in Loop: Header=BB4_2319 Depth=2
	v_and_b32_e32 v144, 7, v129
	v_lshrrev_b16 v147, 3, v129
	v_lshlrev_b32_e32 v148, 24, v129
	s_delay_alu instid0(VALU_DEP_3) | instskip(NEXT) | instid1(VALU_DEP_1)
	v_clz_i32_u32_e32 v145, v144
	v_min_u32_e32 v145, 32, v145
	s_delay_alu instid0(VALU_DEP_1) | instskip(SKIP_1) | instid1(VALU_DEP_2)
	v_subrev_nc_u32_e32 v146, 28, v145
	v_sub_nc_u32_e32 v145, 29, v145
	v_lshlrev_b32_e32 v146, v146, v129
	s_delay_alu instid0(VALU_DEP_1) | instskip(SKIP_1) | instid1(VALU_DEP_1)
	v_and_b32_e32 v146, 7, v146
	v_and_b32_e32 v147, 15, v147
	v_cmp_eq_u32_e32 vcc_lo, 0, v147
	s_delay_alu instid0(VALU_DEP_3) | instskip(SKIP_1) | instid1(VALU_DEP_2)
	v_dual_cndmask_b32 v144, v144, v146 :: v_dual_cndmask_b32 v145, v147, v145
	v_and_b32_e32 v146, 0x80000000, v148
	v_lshlrev_b32_e32 v144, 20, v144
	s_delay_alu instid0(VALU_DEP_3) | instskip(NEXT) | instid1(VALU_DEP_1)
	v_lshl_add_u32 v145, v145, 23, 0x3b800000
	v_or3_b32 v144, v146, v145, v144
.LBB4_2502:                             ;   in Loop: Header=BB4_2319 Depth=2
	s_or_b32 exec_lo, exec_lo, s27
	s_delay_alu instid0(VALU_DEP_1) | instskip(SKIP_1) | instid1(VALU_DEP_1)
	v_dual_max_f32 v144, v144, v144 :: v_dual_max_f32 v135, v135, v135
	s_mov_b32 s11, 0
	v_max_f32_e32 v135, v135, v144
	s_branch .LBB4_2504
.LBB4_2503:                             ;   in Loop: Header=BB4_2319 Depth=2
	s_mov_b32 s11, -1
                                        ; implicit-def: $vgpr135
.LBB4_2504:                             ;   in Loop: Header=BB4_2319 Depth=2
	s_delay_alu instid0(SALU_CYCLE_1)
	s_and_b32 vcc_lo, exec_lo, s11
	s_cbranch_vccz .LBB4_2514
; %bb.2505:                             ;   in Loop: Header=BB4_2319 Depth=2
	v_and_b32_e32 v144, 0xff, v134
	s_mov_b32 s11, 0
	s_mov_b32 s28, exec_lo
                                        ; implicit-def: $sgpr27
	s_delay_alu instid0(VALU_DEP_1)
	v_cmpx_lt_i16_e64 0x7f, v144
	s_xor_b32 s28, exec_lo, s28
	s_cbranch_execnz .LBB4_2885
; %bb.2506:                             ;   in Loop: Header=BB4_2319 Depth=2
	s_or_saveexec_b32 s28, s28
	v_mov_b32_e32 v135, s27
	s_xor_b32 exec_lo, exec_lo, s28
	s_cbranch_execnz .LBB4_2888
.LBB4_2507:                             ;   in Loop: Header=BB4_2319 Depth=2
	s_or_b32 exec_lo, exec_lo, s28
	s_and_saveexec_b32 s27, s11
	s_cbranch_execz .LBB4_2509
.LBB4_2508:                             ;   in Loop: Header=BB4_2319 Depth=2
	v_lshrrev_b16 v146, 3, v134
	s_delay_alu instid0(VALU_DEP_1) | instskip(NEXT) | instid1(VALU_DEP_1)
	v_and_b32_e32 v146, 15, v146
	v_cmp_eq_u32_e32 vcc_lo, 0, v146
	v_and_b32_e32 v135, 7, v134
	s_delay_alu instid0(VALU_DEP_1) | instskip(NEXT) | instid1(VALU_DEP_1)
	v_clz_i32_u32_e32 v144, v135
	v_min_u32_e32 v144, 32, v144
	s_delay_alu instid0(VALU_DEP_1) | instskip(SKIP_1) | instid1(VALU_DEP_1)
	v_subrev_nc_u32_e32 v145, 28, v144
	v_sub_nc_u32_e32 v144, 29, v144
	v_dual_cndmask_b32 v144, v146, v144 :: v_dual_lshlrev_b32 v145, v145, v134
	v_lshlrev_b32_e32 v134, 24, v134
	s_delay_alu instid0(VALU_DEP_2) | instskip(NEXT) | instid1(VALU_DEP_3)
	v_and_b32_e32 v145, 7, v145
	v_lshl_add_u32 v144, v144, 23, 0x3b800000
	s_delay_alu instid0(VALU_DEP_2) | instskip(NEXT) | instid1(VALU_DEP_1)
	v_dual_cndmask_b32 v135, v135, v145 :: v_dual_and_b32 v134, 0x80000000, v134
	v_lshlrev_b32_e32 v135, 20, v135
	s_delay_alu instid0(VALU_DEP_1)
	v_or3_b32 v135, v134, v144, v135
.LBB4_2509:                             ;   in Loop: Header=BB4_2319 Depth=2
	s_or_b32 exec_lo, exec_lo, s27
	s_waitcnt vmcnt(9) lgkmcnt(9)
	v_and_b32_e32 v144, 0xff, v129
	s_mov_b32 s11, 0
	s_mov_b32 s28, exec_lo
                                        ; implicit-def: $sgpr27
	s_delay_alu instid0(VALU_DEP_1)
	v_cmpx_lt_i16_e64 0x7f, v144
	s_xor_b32 s28, exec_lo, s28
	s_cbranch_execnz .LBB4_2889
; %bb.2510:                             ;   in Loop: Header=BB4_2319 Depth=2
	s_or_saveexec_b32 s28, s28
	v_mov_b32_e32 v134, s27
	s_xor_b32 exec_lo, exec_lo, s28
	s_cbranch_execnz .LBB4_2892
.LBB4_2511:                             ;   in Loop: Header=BB4_2319 Depth=2
	s_or_b32 exec_lo, exec_lo, s28
	s_and_saveexec_b32 s27, s11
	s_cbranch_execz .LBB4_2513
.LBB4_2512:                             ;   in Loop: Header=BB4_2319 Depth=2
	v_and_b32_e32 v134, 7, v129
	v_lshrrev_b16 v146, 3, v129
	s_delay_alu instid0(VALU_DEP_2) | instskip(NEXT) | instid1(VALU_DEP_2)
	v_clz_i32_u32_e32 v144, v134
	v_and_b32_e32 v146, 15, v146
	s_delay_alu instid0(VALU_DEP_2) | instskip(NEXT) | instid1(VALU_DEP_2)
	v_min_u32_e32 v144, 32, v144
	v_cmp_eq_u32_e32 vcc_lo, 0, v146
	s_delay_alu instid0(VALU_DEP_2) | instskip(SKIP_1) | instid1(VALU_DEP_1)
	v_subrev_nc_u32_e32 v145, 28, v144
	v_sub_nc_u32_e32 v144, 29, v144
	v_dual_cndmask_b32 v144, v146, v144 :: v_dual_lshlrev_b32 v145, v145, v129
	v_lshlrev_b32_e32 v129, 24, v129
	s_delay_alu instid0(VALU_DEP_2) | instskip(NEXT) | instid1(VALU_DEP_3)
	v_and_b32_e32 v145, 7, v145
	v_lshl_add_u32 v144, v144, 23, 0x3b800000
	s_delay_alu instid0(VALU_DEP_3) | instskip(NEXT) | instid1(VALU_DEP_3)
	v_and_b32_e32 v129, 0x80000000, v129
	v_cndmask_b32_e32 v134, v134, v145, vcc_lo
	s_delay_alu instid0(VALU_DEP_1) | instskip(NEXT) | instid1(VALU_DEP_1)
	v_lshlrev_b32_e32 v134, 20, v134
	v_or3_b32 v134, v129, v144, v134
.LBB4_2513:                             ;   in Loop: Header=BB4_2319 Depth=2
	s_or_b32 exec_lo, exec_lo, s27
	s_delay_alu instid0(VALU_DEP_1) | instskip(NEXT) | instid1(VALU_DEP_1)
	v_dual_max_f32 v129, v134, v134 :: v_dual_max_f32 v134, v135, v135
	v_min_f32_e32 v135, v134, v129
.LBB4_2514:                             ;   in Loop: Header=BB4_2319 Depth=2
	s_waitcnt vmcnt(9) lgkmcnt(9)
	s_delay_alu instid0(VALU_DEP_1) | instskip(NEXT) | instid1(VALU_DEP_1)
	v_and_b32_e32 v129, 0x7f800000, v135
	v_cmp_ne_u32_e32 vcc_lo, 0x7f800000, v129
	v_mov_b32_e32 v129, 0x80
	s_and_saveexec_b32 s27, vcc_lo
	s_cbranch_execz .LBB4_2522
; %bb.2515:                             ;   in Loop: Header=BB4_2319 Depth=2
	v_mov_b32_e32 v129, 0
	s_mov_b32 s28, exec_lo
	v_cmpx_ne_u32_e32 0, v135
	s_cbranch_execz .LBB4_2521
; %bb.2516:                             ;   in Loop: Header=BB4_2319 Depth=2
	v_bfe_u32 v129, v135, 23, 8
	v_and_b32_e32 v134, 0x7fffff, v135
	s_delay_alu instid0(VALU_DEP_2) | instskip(SKIP_1) | instid1(VALU_DEP_3)
	v_sub_nc_u32_e32 v144, 0x78, v129
	v_cmp_gt_u32_e32 vcc_lo, 0x79, v129
	v_or_b32_e32 v145, 0x800000, v134
	s_delay_alu instid0(VALU_DEP_3) | instskip(SKIP_2) | instid1(VALU_DEP_3)
	v_cndmask_b32_e32 v144, 0, v144, vcc_lo
	v_cmp_eq_u32_e32 vcc_lo, 0, v129
	v_add_nc_u32_e32 v129, 0xffffff89, v129
	v_cndmask_b32_e64 v144, v144, 0x77, vcc_lo
	v_cndmask_b32_e32 v134, v145, v134, vcc_lo
	s_delay_alu instid0(VALU_DEP_3) | instskip(NEXT) | instid1(VALU_DEP_3)
	v_cndmask_b32_e64 v129, v129, 0xffffff8a, vcc_lo
	v_lshl_add_u32 v145, 0x100000, v144, -1
	s_delay_alu instid0(VALU_DEP_3) | instskip(SKIP_1) | instid1(VALU_DEP_4)
	v_lshrrev_b32_e32 v146, v144, v134
	v_lshlrev_b32_e64 v148, v144, 0x80000
	v_add_nc_u32_e32 v144, v144, v129
	s_delay_alu instid0(VALU_DEP_4) | instskip(NEXT) | instid1(VALU_DEP_4)
	v_and_b32_e32 v134, v145, v134
	v_bfe_u32 v147, v146, 20, 1
	s_delay_alu instid0(VALU_DEP_2) | instskip(NEXT) | instid1(VALU_DEP_2)
	v_cmp_eq_u32_e64 s11, v134, v148
	v_add_nc_u32_e32 v145, -1, v147
	s_delay_alu instid0(VALU_DEP_1) | instskip(SKIP_2) | instid1(VALU_DEP_2)
	v_cndmask_b32_e64 v134, 0, v145, s11
	v_lshrrev_b32_e32 v145, 23, v146
	s_mov_b32 s11, exec_lo
	v_add_nc_u32_e32 v134, v134, v146
	s_delay_alu instid0(VALU_DEP_2) | instskip(NEXT) | instid1(VALU_DEP_2)
	v_xor_b32_e32 v145, 1, v145
	v_and_b32_e32 v129, 0xfffff, v134
	s_delay_alu instid0(VALU_DEP_1) | instskip(NEXT) | instid1(VALU_DEP_3)
	v_add_nc_u32_e32 v134, v129, v146
                                        ; implicit-def: $vgpr129
	v_cmpx_ne_u32_e64 v144, v145
	s_xor_b32 s11, exec_lo, s11
; %bb.2517:                             ;   in Loop: Header=BB4_2319 Depth=2
	s_delay_alu instid0(VALU_DEP_2) | instskip(SKIP_2) | instid1(VALU_DEP_2)
	v_cmp_lt_u32_e32 vcc_lo, 0xffffff, v134
	v_sub_nc_u32_e32 v129, v144, v145
	v_cndmask_b32_e64 v144, 0, 1, vcc_lo
	v_add_co_ci_u32_e32 v129, vcc_lo, 0, v129, vcc_lo
	s_delay_alu instid0(VALU_DEP_2)
	v_lshrrev_b32_e32 v134, v144, v134
; %bb.2518:                             ;   in Loop: Header=BB4_2319 Depth=2
	s_and_not1_saveexec_b32 s11, s11
; %bb.2519:                             ;   in Loop: Header=BB4_2319 Depth=2
	s_delay_alu instid0(VALU_DEP_1)
	v_bfe_u32 v129, v134, 23, 1
; %bb.2520:                             ;   in Loop: Header=BB4_2319 Depth=2
	s_or_b32 exec_lo, exec_lo, s11
	v_lshrrev_b32_e32 v134, 20, v134
	s_delay_alu instid0(VALU_DEP_2) | instskip(SKIP_2) | instid1(VALU_DEP_2)
	v_cmp_gt_i32_e32 vcc_lo, 16, v129
	v_lshrrev_b32_e32 v135, 24, v135
	v_min_i32_e32 v144, 15, v129
	v_dual_cndmask_b32 v134, 7, v134 :: v_dual_and_b32 v135, 0x80, v135
	s_delay_alu instid0(VALU_DEP_1) | instskip(SKIP_1) | instid1(VALU_DEP_2)
	v_or_b32_e32 v129, v129, v134
	v_and_b32_e32 v145, 7, v134
	v_cmp_ne_u32_e32 vcc_lo, 0, v129
	v_lshlrev_b32_e32 v144, 3, v144
	s_delay_alu instid0(VALU_DEP_1) | instskip(NEXT) | instid1(VALU_DEP_1)
	v_or3_b32 v134, v144, v135, v145
	v_cndmask_b32_e32 v129, 0, v134, vcc_lo
.LBB4_2521:                             ;   in Loop: Header=BB4_2319 Depth=2
	s_or_b32 exec_lo, exec_lo, s28
.LBB4_2522:                             ;   in Loop: Header=BB4_2319 Depth=2
	s_delay_alu instid0(SALU_CYCLE_1) | instskip(NEXT) | instid1(SALU_CYCLE_1)
	s_or_b32 exec_lo, exec_lo, s27
	s_and_not1_b32 vcc_lo, exec_lo, s25
	s_cbranch_vccnz .LBB4_2532
; %bb.2523:                             ;   in Loop: Header=BB4_2319 Depth=2
	v_and_b32_e32 v135, 0xff, v133
	s_mov_b32 s11, 0
	s_mov_b32 s28, exec_lo
                                        ; implicit-def: $sgpr27
	s_delay_alu instid0(VALU_DEP_1)
	v_cmpx_lt_i16_e64 0x7f, v135
	s_xor_b32 s28, exec_lo, s28
	s_cbranch_execnz .LBB4_2893
; %bb.2524:                             ;   in Loop: Header=BB4_2319 Depth=2
	s_or_saveexec_b32 s28, s28
	v_mov_b32_e32 v134, s27
	s_xor_b32 exec_lo, exec_lo, s28
	s_cbranch_execnz .LBB4_2896
.LBB4_2525:                             ;   in Loop: Header=BB4_2319 Depth=2
	s_or_b32 exec_lo, exec_lo, s28
	s_and_saveexec_b32 s27, s11
	s_cbranch_execz .LBB4_2527
.LBB4_2526:                             ;   in Loop: Header=BB4_2319 Depth=2
	v_lshrrev_b16 v145, 3, v133
	v_lshlrev_b32_e32 v146, 24, v133
	s_delay_alu instid0(VALU_DEP_2) | instskip(NEXT) | instid1(VALU_DEP_1)
	v_and_b32_e32 v145, 15, v145
	v_cmp_eq_u32_e32 vcc_lo, 0, v145
	v_and_b32_e32 v134, 7, v133
	s_delay_alu instid0(VALU_DEP_1) | instskip(NEXT) | instid1(VALU_DEP_1)
	v_clz_i32_u32_e32 v135, v134
	v_min_u32_e32 v135, 32, v135
	s_delay_alu instid0(VALU_DEP_1) | instskip(SKIP_1) | instid1(VALU_DEP_1)
	v_subrev_nc_u32_e32 v144, 28, v135
	v_sub_nc_u32_e32 v135, 29, v135
	v_dual_cndmask_b32 v135, v145, v135 :: v_dual_lshlrev_b32 v144, v144, v133
	s_delay_alu instid0(VALU_DEP_1) | instskip(NEXT) | instid1(VALU_DEP_2)
	v_and_b32_e32 v144, 7, v144
	v_lshl_add_u32 v135, v135, 23, 0x3b800000
	s_delay_alu instid0(VALU_DEP_2) | instskip(SKIP_1) | instid1(VALU_DEP_2)
	v_cndmask_b32_e32 v134, v134, v144, vcc_lo
	v_and_b32_e32 v144, 0x80000000, v146
	v_lshlrev_b32_e32 v134, 20, v134
	s_delay_alu instid0(VALU_DEP_1)
	v_or3_b32 v134, v144, v135, v134
.LBB4_2527:                             ;   in Loop: Header=BB4_2319 Depth=2
	s_or_b32 exec_lo, exec_lo, s27
	s_waitcnt vmcnt(8) lgkmcnt(8)
	v_and_b32_e32 v144, 0xff, v132
	s_mov_b32 s11, 0
	s_mov_b32 s28, exec_lo
                                        ; implicit-def: $sgpr27
	s_delay_alu instid0(VALU_DEP_1)
	v_cmpx_lt_i16_e64 0x7f, v144
	s_xor_b32 s28, exec_lo, s28
	s_cbranch_execnz .LBB4_2897
; %bb.2528:                             ;   in Loop: Header=BB4_2319 Depth=2
	s_or_saveexec_b32 s28, s28
	v_mov_b32_e32 v135, s27
	s_xor_b32 exec_lo, exec_lo, s28
	s_cbranch_execnz .LBB4_2900
.LBB4_2529:                             ;   in Loop: Header=BB4_2319 Depth=2
	s_or_b32 exec_lo, exec_lo, s28
	s_and_saveexec_b32 s27, s11
	s_cbranch_execz .LBB4_2531
.LBB4_2530:                             ;   in Loop: Header=BB4_2319 Depth=2
	v_and_b32_e32 v135, 7, v132
	v_lshrrev_b16 v146, 3, v132
	v_lshlrev_b32_e32 v147, 24, v132
	s_delay_alu instid0(VALU_DEP_3) | instskip(NEXT) | instid1(VALU_DEP_1)
	v_clz_i32_u32_e32 v144, v135
	v_min_u32_e32 v144, 32, v144
	s_delay_alu instid0(VALU_DEP_1) | instskip(SKIP_1) | instid1(VALU_DEP_2)
	v_subrev_nc_u32_e32 v145, 28, v144
	v_sub_nc_u32_e32 v144, 29, v144
	v_lshlrev_b32_e32 v145, v145, v132
	s_delay_alu instid0(VALU_DEP_1) | instskip(SKIP_1) | instid1(VALU_DEP_1)
	v_and_b32_e32 v145, 7, v145
	v_and_b32_e32 v146, 15, v146
	v_cmp_eq_u32_e32 vcc_lo, 0, v146
	s_delay_alu instid0(VALU_DEP_3) | instskip(SKIP_1) | instid1(VALU_DEP_2)
	v_dual_cndmask_b32 v135, v135, v145 :: v_dual_cndmask_b32 v144, v146, v144
	v_and_b32_e32 v145, 0x80000000, v147
	v_lshlrev_b32_e32 v135, 20, v135
	s_delay_alu instid0(VALU_DEP_3) | instskip(NEXT) | instid1(VALU_DEP_1)
	v_lshl_add_u32 v144, v144, 23, 0x3b800000
	v_or3_b32 v135, v145, v144, v135
.LBB4_2531:                             ;   in Loop: Header=BB4_2319 Depth=2
	s_or_b32 exec_lo, exec_lo, s27
	s_delay_alu instid0(VALU_DEP_1) | instskip(SKIP_1) | instid1(VALU_DEP_1)
	v_dual_max_f32 v135, v135, v135 :: v_dual_max_f32 v134, v134, v134
	s_mov_b32 s11, 0
	v_max_f32_e32 v134, v134, v135
	s_branch .LBB4_2533
.LBB4_2532:                             ;   in Loop: Header=BB4_2319 Depth=2
	s_mov_b32 s11, -1
                                        ; implicit-def: $vgpr134
.LBB4_2533:                             ;   in Loop: Header=BB4_2319 Depth=2
	s_delay_alu instid0(SALU_CYCLE_1)
	s_and_b32 vcc_lo, exec_lo, s11
	s_cbranch_vccz .LBB4_2543
; %bb.2534:                             ;   in Loop: Header=BB4_2319 Depth=2
	v_and_b32_e32 v135, 0xff, v133
	s_mov_b32 s11, 0
	s_mov_b32 s28, exec_lo
                                        ; implicit-def: $sgpr27
	s_delay_alu instid0(VALU_DEP_1)
	v_cmpx_lt_i16_e64 0x7f, v135
	s_xor_b32 s28, exec_lo, s28
	s_cbranch_execnz .LBB4_2901
; %bb.2535:                             ;   in Loop: Header=BB4_2319 Depth=2
	s_or_saveexec_b32 s28, s28
	v_mov_b32_e32 v134, s27
	s_xor_b32 exec_lo, exec_lo, s28
	s_cbranch_execnz .LBB4_2904
.LBB4_2536:                             ;   in Loop: Header=BB4_2319 Depth=2
	s_or_b32 exec_lo, exec_lo, s28
	s_and_saveexec_b32 s27, s11
	s_cbranch_execz .LBB4_2538
.LBB4_2537:                             ;   in Loop: Header=BB4_2319 Depth=2
	v_lshrrev_b16 v145, 3, v133
	s_delay_alu instid0(VALU_DEP_1) | instskip(NEXT) | instid1(VALU_DEP_1)
	v_and_b32_e32 v145, 15, v145
	v_cmp_eq_u32_e32 vcc_lo, 0, v145
	v_and_b32_e32 v134, 7, v133
	s_delay_alu instid0(VALU_DEP_1) | instskip(NEXT) | instid1(VALU_DEP_1)
	v_clz_i32_u32_e32 v135, v134
	v_min_u32_e32 v135, 32, v135
	s_delay_alu instid0(VALU_DEP_1) | instskip(SKIP_1) | instid1(VALU_DEP_1)
	v_subrev_nc_u32_e32 v144, 28, v135
	v_sub_nc_u32_e32 v135, 29, v135
	v_dual_cndmask_b32 v135, v145, v135 :: v_dual_lshlrev_b32 v144, v144, v133
	v_lshlrev_b32_e32 v133, 24, v133
	s_delay_alu instid0(VALU_DEP_2) | instskip(NEXT) | instid1(VALU_DEP_3)
	v_and_b32_e32 v144, 7, v144
	v_lshl_add_u32 v135, v135, 23, 0x3b800000
	s_delay_alu instid0(VALU_DEP_2) | instskip(NEXT) | instid1(VALU_DEP_1)
	v_dual_cndmask_b32 v134, v134, v144 :: v_dual_and_b32 v133, 0x80000000, v133
	v_lshlrev_b32_e32 v134, 20, v134
	s_delay_alu instid0(VALU_DEP_1)
	v_or3_b32 v134, v133, v135, v134
.LBB4_2538:                             ;   in Loop: Header=BB4_2319 Depth=2
	s_or_b32 exec_lo, exec_lo, s27
	s_waitcnt vmcnt(8) lgkmcnt(8)
	v_and_b32_e32 v135, 0xff, v132
	s_mov_b32 s11, 0
	s_mov_b32 s28, exec_lo
                                        ; implicit-def: $sgpr27
	s_delay_alu instid0(VALU_DEP_1)
	v_cmpx_lt_i16_e64 0x7f, v135
	s_xor_b32 s28, exec_lo, s28
	s_cbranch_execnz .LBB4_2905
; %bb.2539:                             ;   in Loop: Header=BB4_2319 Depth=2
	s_or_saveexec_b32 s28, s28
	v_mov_b32_e32 v133, s27
	s_xor_b32 exec_lo, exec_lo, s28
	s_cbranch_execnz .LBB4_2908
.LBB4_2540:                             ;   in Loop: Header=BB4_2319 Depth=2
	s_or_b32 exec_lo, exec_lo, s28
	s_and_saveexec_b32 s27, s11
	s_cbranch_execz .LBB4_2542
.LBB4_2541:                             ;   in Loop: Header=BB4_2319 Depth=2
	v_and_b32_e32 v133, 7, v132
	v_lshrrev_b16 v145, 3, v132
	s_delay_alu instid0(VALU_DEP_2) | instskip(NEXT) | instid1(VALU_DEP_2)
	v_clz_i32_u32_e32 v135, v133
	v_and_b32_e32 v145, 15, v145
	s_delay_alu instid0(VALU_DEP_2) | instskip(NEXT) | instid1(VALU_DEP_2)
	v_min_u32_e32 v135, 32, v135
	v_cmp_eq_u32_e32 vcc_lo, 0, v145
	s_delay_alu instid0(VALU_DEP_2) | instskip(SKIP_1) | instid1(VALU_DEP_1)
	v_subrev_nc_u32_e32 v144, 28, v135
	v_sub_nc_u32_e32 v135, 29, v135
	v_dual_cndmask_b32 v135, v145, v135 :: v_dual_lshlrev_b32 v144, v144, v132
	v_lshlrev_b32_e32 v132, 24, v132
	s_delay_alu instid0(VALU_DEP_2) | instskip(NEXT) | instid1(VALU_DEP_3)
	v_and_b32_e32 v144, 7, v144
	v_lshl_add_u32 v135, v135, 23, 0x3b800000
	s_delay_alu instid0(VALU_DEP_3) | instskip(NEXT) | instid1(VALU_DEP_3)
	v_and_b32_e32 v132, 0x80000000, v132
	v_cndmask_b32_e32 v133, v133, v144, vcc_lo
	s_delay_alu instid0(VALU_DEP_1) | instskip(NEXT) | instid1(VALU_DEP_1)
	v_lshlrev_b32_e32 v133, 20, v133
	v_or3_b32 v133, v132, v135, v133
.LBB4_2542:                             ;   in Loop: Header=BB4_2319 Depth=2
	s_or_b32 exec_lo, exec_lo, s27
	s_delay_alu instid0(VALU_DEP_1) | instskip(NEXT) | instid1(VALU_DEP_1)
	v_dual_max_f32 v132, v133, v133 :: v_dual_max_f32 v133, v134, v134
	v_min_f32_e32 v134, v133, v132
.LBB4_2543:                             ;   in Loop: Header=BB4_2319 Depth=2
	s_waitcnt vmcnt(8) lgkmcnt(8)
	s_delay_alu instid0(VALU_DEP_1) | instskip(NEXT) | instid1(VALU_DEP_1)
	v_and_b32_e32 v132, 0x7f800000, v134
	v_cmp_ne_u32_e32 vcc_lo, 0x7f800000, v132
	v_mov_b32_e32 v132, 0x80
	s_and_saveexec_b32 s27, vcc_lo
	s_cbranch_execz .LBB4_2551
; %bb.2544:                             ;   in Loop: Header=BB4_2319 Depth=2
	v_mov_b32_e32 v132, 0
	s_mov_b32 s28, exec_lo
	v_cmpx_ne_u32_e32 0, v134
	s_cbranch_execz .LBB4_2550
; %bb.2545:                             ;   in Loop: Header=BB4_2319 Depth=2
	v_bfe_u32 v132, v134, 23, 8
	v_and_b32_e32 v133, 0x7fffff, v134
	s_delay_alu instid0(VALU_DEP_2) | instskip(SKIP_1) | instid1(VALU_DEP_3)
	v_sub_nc_u32_e32 v135, 0x78, v132
	v_cmp_gt_u32_e32 vcc_lo, 0x79, v132
	v_or_b32_e32 v144, 0x800000, v133
	s_delay_alu instid0(VALU_DEP_3) | instskip(SKIP_2) | instid1(VALU_DEP_3)
	v_cndmask_b32_e32 v135, 0, v135, vcc_lo
	v_cmp_eq_u32_e32 vcc_lo, 0, v132
	v_add_nc_u32_e32 v132, 0xffffff89, v132
	v_cndmask_b32_e64 v135, v135, 0x77, vcc_lo
	v_cndmask_b32_e32 v133, v144, v133, vcc_lo
	s_delay_alu instid0(VALU_DEP_3) | instskip(NEXT) | instid1(VALU_DEP_3)
	v_cndmask_b32_e64 v132, v132, 0xffffff8a, vcc_lo
	v_lshl_add_u32 v144, 0x100000, v135, -1
	s_delay_alu instid0(VALU_DEP_3) | instskip(SKIP_1) | instid1(VALU_DEP_4)
	v_lshrrev_b32_e32 v145, v135, v133
	v_lshlrev_b32_e64 v147, v135, 0x80000
	v_add_nc_u32_e32 v135, v135, v132
	s_delay_alu instid0(VALU_DEP_4) | instskip(NEXT) | instid1(VALU_DEP_4)
	v_and_b32_e32 v133, v144, v133
	v_bfe_u32 v146, v145, 20, 1
	s_delay_alu instid0(VALU_DEP_2) | instskip(NEXT) | instid1(VALU_DEP_2)
	v_cmp_eq_u32_e64 s11, v133, v147
	v_add_nc_u32_e32 v144, -1, v146
	s_delay_alu instid0(VALU_DEP_1) | instskip(SKIP_2) | instid1(VALU_DEP_2)
	v_cndmask_b32_e64 v133, 0, v144, s11
	v_lshrrev_b32_e32 v144, 23, v145
	s_mov_b32 s11, exec_lo
	v_add_nc_u32_e32 v133, v133, v145
	s_delay_alu instid0(VALU_DEP_2) | instskip(NEXT) | instid1(VALU_DEP_2)
	v_xor_b32_e32 v144, 1, v144
	v_and_b32_e32 v132, 0xfffff, v133
	s_delay_alu instid0(VALU_DEP_1) | instskip(NEXT) | instid1(VALU_DEP_3)
	v_add_nc_u32_e32 v133, v132, v145
                                        ; implicit-def: $vgpr132
	v_cmpx_ne_u32_e64 v135, v144
	s_xor_b32 s11, exec_lo, s11
; %bb.2546:                             ;   in Loop: Header=BB4_2319 Depth=2
	s_delay_alu instid0(VALU_DEP_2) | instskip(SKIP_2) | instid1(VALU_DEP_2)
	v_cmp_lt_u32_e32 vcc_lo, 0xffffff, v133
	v_sub_nc_u32_e32 v132, v135, v144
	v_cndmask_b32_e64 v135, 0, 1, vcc_lo
	v_add_co_ci_u32_e32 v132, vcc_lo, 0, v132, vcc_lo
	s_delay_alu instid0(VALU_DEP_2)
	v_lshrrev_b32_e32 v133, v135, v133
; %bb.2547:                             ;   in Loop: Header=BB4_2319 Depth=2
	s_and_not1_saveexec_b32 s11, s11
; %bb.2548:                             ;   in Loop: Header=BB4_2319 Depth=2
	s_delay_alu instid0(VALU_DEP_1)
	v_bfe_u32 v132, v133, 23, 1
; %bb.2549:                             ;   in Loop: Header=BB4_2319 Depth=2
	s_or_b32 exec_lo, exec_lo, s11
	v_lshrrev_b32_e32 v133, 20, v133
	s_delay_alu instid0(VALU_DEP_2) | instskip(SKIP_2) | instid1(VALU_DEP_2)
	v_cmp_gt_i32_e32 vcc_lo, 16, v132
	v_lshrrev_b32_e32 v134, 24, v134
	v_min_i32_e32 v135, 15, v132
	v_dual_cndmask_b32 v133, 7, v133 :: v_dual_and_b32 v134, 0x80, v134
	s_delay_alu instid0(VALU_DEP_1) | instskip(SKIP_1) | instid1(VALU_DEP_2)
	v_or_b32_e32 v132, v132, v133
	v_and_b32_e32 v144, 7, v133
	v_cmp_ne_u32_e32 vcc_lo, 0, v132
	v_lshlrev_b32_e32 v135, 3, v135
	s_delay_alu instid0(VALU_DEP_1) | instskip(NEXT) | instid1(VALU_DEP_1)
	v_or3_b32 v133, v135, v134, v144
	v_cndmask_b32_e32 v132, 0, v133, vcc_lo
.LBB4_2550:                             ;   in Loop: Header=BB4_2319 Depth=2
	s_or_b32 exec_lo, exec_lo, s28
.LBB4_2551:                             ;   in Loop: Header=BB4_2319 Depth=2
	s_delay_alu instid0(SALU_CYCLE_1) | instskip(NEXT) | instid1(SALU_CYCLE_1)
	s_or_b32 exec_lo, exec_lo, s27
	s_and_not1_b32 vcc_lo, exec_lo, s25
	s_cbranch_vccnz .LBB4_2561
; %bb.2552:                             ;   in Loop: Header=BB4_2319 Depth=2
	v_and_b32_e32 v134, 0xff, v131
	s_mov_b32 s11, 0
	s_mov_b32 s28, exec_lo
                                        ; implicit-def: $sgpr27
	s_delay_alu instid0(VALU_DEP_1)
	v_cmpx_lt_i16_e64 0x7f, v134
	s_xor_b32 s28, exec_lo, s28
	s_cbranch_execnz .LBB4_2909
; %bb.2553:                             ;   in Loop: Header=BB4_2319 Depth=2
	s_or_saveexec_b32 s28, s28
	v_mov_b32_e32 v133, s27
	s_xor_b32 exec_lo, exec_lo, s28
	s_cbranch_execnz .LBB4_2912
.LBB4_2554:                             ;   in Loop: Header=BB4_2319 Depth=2
	s_or_b32 exec_lo, exec_lo, s28
	s_and_saveexec_b32 s27, s11
	s_cbranch_execz .LBB4_2556
.LBB4_2555:                             ;   in Loop: Header=BB4_2319 Depth=2
	v_lshrrev_b16 v144, 3, v131
	v_lshlrev_b32_e32 v145, 24, v131
	s_delay_alu instid0(VALU_DEP_2) | instskip(NEXT) | instid1(VALU_DEP_1)
	v_and_b32_e32 v144, 15, v144
	v_cmp_eq_u32_e32 vcc_lo, 0, v144
	v_and_b32_e32 v133, 7, v131
	s_delay_alu instid0(VALU_DEP_1) | instskip(NEXT) | instid1(VALU_DEP_1)
	v_clz_i32_u32_e32 v134, v133
	v_min_u32_e32 v134, 32, v134
	s_delay_alu instid0(VALU_DEP_1) | instskip(SKIP_1) | instid1(VALU_DEP_1)
	v_subrev_nc_u32_e32 v135, 28, v134
	v_sub_nc_u32_e32 v134, 29, v134
	v_dual_cndmask_b32 v134, v144, v134 :: v_dual_lshlrev_b32 v135, v135, v131
	s_delay_alu instid0(VALU_DEP_1) | instskip(NEXT) | instid1(VALU_DEP_2)
	v_and_b32_e32 v135, 7, v135
	v_lshl_add_u32 v134, v134, 23, 0x3b800000
	s_delay_alu instid0(VALU_DEP_2) | instskip(SKIP_1) | instid1(VALU_DEP_2)
	v_cndmask_b32_e32 v133, v133, v135, vcc_lo
	v_and_b32_e32 v135, 0x80000000, v145
	v_lshlrev_b32_e32 v133, 20, v133
	s_delay_alu instid0(VALU_DEP_1)
	v_or3_b32 v133, v135, v134, v133
.LBB4_2556:                             ;   in Loop: Header=BB4_2319 Depth=2
	s_or_b32 exec_lo, exec_lo, s27
	s_waitcnt vmcnt(7) lgkmcnt(7)
	v_and_b32_e32 v135, 0xff, v130
	s_mov_b32 s11, 0
	s_mov_b32 s28, exec_lo
                                        ; implicit-def: $sgpr27
	s_delay_alu instid0(VALU_DEP_1)
	v_cmpx_lt_i16_e64 0x7f, v135
	s_xor_b32 s28, exec_lo, s28
	s_cbranch_execnz .LBB4_2913
; %bb.2557:                             ;   in Loop: Header=BB4_2319 Depth=2
	s_or_saveexec_b32 s28, s28
	v_mov_b32_e32 v134, s27
	s_xor_b32 exec_lo, exec_lo, s28
	s_cbranch_execnz .LBB4_2916
.LBB4_2558:                             ;   in Loop: Header=BB4_2319 Depth=2
	s_or_b32 exec_lo, exec_lo, s28
	s_and_saveexec_b32 s27, s11
	s_cbranch_execz .LBB4_2560
.LBB4_2559:                             ;   in Loop: Header=BB4_2319 Depth=2
	v_lshrrev_b16 v145, 3, v130
	v_lshlrev_b32_e32 v146, 24, v130
	s_delay_alu instid0(VALU_DEP_2) | instskip(NEXT) | instid1(VALU_DEP_1)
	v_and_b32_e32 v145, 15, v145
	v_cmp_eq_u32_e32 vcc_lo, 0, v145
	v_and_b32_e32 v134, 7, v130
	s_delay_alu instid0(VALU_DEP_1) | instskip(NEXT) | instid1(VALU_DEP_1)
	v_clz_i32_u32_e32 v135, v134
	v_min_u32_e32 v135, 32, v135
	s_delay_alu instid0(VALU_DEP_1) | instskip(SKIP_1) | instid1(VALU_DEP_1)
	v_subrev_nc_u32_e32 v144, 28, v135
	v_sub_nc_u32_e32 v135, 29, v135
	v_dual_cndmask_b32 v135, v145, v135 :: v_dual_lshlrev_b32 v144, v144, v130
	s_delay_alu instid0(VALU_DEP_1) | instskip(NEXT) | instid1(VALU_DEP_2)
	v_and_b32_e32 v144, 7, v144
	v_lshl_add_u32 v135, v135, 23, 0x3b800000
	s_delay_alu instid0(VALU_DEP_2) | instskip(SKIP_1) | instid1(VALU_DEP_2)
	v_cndmask_b32_e32 v134, v134, v144, vcc_lo
	v_and_b32_e32 v144, 0x80000000, v146
	v_lshlrev_b32_e32 v134, 20, v134
	s_delay_alu instid0(VALU_DEP_1)
	v_or3_b32 v134, v144, v135, v134
.LBB4_2560:                             ;   in Loop: Header=BB4_2319 Depth=2
	s_or_b32 exec_lo, exec_lo, s27
	s_delay_alu instid0(VALU_DEP_1) | instskip(SKIP_1) | instid1(VALU_DEP_1)
	v_dual_max_f32 v134, v134, v134 :: v_dual_max_f32 v133, v133, v133
	s_mov_b32 s11, 0
	v_max_f32_e32 v133, v133, v134
	s_branch .LBB4_2562
.LBB4_2561:                             ;   in Loop: Header=BB4_2319 Depth=2
	s_mov_b32 s11, -1
                                        ; implicit-def: $vgpr133
.LBB4_2562:                             ;   in Loop: Header=BB4_2319 Depth=2
	s_delay_alu instid0(SALU_CYCLE_1)
	s_and_b32 vcc_lo, exec_lo, s11
	s_cbranch_vccz .LBB4_2572
; %bb.2563:                             ;   in Loop: Header=BB4_2319 Depth=2
	v_and_b32_e32 v134, 0xff, v131
	s_mov_b32 s11, 0
	s_mov_b32 s28, exec_lo
                                        ; implicit-def: $sgpr27
	s_delay_alu instid0(VALU_DEP_1)
	v_cmpx_lt_i16_e64 0x7f, v134
	s_xor_b32 s28, exec_lo, s28
	s_cbranch_execnz .LBB4_2917
; %bb.2564:                             ;   in Loop: Header=BB4_2319 Depth=2
	s_or_saveexec_b32 s28, s28
	v_mov_b32_e32 v133, s27
	s_xor_b32 exec_lo, exec_lo, s28
	s_cbranch_execnz .LBB4_2920
.LBB4_2565:                             ;   in Loop: Header=BB4_2319 Depth=2
	s_or_b32 exec_lo, exec_lo, s28
	s_and_saveexec_b32 s27, s11
	s_cbranch_execz .LBB4_2567
.LBB4_2566:                             ;   in Loop: Header=BB4_2319 Depth=2
	v_lshrrev_b16 v144, 3, v131
	s_delay_alu instid0(VALU_DEP_1) | instskip(NEXT) | instid1(VALU_DEP_1)
	v_and_b32_e32 v144, 15, v144
	v_cmp_eq_u32_e32 vcc_lo, 0, v144
	v_and_b32_e32 v133, 7, v131
	s_delay_alu instid0(VALU_DEP_1) | instskip(NEXT) | instid1(VALU_DEP_1)
	v_clz_i32_u32_e32 v134, v133
	v_min_u32_e32 v134, 32, v134
	s_delay_alu instid0(VALU_DEP_1) | instskip(SKIP_1) | instid1(VALU_DEP_1)
	v_subrev_nc_u32_e32 v135, 28, v134
	v_sub_nc_u32_e32 v134, 29, v134
	v_dual_cndmask_b32 v134, v144, v134 :: v_dual_lshlrev_b32 v135, v135, v131
	v_lshlrev_b32_e32 v131, 24, v131
	s_delay_alu instid0(VALU_DEP_2) | instskip(NEXT) | instid1(VALU_DEP_3)
	v_and_b32_e32 v135, 7, v135
	v_lshl_add_u32 v134, v134, 23, 0x3b800000
	s_delay_alu instid0(VALU_DEP_3) | instskip(NEXT) | instid1(VALU_DEP_3)
	v_and_b32_e32 v131, 0x80000000, v131
	v_cndmask_b32_e32 v133, v133, v135, vcc_lo
	s_delay_alu instid0(VALU_DEP_1) | instskip(NEXT) | instid1(VALU_DEP_1)
	v_lshlrev_b32_e32 v133, 20, v133
	v_or3_b32 v133, v131, v134, v133
.LBB4_2567:                             ;   in Loop: Header=BB4_2319 Depth=2
	s_or_b32 exec_lo, exec_lo, s27
	s_waitcnt vmcnt(7) lgkmcnt(7)
	v_and_b32_e32 v134, 0xff, v130
	s_mov_b32 s11, 0
	s_mov_b32 s28, exec_lo
                                        ; implicit-def: $sgpr27
	s_delay_alu instid0(VALU_DEP_1)
	v_cmpx_lt_i16_e64 0x7f, v134
	s_xor_b32 s28, exec_lo, s28
	s_cbranch_execnz .LBB4_2921
; %bb.2568:                             ;   in Loop: Header=BB4_2319 Depth=2
	s_or_saveexec_b32 s28, s28
	v_mov_b32_e32 v131, s27
	s_xor_b32 exec_lo, exec_lo, s28
	s_cbranch_execnz .LBB4_2924
.LBB4_2569:                             ;   in Loop: Header=BB4_2319 Depth=2
	s_or_b32 exec_lo, exec_lo, s28
	s_and_saveexec_b32 s27, s11
	s_cbranch_execz .LBB4_2571
.LBB4_2570:                             ;   in Loop: Header=BB4_2319 Depth=2
	v_and_b32_e32 v131, 7, v130
	v_lshrrev_b16 v144, 3, v130
	s_delay_alu instid0(VALU_DEP_2) | instskip(NEXT) | instid1(VALU_DEP_1)
	v_clz_i32_u32_e32 v134, v131
	v_min_u32_e32 v134, 32, v134
	s_delay_alu instid0(VALU_DEP_1) | instskip(SKIP_1) | instid1(VALU_DEP_2)
	v_subrev_nc_u32_e32 v135, 28, v134
	v_sub_nc_u32_e32 v134, 29, v134
	v_lshlrev_b32_e32 v135, v135, v130
	v_lshlrev_b32_e32 v130, 24, v130
	s_delay_alu instid0(VALU_DEP_2) | instskip(SKIP_1) | instid1(VALU_DEP_3)
	v_and_b32_e32 v135, 7, v135
	v_and_b32_e32 v144, 15, v144
	;; [unrolled: 1-line block ×3, first 2 shown]
	s_delay_alu instid0(VALU_DEP_2) | instskip(NEXT) | instid1(VALU_DEP_4)
	v_cmp_eq_u32_e32 vcc_lo, 0, v144
	v_dual_cndmask_b32 v131, v131, v135 :: v_dual_cndmask_b32 v134, v144, v134
	s_delay_alu instid0(VALU_DEP_1) | instskip(NEXT) | instid1(VALU_DEP_2)
	v_lshlrev_b32_e32 v131, 20, v131
	v_lshl_add_u32 v134, v134, 23, 0x3b800000
	s_delay_alu instid0(VALU_DEP_1)
	v_or3_b32 v131, v130, v134, v131
.LBB4_2571:                             ;   in Loop: Header=BB4_2319 Depth=2
	s_or_b32 exec_lo, exec_lo, s27
	s_delay_alu instid0(VALU_DEP_1) | instskip(NEXT) | instid1(VALU_DEP_1)
	v_dual_max_f32 v130, v131, v131 :: v_dual_max_f32 v131, v133, v133
	v_min_f32_e32 v133, v131, v130
.LBB4_2572:                             ;   in Loop: Header=BB4_2319 Depth=2
	s_waitcnt vmcnt(7) lgkmcnt(7)
	s_delay_alu instid0(VALU_DEP_1) | instskip(NEXT) | instid1(VALU_DEP_1)
	v_and_b32_e32 v130, 0x7f800000, v133
	v_cmp_ne_u32_e32 vcc_lo, 0x7f800000, v130
	v_mov_b32_e32 v130, 0x80
	s_and_saveexec_b32 s27, vcc_lo
	s_cbranch_execz .LBB4_2580
; %bb.2573:                             ;   in Loop: Header=BB4_2319 Depth=2
	v_mov_b32_e32 v130, 0
	s_mov_b32 s28, exec_lo
	v_cmpx_ne_u32_e32 0, v133
	s_cbranch_execz .LBB4_2579
; %bb.2574:                             ;   in Loop: Header=BB4_2319 Depth=2
	v_bfe_u32 v130, v133, 23, 8
	s_delay_alu instid0(VALU_DEP_1) | instskip(SKIP_1) | instid1(VALU_DEP_2)
	v_sub_nc_u32_e32 v134, 0x78, v130
	v_cmp_gt_u32_e32 vcc_lo, 0x79, v130
	v_dual_cndmask_b32 v134, 0, v134 :: v_dual_and_b32 v131, 0x7fffff, v133
	s_delay_alu instid0(VALU_DEP_1) | instskip(SKIP_2) | instid1(VALU_DEP_4)
	v_or_b32_e32 v135, 0x800000, v131
	v_cmp_eq_u32_e32 vcc_lo, 0, v130
	v_add_nc_u32_e32 v130, 0xffffff89, v130
	v_cndmask_b32_e64 v134, v134, 0x77, vcc_lo
	s_delay_alu instid0(VALU_DEP_4) | instskip(NEXT) | instid1(VALU_DEP_3)
	v_cndmask_b32_e32 v131, v135, v131, vcc_lo
	v_cndmask_b32_e64 v130, v130, 0xffffff8a, vcc_lo
	s_delay_alu instid0(VALU_DEP_3) | instskip(NEXT) | instid1(VALU_DEP_3)
	v_lshl_add_u32 v135, 0x100000, v134, -1
	v_lshrrev_b32_e32 v144, v134, v131
	v_lshlrev_b32_e64 v146, v134, 0x80000
	s_delay_alu instid0(VALU_DEP_4) | instskip(NEXT) | instid1(VALU_DEP_4)
	v_add_nc_u32_e32 v134, v134, v130
	v_and_b32_e32 v131, v135, v131
	s_delay_alu instid0(VALU_DEP_4) | instskip(NEXT) | instid1(VALU_DEP_2)
	v_bfe_u32 v145, v144, 20, 1
	v_cmp_eq_u32_e64 s11, v131, v146
	s_delay_alu instid0(VALU_DEP_2) | instskip(NEXT) | instid1(VALU_DEP_1)
	v_add_nc_u32_e32 v135, -1, v145
	v_cndmask_b32_e64 v131, 0, v135, s11
	v_lshrrev_b32_e32 v135, 23, v144
	s_mov_b32 s11, exec_lo
	s_delay_alu instid0(VALU_DEP_2) | instskip(NEXT) | instid1(VALU_DEP_2)
	v_add_nc_u32_e32 v131, v131, v144
	v_xor_b32_e32 v135, 1, v135
	s_delay_alu instid0(VALU_DEP_2) | instskip(NEXT) | instid1(VALU_DEP_1)
	v_and_b32_e32 v130, 0xfffff, v131
	v_add_nc_u32_e32 v131, v130, v144
                                        ; implicit-def: $vgpr130
	s_delay_alu instid0(VALU_DEP_3)
	v_cmpx_ne_u32_e64 v134, v135
	s_xor_b32 s11, exec_lo, s11
; %bb.2575:                             ;   in Loop: Header=BB4_2319 Depth=2
	s_delay_alu instid0(VALU_DEP_2) | instskip(SKIP_2) | instid1(VALU_DEP_2)
	v_cmp_lt_u32_e32 vcc_lo, 0xffffff, v131
	v_sub_nc_u32_e32 v130, v134, v135
	v_cndmask_b32_e64 v134, 0, 1, vcc_lo
	v_add_co_ci_u32_e32 v130, vcc_lo, 0, v130, vcc_lo
	s_delay_alu instid0(VALU_DEP_2)
	v_lshrrev_b32_e32 v131, v134, v131
; %bb.2576:                             ;   in Loop: Header=BB4_2319 Depth=2
	s_and_not1_saveexec_b32 s11, s11
; %bb.2577:                             ;   in Loop: Header=BB4_2319 Depth=2
	s_delay_alu instid0(VALU_DEP_1)
	v_bfe_u32 v130, v131, 23, 1
; %bb.2578:                             ;   in Loop: Header=BB4_2319 Depth=2
	s_or_b32 exec_lo, exec_lo, s11
	v_lshrrev_b32_e32 v131, 20, v131
	s_delay_alu instid0(VALU_DEP_2) | instskip(SKIP_2) | instid1(VALU_DEP_2)
	v_cmp_gt_i32_e32 vcc_lo, 16, v130
	v_min_i32_e32 v134, 15, v130
	v_lshrrev_b32_e32 v133, 24, v133
	v_dual_cndmask_b32 v131, 7, v131 :: v_dual_lshlrev_b32 v134, 3, v134
	s_delay_alu instid0(VALU_DEP_1) | instskip(SKIP_1) | instid1(VALU_DEP_2)
	v_or_b32_e32 v130, v130, v131
	v_and_b32_e32 v135, 7, v131
	v_cmp_ne_u32_e32 vcc_lo, 0, v130
	v_and_b32_e32 v133, 0x80, v133
	s_delay_alu instid0(VALU_DEP_1) | instskip(NEXT) | instid1(VALU_DEP_1)
	v_or3_b32 v131, v134, v133, v135
	v_cndmask_b32_e32 v130, 0, v131, vcc_lo
.LBB4_2579:                             ;   in Loop: Header=BB4_2319 Depth=2
	s_or_b32 exec_lo, exec_lo, s28
.LBB4_2580:                             ;   in Loop: Header=BB4_2319 Depth=2
	s_delay_alu instid0(SALU_CYCLE_1) | instskip(NEXT) | instid1(SALU_CYCLE_1)
	s_or_b32 exec_lo, exec_lo, s27
	s_and_not1_b32 vcc_lo, exec_lo, s25
	s_cbranch_vccnz .LBB4_2590
; %bb.2581:                             ;   in Loop: Header=BB4_2319 Depth=2
	v_and_b32_e32 v133, 0xff, v128
	s_mov_b32 s11, 0
	s_mov_b32 s28, exec_lo
                                        ; implicit-def: $sgpr27
	s_delay_alu instid0(VALU_DEP_1)
	v_cmpx_lt_i16_e64 0x7f, v133
	s_xor_b32 s28, exec_lo, s28
	s_cbranch_execnz .LBB4_2925
; %bb.2582:                             ;   in Loop: Header=BB4_2319 Depth=2
	s_or_saveexec_b32 s28, s28
	v_mov_b32_e32 v131, s27
	s_xor_b32 exec_lo, exec_lo, s28
	s_cbranch_execnz .LBB4_2928
.LBB4_2583:                             ;   in Loop: Header=BB4_2319 Depth=2
	s_or_b32 exec_lo, exec_lo, s28
	s_and_saveexec_b32 s27, s11
	s_cbranch_execz .LBB4_2585
.LBB4_2584:                             ;   in Loop: Header=BB4_2319 Depth=2
	v_and_b32_e32 v131, 7, v128
	v_lshrrev_b16 v135, 3, v128
	s_delay_alu instid0(VALU_DEP_2) | instskip(NEXT) | instid1(VALU_DEP_2)
	v_clz_i32_u32_e32 v133, v131
	v_and_b32_e32 v135, 15, v135
	s_delay_alu instid0(VALU_DEP_2) | instskip(NEXT) | instid1(VALU_DEP_2)
	v_min_u32_e32 v133, 32, v133
	v_cmp_eq_u32_e32 vcc_lo, 0, v135
	s_delay_alu instid0(VALU_DEP_2) | instskip(SKIP_1) | instid1(VALU_DEP_1)
	v_subrev_nc_u32_e32 v134, 28, v133
	v_sub_nc_u32_e32 v133, 29, v133
	v_dual_cndmask_b32 v133, v135, v133 :: v_dual_lshlrev_b32 v134, v134, v128
	s_delay_alu instid0(VALU_DEP_1) | instskip(SKIP_1) | instid1(VALU_DEP_3)
	v_and_b32_e32 v134, 7, v134
	v_lshlrev_b32_e32 v144, 24, v128
	v_lshl_add_u32 v133, v133, 23, 0x3b800000
	s_delay_alu instid0(VALU_DEP_2) | instskip(NEXT) | instid1(VALU_DEP_1)
	v_dual_cndmask_b32 v131, v131, v134 :: v_dual_and_b32 v134, 0x80000000, v144
	v_lshlrev_b32_e32 v131, 20, v131
	s_delay_alu instid0(VALU_DEP_1)
	v_or3_b32 v131, v134, v133, v131
.LBB4_2585:                             ;   in Loop: Header=BB4_2319 Depth=2
	s_or_b32 exec_lo, exec_lo, s27
	s_waitcnt vmcnt(6) lgkmcnt(6)
	v_and_b32_e32 v134, 0xff, v119
	s_mov_b32 s11, 0
	s_mov_b32 s28, exec_lo
                                        ; implicit-def: $sgpr27
	s_delay_alu instid0(VALU_DEP_1)
	v_cmpx_lt_i16_e64 0x7f, v134
	s_xor_b32 s28, exec_lo, s28
	s_cbranch_execnz .LBB4_2929
; %bb.2586:                             ;   in Loop: Header=BB4_2319 Depth=2
	s_or_saveexec_b32 s28, s28
	v_mov_b32_e32 v133, s27
	s_xor_b32 exec_lo, exec_lo, s28
	s_cbranch_execnz .LBB4_2932
.LBB4_2587:                             ;   in Loop: Header=BB4_2319 Depth=2
	s_or_b32 exec_lo, exec_lo, s28
	s_and_saveexec_b32 s27, s11
	s_cbranch_execz .LBB4_2589
.LBB4_2588:                             ;   in Loop: Header=BB4_2319 Depth=2
	v_lshrrev_b16 v144, 3, v119
	v_lshlrev_b32_e32 v145, 24, v119
	s_delay_alu instid0(VALU_DEP_2) | instskip(NEXT) | instid1(VALU_DEP_1)
	v_and_b32_e32 v144, 15, v144
	v_cmp_eq_u32_e32 vcc_lo, 0, v144
	v_and_b32_e32 v133, 7, v119
	s_delay_alu instid0(VALU_DEP_1) | instskip(NEXT) | instid1(VALU_DEP_1)
	v_clz_i32_u32_e32 v134, v133
	v_min_u32_e32 v134, 32, v134
	s_delay_alu instid0(VALU_DEP_1) | instskip(SKIP_1) | instid1(VALU_DEP_1)
	v_subrev_nc_u32_e32 v135, 28, v134
	v_sub_nc_u32_e32 v134, 29, v134
	v_dual_cndmask_b32 v134, v144, v134 :: v_dual_lshlrev_b32 v135, v135, v119
	s_delay_alu instid0(VALU_DEP_1) | instskip(NEXT) | instid1(VALU_DEP_2)
	v_and_b32_e32 v135, 7, v135
	v_lshl_add_u32 v134, v134, 23, 0x3b800000
	s_delay_alu instid0(VALU_DEP_2) | instskip(SKIP_1) | instid1(VALU_DEP_2)
	v_cndmask_b32_e32 v133, v133, v135, vcc_lo
	v_and_b32_e32 v135, 0x80000000, v145
	v_lshlrev_b32_e32 v133, 20, v133
	s_delay_alu instid0(VALU_DEP_1)
	v_or3_b32 v133, v135, v134, v133
.LBB4_2589:                             ;   in Loop: Header=BB4_2319 Depth=2
	s_or_b32 exec_lo, exec_lo, s27
	s_delay_alu instid0(VALU_DEP_1) | instskip(SKIP_2) | instid1(VALU_DEP_1)
	v_max_f32_e32 v133, v133, v133
	v_max_f32_e32 v131, v131, v131
	s_mov_b32 s11, 0
	v_max_f32_e32 v131, v131, v133
	s_branch .LBB4_2591
.LBB4_2590:                             ;   in Loop: Header=BB4_2319 Depth=2
	s_mov_b32 s11, -1
                                        ; implicit-def: $vgpr131
.LBB4_2591:                             ;   in Loop: Header=BB4_2319 Depth=2
	s_delay_alu instid0(SALU_CYCLE_1)
	s_and_b32 vcc_lo, exec_lo, s11
	s_cbranch_vccz .LBB4_2601
; %bb.2592:                             ;   in Loop: Header=BB4_2319 Depth=2
	v_and_b32_e32 v133, 0xff, v128
	s_mov_b32 s11, 0
	s_mov_b32 s28, exec_lo
                                        ; implicit-def: $sgpr27
	s_delay_alu instid0(VALU_DEP_1)
	v_cmpx_lt_i16_e64 0x7f, v133
	s_xor_b32 s28, exec_lo, s28
	s_cbranch_execnz .LBB4_2933
; %bb.2593:                             ;   in Loop: Header=BB4_2319 Depth=2
	s_or_saveexec_b32 s28, s28
	v_mov_b32_e32 v131, s27
	s_xor_b32 exec_lo, exec_lo, s28
	s_cbranch_execnz .LBB4_2936
.LBB4_2594:                             ;   in Loop: Header=BB4_2319 Depth=2
	s_or_b32 exec_lo, exec_lo, s28
	s_and_saveexec_b32 s27, s11
	s_cbranch_execz .LBB4_2596
.LBB4_2595:                             ;   in Loop: Header=BB4_2319 Depth=2
	v_and_b32_e32 v131, 7, v128
	v_lshrrev_b16 v135, 3, v128
	s_delay_alu instid0(VALU_DEP_2) | instskip(NEXT) | instid1(VALU_DEP_2)
	v_clz_i32_u32_e32 v133, v131
	v_and_b32_e32 v135, 15, v135
	s_delay_alu instid0(VALU_DEP_2) | instskip(NEXT) | instid1(VALU_DEP_2)
	v_min_u32_e32 v133, 32, v133
	v_cmp_eq_u32_e32 vcc_lo, 0, v135
	s_delay_alu instid0(VALU_DEP_2) | instskip(SKIP_1) | instid1(VALU_DEP_1)
	v_subrev_nc_u32_e32 v134, 28, v133
	v_sub_nc_u32_e32 v133, 29, v133
	v_dual_cndmask_b32 v133, v135, v133 :: v_dual_lshlrev_b32 v134, v134, v128
	s_delay_alu instid0(VALU_DEP_1) | instskip(SKIP_1) | instid1(VALU_DEP_3)
	v_and_b32_e32 v134, 7, v134
	v_lshlrev_b32_e32 v128, 24, v128
	v_lshl_add_u32 v133, v133, 23, 0x3b800000
	s_delay_alu instid0(VALU_DEP_2) | instskip(NEXT) | instid1(VALU_DEP_1)
	v_dual_cndmask_b32 v131, v131, v134 :: v_dual_and_b32 v128, 0x80000000, v128
	v_lshlrev_b32_e32 v131, 20, v131
	s_delay_alu instid0(VALU_DEP_1)
	v_or3_b32 v131, v128, v133, v131
.LBB4_2596:                             ;   in Loop: Header=BB4_2319 Depth=2
	s_or_b32 exec_lo, exec_lo, s27
	s_waitcnt vmcnt(6) lgkmcnt(6)
	v_and_b32_e32 v133, 0xff, v119
	s_mov_b32 s11, 0
	s_mov_b32 s28, exec_lo
                                        ; implicit-def: $sgpr27
	s_delay_alu instid0(VALU_DEP_1)
	v_cmpx_lt_i16_e64 0x7f, v133
	s_xor_b32 s28, exec_lo, s28
	s_cbranch_execnz .LBB4_2937
; %bb.2597:                             ;   in Loop: Header=BB4_2319 Depth=2
	s_or_saveexec_b32 s28, s28
	v_mov_b32_e32 v128, s27
	s_xor_b32 exec_lo, exec_lo, s28
	s_cbranch_execnz .LBB4_2940
.LBB4_2598:                             ;   in Loop: Header=BB4_2319 Depth=2
	s_or_b32 exec_lo, exec_lo, s28
	s_and_saveexec_b32 s27, s11
	s_cbranch_execz .LBB4_2600
.LBB4_2599:                             ;   in Loop: Header=BB4_2319 Depth=2
	v_lshrrev_b16 v135, 3, v119
	s_delay_alu instid0(VALU_DEP_1) | instskip(NEXT) | instid1(VALU_DEP_1)
	v_and_b32_e32 v135, 15, v135
	v_cmp_eq_u32_e32 vcc_lo, 0, v135
	v_and_b32_e32 v128, 7, v119
	s_delay_alu instid0(VALU_DEP_1) | instskip(NEXT) | instid1(VALU_DEP_1)
	v_clz_i32_u32_e32 v133, v128
	v_min_u32_e32 v133, 32, v133
	s_delay_alu instid0(VALU_DEP_1) | instskip(SKIP_1) | instid1(VALU_DEP_1)
	v_subrev_nc_u32_e32 v134, 28, v133
	v_sub_nc_u32_e32 v133, 29, v133
	v_dual_cndmask_b32 v133, v135, v133 :: v_dual_lshlrev_b32 v134, v134, v119
	v_lshlrev_b32_e32 v119, 24, v119
	s_delay_alu instid0(VALU_DEP_2) | instskip(NEXT) | instid1(VALU_DEP_3)
	v_and_b32_e32 v134, 7, v134
	v_lshl_add_u32 v133, v133, 23, 0x3b800000
	s_delay_alu instid0(VALU_DEP_2) | instskip(NEXT) | instid1(VALU_DEP_1)
	v_dual_cndmask_b32 v128, v128, v134 :: v_dual_and_b32 v119, 0x80000000, v119
	v_lshlrev_b32_e32 v128, 20, v128
	s_delay_alu instid0(VALU_DEP_1)
	v_or3_b32 v128, v119, v133, v128
.LBB4_2600:                             ;   in Loop: Header=BB4_2319 Depth=2
	s_or_b32 exec_lo, exec_lo, s27
	s_delay_alu instid0(VALU_DEP_1) | instskip(NEXT) | instid1(VALU_DEP_1)
	v_dual_max_f32 v119, v128, v128 :: v_dual_max_f32 v128, v131, v131
	v_min_f32_e32 v131, v128, v119
.LBB4_2601:                             ;   in Loop: Header=BB4_2319 Depth=2
	s_waitcnt vmcnt(6) lgkmcnt(6)
	s_delay_alu instid0(VALU_DEP_1) | instskip(NEXT) | instid1(VALU_DEP_1)
	v_and_b32_e32 v119, 0x7f800000, v131
	v_cmp_ne_u32_e32 vcc_lo, 0x7f800000, v119
	v_mov_b32_e32 v119, 0x80
	s_and_saveexec_b32 s27, vcc_lo
	s_cbranch_execz .LBB4_2609
; %bb.2602:                             ;   in Loop: Header=BB4_2319 Depth=2
	v_mov_b32_e32 v119, 0
	s_mov_b32 s28, exec_lo
	v_cmpx_ne_u32_e32 0, v131
	s_cbranch_execz .LBB4_2608
; %bb.2603:                             ;   in Loop: Header=BB4_2319 Depth=2
	v_bfe_u32 v119, v131, 23, 8
	s_delay_alu instid0(VALU_DEP_1) | instskip(SKIP_1) | instid1(VALU_DEP_2)
	v_sub_nc_u32_e32 v133, 0x78, v119
	v_cmp_gt_u32_e32 vcc_lo, 0x79, v119
	v_dual_cndmask_b32 v133, 0, v133 :: v_dual_and_b32 v128, 0x7fffff, v131
	s_delay_alu instid0(VALU_DEP_1) | instskip(SKIP_2) | instid1(VALU_DEP_4)
	v_or_b32_e32 v134, 0x800000, v128
	v_cmp_eq_u32_e32 vcc_lo, 0, v119
	v_add_nc_u32_e32 v119, 0xffffff89, v119
	v_cndmask_b32_e64 v133, v133, 0x77, vcc_lo
	s_delay_alu instid0(VALU_DEP_4) | instskip(NEXT) | instid1(VALU_DEP_3)
	v_cndmask_b32_e32 v128, v134, v128, vcc_lo
	v_cndmask_b32_e64 v119, v119, 0xffffff8a, vcc_lo
	s_delay_alu instid0(VALU_DEP_3) | instskip(NEXT) | instid1(VALU_DEP_3)
	v_lshl_add_u32 v134, 0x100000, v133, -1
	v_lshrrev_b32_e32 v135, v133, v128
	v_lshlrev_b32_e64 v145, v133, 0x80000
	s_delay_alu instid0(VALU_DEP_4) | instskip(NEXT) | instid1(VALU_DEP_4)
	v_add_nc_u32_e32 v133, v133, v119
	v_and_b32_e32 v128, v134, v128
	s_delay_alu instid0(VALU_DEP_4) | instskip(NEXT) | instid1(VALU_DEP_2)
	v_bfe_u32 v144, v135, 20, 1
	v_cmp_eq_u32_e64 s11, v128, v145
	s_delay_alu instid0(VALU_DEP_2) | instskip(NEXT) | instid1(VALU_DEP_1)
	v_add_nc_u32_e32 v134, -1, v144
	v_cndmask_b32_e64 v128, 0, v134, s11
	v_lshrrev_b32_e32 v134, 23, v135
	s_mov_b32 s11, exec_lo
	s_delay_alu instid0(VALU_DEP_2) | instskip(NEXT) | instid1(VALU_DEP_2)
	v_add_nc_u32_e32 v128, v128, v135
	v_xor_b32_e32 v134, 1, v134
	s_delay_alu instid0(VALU_DEP_2) | instskip(NEXT) | instid1(VALU_DEP_1)
	v_and_b32_e32 v119, 0xfffff, v128
	v_add_nc_u32_e32 v128, v119, v135
                                        ; implicit-def: $vgpr119
	s_delay_alu instid0(VALU_DEP_3)
	v_cmpx_ne_u32_e64 v133, v134
	s_xor_b32 s11, exec_lo, s11
; %bb.2604:                             ;   in Loop: Header=BB4_2319 Depth=2
	s_delay_alu instid0(VALU_DEP_2) | instskip(SKIP_2) | instid1(VALU_DEP_2)
	v_cmp_lt_u32_e32 vcc_lo, 0xffffff, v128
	v_sub_nc_u32_e32 v119, v133, v134
	v_cndmask_b32_e64 v133, 0, 1, vcc_lo
	v_add_co_ci_u32_e32 v119, vcc_lo, 0, v119, vcc_lo
	s_delay_alu instid0(VALU_DEP_2)
	v_lshrrev_b32_e32 v128, v133, v128
; %bb.2605:                             ;   in Loop: Header=BB4_2319 Depth=2
	s_and_not1_saveexec_b32 s11, s11
; %bb.2606:                             ;   in Loop: Header=BB4_2319 Depth=2
	s_delay_alu instid0(VALU_DEP_1)
	v_bfe_u32 v119, v128, 23, 1
; %bb.2607:                             ;   in Loop: Header=BB4_2319 Depth=2
	s_or_b32 exec_lo, exec_lo, s11
	v_lshrrev_b32_e32 v128, 20, v128
	s_delay_alu instid0(VALU_DEP_2) | instskip(SKIP_2) | instid1(VALU_DEP_2)
	v_cmp_gt_i32_e32 vcc_lo, 16, v119
	v_lshrrev_b32_e32 v131, 24, v131
	v_min_i32_e32 v133, 15, v119
	v_dual_cndmask_b32 v128, 7, v128 :: v_dual_and_b32 v131, 0x80, v131
	s_delay_alu instid0(VALU_DEP_2) | instskip(NEXT) | instid1(VALU_DEP_2)
	v_lshlrev_b32_e32 v133, 3, v133
	v_and_b32_e32 v134, 7, v128
	v_or_b32_e32 v119, v119, v128
	s_delay_alu instid0(VALU_DEP_2) | instskip(NEXT) | instid1(VALU_DEP_2)
	v_or3_b32 v128, v133, v131, v134
	v_cmp_ne_u32_e32 vcc_lo, 0, v119
	s_delay_alu instid0(VALU_DEP_2)
	v_cndmask_b32_e32 v119, 0, v128, vcc_lo
.LBB4_2608:                             ;   in Loop: Header=BB4_2319 Depth=2
	s_or_b32 exec_lo, exec_lo, s28
.LBB4_2609:                             ;   in Loop: Header=BB4_2319 Depth=2
	s_delay_alu instid0(SALU_CYCLE_1) | instskip(NEXT) | instid1(SALU_CYCLE_1)
	s_or_b32 exec_lo, exec_lo, s27
	s_and_not1_b32 vcc_lo, exec_lo, s25
	s_cbranch_vccnz .LBB4_2619
; %bb.2610:                             ;   in Loop: Header=BB4_2319 Depth=2
	v_and_b32_e32 v131, 0xff, v117
	s_mov_b32 s11, 0
	s_mov_b32 s28, exec_lo
                                        ; implicit-def: $sgpr27
	s_delay_alu instid0(VALU_DEP_1)
	v_cmpx_lt_i16_e64 0x7f, v131
	s_xor_b32 s28, exec_lo, s28
	s_cbranch_execnz .LBB4_2941
; %bb.2611:                             ;   in Loop: Header=BB4_2319 Depth=2
	s_or_saveexec_b32 s28, s28
	v_mov_b32_e32 v128, s27
	s_xor_b32 exec_lo, exec_lo, s28
	s_cbranch_execnz .LBB4_2944
.LBB4_2612:                             ;   in Loop: Header=BB4_2319 Depth=2
	s_or_b32 exec_lo, exec_lo, s28
	s_and_saveexec_b32 s27, s11
	s_cbranch_execz .LBB4_2614
.LBB4_2613:                             ;   in Loop: Header=BB4_2319 Depth=2
	v_lshrrev_b16 v134, 3, v117
	v_lshlrev_b32_e32 v135, 24, v117
	s_delay_alu instid0(VALU_DEP_2) | instskip(NEXT) | instid1(VALU_DEP_1)
	v_and_b32_e32 v134, 15, v134
	v_cmp_eq_u32_e32 vcc_lo, 0, v134
	v_and_b32_e32 v128, 7, v117
	s_delay_alu instid0(VALU_DEP_1) | instskip(NEXT) | instid1(VALU_DEP_1)
	v_clz_i32_u32_e32 v131, v128
	v_min_u32_e32 v131, 32, v131
	s_delay_alu instid0(VALU_DEP_1) | instskip(SKIP_1) | instid1(VALU_DEP_2)
	v_subrev_nc_u32_e32 v133, 28, v131
	v_sub_nc_u32_e32 v131, 29, v131
	v_lshlrev_b32_e32 v133, v133, v117
	s_delay_alu instid0(VALU_DEP_2) | instskip(NEXT) | instid1(VALU_DEP_2)
	v_cndmask_b32_e32 v131, v134, v131, vcc_lo
	v_and_b32_e32 v133, 7, v133
	s_delay_alu instid0(VALU_DEP_2) | instskip(NEXT) | instid1(VALU_DEP_2)
	v_lshl_add_u32 v131, v131, 23, 0x3b800000
	v_dual_cndmask_b32 v128, v128, v133 :: v_dual_and_b32 v133, 0x80000000, v135
	s_delay_alu instid0(VALU_DEP_1) | instskip(NEXT) | instid1(VALU_DEP_1)
	v_lshlrev_b32_e32 v128, 20, v128
	v_or3_b32 v128, v133, v131, v128
.LBB4_2614:                             ;   in Loop: Header=BB4_2319 Depth=2
	s_or_b32 exec_lo, exec_lo, s27
	s_waitcnt vmcnt(5) lgkmcnt(5)
	v_and_b32_e32 v133, 0xff, v116
	s_mov_b32 s11, 0
	s_mov_b32 s28, exec_lo
                                        ; implicit-def: $sgpr27
	s_delay_alu instid0(VALU_DEP_1)
	v_cmpx_lt_i16_e64 0x7f, v133
	s_xor_b32 s28, exec_lo, s28
	s_cbranch_execnz .LBB4_2945
; %bb.2615:                             ;   in Loop: Header=BB4_2319 Depth=2
	s_or_saveexec_b32 s28, s28
	v_mov_b32_e32 v131, s27
	s_xor_b32 exec_lo, exec_lo, s28
	s_cbranch_execnz .LBB4_2948
.LBB4_2616:                             ;   in Loop: Header=BB4_2319 Depth=2
	s_or_b32 exec_lo, exec_lo, s28
	s_and_saveexec_b32 s27, s11
	s_cbranch_execz .LBB4_2618
.LBB4_2617:                             ;   in Loop: Header=BB4_2319 Depth=2
	v_and_b32_e32 v131, 7, v116
	v_lshrrev_b16 v135, 3, v116
	s_delay_alu instid0(VALU_DEP_2) | instskip(NEXT) | instid1(VALU_DEP_2)
	v_clz_i32_u32_e32 v133, v131
	v_and_b32_e32 v135, 15, v135
	s_delay_alu instid0(VALU_DEP_2) | instskip(NEXT) | instid1(VALU_DEP_2)
	v_min_u32_e32 v133, 32, v133
	v_cmp_eq_u32_e32 vcc_lo, 0, v135
	s_delay_alu instid0(VALU_DEP_2) | instskip(SKIP_1) | instid1(VALU_DEP_1)
	v_subrev_nc_u32_e32 v134, 28, v133
	v_sub_nc_u32_e32 v133, 29, v133
	v_dual_cndmask_b32 v133, v135, v133 :: v_dual_lshlrev_b32 v134, v134, v116
	s_delay_alu instid0(VALU_DEP_1) | instskip(SKIP_1) | instid1(VALU_DEP_3)
	v_and_b32_e32 v134, 7, v134
	v_lshlrev_b32_e32 v144, 24, v116
	v_lshl_add_u32 v133, v133, 23, 0x3b800000
	s_delay_alu instid0(VALU_DEP_2) | instskip(NEXT) | instid1(VALU_DEP_1)
	v_dual_cndmask_b32 v131, v131, v134 :: v_dual_and_b32 v134, 0x80000000, v144
	v_lshlrev_b32_e32 v131, 20, v131
	s_delay_alu instid0(VALU_DEP_1)
	v_or3_b32 v131, v134, v133, v131
.LBB4_2618:                             ;   in Loop: Header=BB4_2319 Depth=2
	s_or_b32 exec_lo, exec_lo, s27
	s_delay_alu instid0(VALU_DEP_1) | instskip(SKIP_1) | instid1(VALU_DEP_1)
	v_dual_max_f32 v131, v131, v131 :: v_dual_max_f32 v128, v128, v128
	s_mov_b32 s11, 0
	v_max_f32_e32 v128, v128, v131
	s_branch .LBB4_2620
.LBB4_2619:                             ;   in Loop: Header=BB4_2319 Depth=2
	s_mov_b32 s11, -1
                                        ; implicit-def: $vgpr128
.LBB4_2620:                             ;   in Loop: Header=BB4_2319 Depth=2
	s_delay_alu instid0(SALU_CYCLE_1)
	s_and_b32 vcc_lo, exec_lo, s11
	s_cbranch_vccz .LBB4_2630
; %bb.2621:                             ;   in Loop: Header=BB4_2319 Depth=2
	v_and_b32_e32 v131, 0xff, v117
	s_mov_b32 s11, 0
	s_mov_b32 s28, exec_lo
                                        ; implicit-def: $sgpr27
	s_delay_alu instid0(VALU_DEP_1)
	v_cmpx_lt_i16_e64 0x7f, v131
	s_xor_b32 s28, exec_lo, s28
	s_cbranch_execnz .LBB4_2949
; %bb.2622:                             ;   in Loop: Header=BB4_2319 Depth=2
	s_or_saveexec_b32 s28, s28
	v_mov_b32_e32 v128, s27
	s_xor_b32 exec_lo, exec_lo, s28
	s_cbranch_execnz .LBB4_2952
.LBB4_2623:                             ;   in Loop: Header=BB4_2319 Depth=2
	s_or_b32 exec_lo, exec_lo, s28
	s_and_saveexec_b32 s27, s11
	s_cbranch_execz .LBB4_2625
.LBB4_2624:                             ;   in Loop: Header=BB4_2319 Depth=2
	v_lshrrev_b16 v134, 3, v117
	s_delay_alu instid0(VALU_DEP_1) | instskip(NEXT) | instid1(VALU_DEP_1)
	v_and_b32_e32 v134, 15, v134
	v_cmp_eq_u32_e32 vcc_lo, 0, v134
	v_and_b32_e32 v128, 7, v117
	s_delay_alu instid0(VALU_DEP_1) | instskip(NEXT) | instid1(VALU_DEP_1)
	v_clz_i32_u32_e32 v131, v128
	v_min_u32_e32 v131, 32, v131
	s_delay_alu instid0(VALU_DEP_1) | instskip(SKIP_1) | instid1(VALU_DEP_2)
	v_subrev_nc_u32_e32 v133, 28, v131
	v_sub_nc_u32_e32 v131, 29, v131
	v_lshlrev_b32_e32 v133, v133, v117
	s_delay_alu instid0(VALU_DEP_2) | instskip(SKIP_1) | instid1(VALU_DEP_3)
	v_cndmask_b32_e32 v131, v134, v131, vcc_lo
	v_lshlrev_b32_e32 v117, 24, v117
	v_and_b32_e32 v133, 7, v133
	s_delay_alu instid0(VALU_DEP_3) | instskip(NEXT) | instid1(VALU_DEP_3)
	v_lshl_add_u32 v131, v131, 23, 0x3b800000
	v_and_b32_e32 v117, 0x80000000, v117
	s_delay_alu instid0(VALU_DEP_3) | instskip(NEXT) | instid1(VALU_DEP_1)
	v_cndmask_b32_e32 v128, v128, v133, vcc_lo
	v_lshlrev_b32_e32 v128, 20, v128
	s_delay_alu instid0(VALU_DEP_1)
	v_or3_b32 v128, v117, v131, v128
.LBB4_2625:                             ;   in Loop: Header=BB4_2319 Depth=2
	s_or_b32 exec_lo, exec_lo, s27
	s_waitcnt vmcnt(5) lgkmcnt(5)
	v_and_b32_e32 v131, 0xff, v116
	s_mov_b32 s11, 0
	s_mov_b32 s28, exec_lo
                                        ; implicit-def: $sgpr27
	s_delay_alu instid0(VALU_DEP_1)
	v_cmpx_lt_i16_e64 0x7f, v131
	s_xor_b32 s28, exec_lo, s28
	s_cbranch_execnz .LBB4_2953
; %bb.2626:                             ;   in Loop: Header=BB4_2319 Depth=2
	s_or_saveexec_b32 s28, s28
	v_mov_b32_e32 v117, s27
	s_xor_b32 exec_lo, exec_lo, s28
	s_cbranch_execnz .LBB4_2956
.LBB4_2627:                             ;   in Loop: Header=BB4_2319 Depth=2
	s_or_b32 exec_lo, exec_lo, s28
	s_and_saveexec_b32 s27, s11
	s_cbranch_execz .LBB4_2629
.LBB4_2628:                             ;   in Loop: Header=BB4_2319 Depth=2
	v_and_b32_e32 v117, 7, v116
	v_lshrrev_b16 v134, 3, v116
	s_delay_alu instid0(VALU_DEP_2) | instskip(NEXT) | instid1(VALU_DEP_1)
	v_clz_i32_u32_e32 v131, v117
	v_min_u32_e32 v131, 32, v131
	s_delay_alu instid0(VALU_DEP_1) | instskip(SKIP_1) | instid1(VALU_DEP_2)
	v_subrev_nc_u32_e32 v133, 28, v131
	v_sub_nc_u32_e32 v131, 29, v131
	v_lshlrev_b32_e32 v133, v133, v116
	s_delay_alu instid0(VALU_DEP_1) | instskip(SKIP_1) | instid1(VALU_DEP_1)
	v_and_b32_e32 v133, 7, v133
	v_and_b32_e32 v134, 15, v134
	v_cmp_eq_u32_e32 vcc_lo, 0, v134
	s_delay_alu instid0(VALU_DEP_3) | instskip(SKIP_1) | instid1(VALU_DEP_2)
	v_dual_cndmask_b32 v117, v117, v133 :: v_dual_lshlrev_b32 v116, 24, v116
	v_cndmask_b32_e32 v131, v134, v131, vcc_lo
	v_lshlrev_b32_e32 v117, 20, v117
	s_delay_alu instid0(VALU_DEP_3) | instskip(NEXT) | instid1(VALU_DEP_3)
	v_and_b32_e32 v116, 0x80000000, v116
	v_lshl_add_u32 v131, v131, 23, 0x3b800000
	s_delay_alu instid0(VALU_DEP_1)
	v_or3_b32 v117, v116, v131, v117
.LBB4_2629:                             ;   in Loop: Header=BB4_2319 Depth=2
	s_or_b32 exec_lo, exec_lo, s27
	s_delay_alu instid0(VALU_DEP_1) | instskip(NEXT) | instid1(VALU_DEP_1)
	v_dual_max_f32 v116, v117, v117 :: v_dual_max_f32 v117, v128, v128
	v_min_f32_e32 v128, v117, v116
.LBB4_2630:                             ;   in Loop: Header=BB4_2319 Depth=2
	s_waitcnt vmcnt(5) lgkmcnt(5)
	s_delay_alu instid0(VALU_DEP_1) | instskip(NEXT) | instid1(VALU_DEP_1)
	v_and_b32_e32 v116, 0x7f800000, v128
	v_cmp_ne_u32_e32 vcc_lo, 0x7f800000, v116
	v_mov_b32_e32 v116, 0x80
	s_and_saveexec_b32 s27, vcc_lo
	s_cbranch_execz .LBB4_2638
; %bb.2631:                             ;   in Loop: Header=BB4_2319 Depth=2
	v_mov_b32_e32 v116, 0
	s_mov_b32 s28, exec_lo
	v_cmpx_ne_u32_e32 0, v128
	s_cbranch_execz .LBB4_2637
; %bb.2632:                             ;   in Loop: Header=BB4_2319 Depth=2
	v_bfe_u32 v116, v128, 23, 8
	v_and_b32_e32 v117, 0x7fffff, v128
	s_delay_alu instid0(VALU_DEP_2) | instskip(SKIP_1) | instid1(VALU_DEP_3)
	v_sub_nc_u32_e32 v131, 0x78, v116
	v_cmp_gt_u32_e32 vcc_lo, 0x79, v116
	v_or_b32_e32 v133, 0x800000, v117
	s_delay_alu instid0(VALU_DEP_3) | instskip(SKIP_2) | instid1(VALU_DEP_3)
	v_cndmask_b32_e32 v131, 0, v131, vcc_lo
	v_cmp_eq_u32_e32 vcc_lo, 0, v116
	v_add_nc_u32_e32 v116, 0xffffff89, v116
	v_cndmask_b32_e64 v131, v131, 0x77, vcc_lo
	v_cndmask_b32_e32 v117, v133, v117, vcc_lo
	s_delay_alu instid0(VALU_DEP_3) | instskip(NEXT) | instid1(VALU_DEP_3)
	v_cndmask_b32_e64 v116, v116, 0xffffff8a, vcc_lo
	v_lshl_add_u32 v133, 0x100000, v131, -1
	s_delay_alu instid0(VALU_DEP_3) | instskip(SKIP_1) | instid1(VALU_DEP_4)
	v_lshrrev_b32_e32 v134, v131, v117
	v_lshlrev_b32_e64 v144, v131, 0x80000
	v_add_nc_u32_e32 v131, v131, v116
	s_delay_alu instid0(VALU_DEP_4) | instskip(NEXT) | instid1(VALU_DEP_4)
	v_and_b32_e32 v117, v133, v117
	v_bfe_u32 v135, v134, 20, 1
	s_delay_alu instid0(VALU_DEP_2) | instskip(NEXT) | instid1(VALU_DEP_2)
	v_cmp_eq_u32_e64 s11, v117, v144
	v_add_nc_u32_e32 v133, -1, v135
	s_delay_alu instid0(VALU_DEP_1) | instskip(SKIP_2) | instid1(VALU_DEP_2)
	v_cndmask_b32_e64 v117, 0, v133, s11
	v_lshrrev_b32_e32 v133, 23, v134
	s_mov_b32 s11, exec_lo
	v_add_nc_u32_e32 v117, v117, v134
	s_delay_alu instid0(VALU_DEP_2) | instskip(NEXT) | instid1(VALU_DEP_2)
	v_xor_b32_e32 v133, 1, v133
	v_and_b32_e32 v116, 0xfffff, v117
	s_delay_alu instid0(VALU_DEP_1) | instskip(NEXT) | instid1(VALU_DEP_3)
	v_add_nc_u32_e32 v117, v116, v134
                                        ; implicit-def: $vgpr116
	v_cmpx_ne_u32_e64 v131, v133
	s_xor_b32 s11, exec_lo, s11
; %bb.2633:                             ;   in Loop: Header=BB4_2319 Depth=2
	s_delay_alu instid0(VALU_DEP_2) | instskip(SKIP_2) | instid1(VALU_DEP_2)
	v_cmp_lt_u32_e32 vcc_lo, 0xffffff, v117
	v_sub_nc_u32_e32 v116, v131, v133
	v_cndmask_b32_e64 v131, 0, 1, vcc_lo
	v_add_co_ci_u32_e32 v116, vcc_lo, 0, v116, vcc_lo
	s_delay_alu instid0(VALU_DEP_2)
	v_lshrrev_b32_e32 v117, v131, v117
; %bb.2634:                             ;   in Loop: Header=BB4_2319 Depth=2
	s_and_not1_saveexec_b32 s11, s11
; %bb.2635:                             ;   in Loop: Header=BB4_2319 Depth=2
	s_delay_alu instid0(VALU_DEP_1)
	v_bfe_u32 v116, v117, 23, 1
; %bb.2636:                             ;   in Loop: Header=BB4_2319 Depth=2
	s_or_b32 exec_lo, exec_lo, s11
	v_lshrrev_b32_e32 v117, 20, v117
	s_delay_alu instid0(VALU_DEP_2) | instskip(SKIP_2) | instid1(VALU_DEP_2)
	v_cmp_gt_i32_e32 vcc_lo, 16, v116
	v_lshrrev_b32_e32 v128, 24, v128
	v_min_i32_e32 v131, 15, v116
	v_dual_cndmask_b32 v117, 7, v117 :: v_dual_and_b32 v128, 0x80, v128
	s_delay_alu instid0(VALU_DEP_1) | instskip(SKIP_1) | instid1(VALU_DEP_2)
	v_or_b32_e32 v116, v116, v117
	v_and_b32_e32 v133, 7, v117
	v_cmp_ne_u32_e32 vcc_lo, 0, v116
	v_lshlrev_b32_e32 v131, 3, v131
	s_delay_alu instid0(VALU_DEP_1) | instskip(NEXT) | instid1(VALU_DEP_1)
	v_or3_b32 v117, v131, v128, v133
	v_cndmask_b32_e32 v116, 0, v117, vcc_lo
.LBB4_2637:                             ;   in Loop: Header=BB4_2319 Depth=2
	s_or_b32 exec_lo, exec_lo, s28
.LBB4_2638:                             ;   in Loop: Header=BB4_2319 Depth=2
	s_delay_alu instid0(SALU_CYCLE_1) | instskip(NEXT) | instid1(SALU_CYCLE_1)
	s_or_b32 exec_lo, exec_lo, s27
	s_and_not1_b32 vcc_lo, exec_lo, s25
	s_cbranch_vccnz .LBB4_2648
; %bb.2639:                             ;   in Loop: Header=BB4_2319 Depth=2
	v_and_b32_e32 v128, 0xff, v114
	s_mov_b32 s11, 0
	s_mov_b32 s28, exec_lo
                                        ; implicit-def: $sgpr27
	s_delay_alu instid0(VALU_DEP_1)
	v_cmpx_lt_i16_e64 0x7f, v128
	s_xor_b32 s28, exec_lo, s28
	s_cbranch_execnz .LBB4_2957
; %bb.2640:                             ;   in Loop: Header=BB4_2319 Depth=2
	s_or_saveexec_b32 s28, s28
	v_mov_b32_e32 v117, s27
	s_xor_b32 exec_lo, exec_lo, s28
	s_cbranch_execnz .LBB4_2960
.LBB4_2641:                             ;   in Loop: Header=BB4_2319 Depth=2
	s_or_b32 exec_lo, exec_lo, s28
	s_and_saveexec_b32 s27, s11
	s_cbranch_execz .LBB4_2643
.LBB4_2642:                             ;   in Loop: Header=BB4_2319 Depth=2
	v_lshrrev_b16 v133, 3, v114
	s_delay_alu instid0(VALU_DEP_1) | instskip(NEXT) | instid1(VALU_DEP_1)
	v_and_b32_e32 v133, 15, v133
	v_cmp_eq_u32_e32 vcc_lo, 0, v133
	v_and_b32_e32 v117, 7, v114
	s_delay_alu instid0(VALU_DEP_1) | instskip(NEXT) | instid1(VALU_DEP_1)
	v_clz_i32_u32_e32 v128, v117
	v_min_u32_e32 v128, 32, v128
	s_delay_alu instid0(VALU_DEP_1) | instskip(SKIP_1) | instid1(VALU_DEP_1)
	v_subrev_nc_u32_e32 v131, 28, v128
	v_sub_nc_u32_e32 v128, 29, v128
	v_dual_cndmask_b32 v128, v133, v128 :: v_dual_lshlrev_b32 v131, v131, v114
	s_delay_alu instid0(VALU_DEP_1) | instskip(SKIP_1) | instid1(VALU_DEP_3)
	v_and_b32_e32 v131, 7, v131
	v_lshlrev_b32_e32 v134, 24, v114
	v_lshl_add_u32 v128, v128, 23, 0x3b800000
	s_delay_alu instid0(VALU_DEP_3) | instskip(NEXT) | instid1(VALU_DEP_3)
	v_cndmask_b32_e32 v117, v117, v131, vcc_lo
	v_and_b32_e32 v131, 0x80000000, v134
	s_delay_alu instid0(VALU_DEP_2) | instskip(NEXT) | instid1(VALU_DEP_1)
	v_lshlrev_b32_e32 v117, 20, v117
	v_or3_b32 v117, v131, v128, v117
.LBB4_2643:                             ;   in Loop: Header=BB4_2319 Depth=2
	s_or_b32 exec_lo, exec_lo, s27
	s_waitcnt vmcnt(4) lgkmcnt(4)
	v_and_b32_e32 v131, 0xff, v113
	s_mov_b32 s11, 0
	s_mov_b32 s28, exec_lo
                                        ; implicit-def: $sgpr27
	s_delay_alu instid0(VALU_DEP_1)
	v_cmpx_lt_i16_e64 0x7f, v131
	s_xor_b32 s28, exec_lo, s28
	s_cbranch_execnz .LBB4_2961
; %bb.2644:                             ;   in Loop: Header=BB4_2319 Depth=2
	s_or_saveexec_b32 s28, s28
	v_mov_b32_e32 v128, s27
	s_xor_b32 exec_lo, exec_lo, s28
	s_cbranch_execnz .LBB4_2964
.LBB4_2645:                             ;   in Loop: Header=BB4_2319 Depth=2
	s_or_b32 exec_lo, exec_lo, s28
	s_and_saveexec_b32 s27, s11
	s_cbranch_execz .LBB4_2647
.LBB4_2646:                             ;   in Loop: Header=BB4_2319 Depth=2
	v_lshrrev_b16 v134, 3, v113
	v_lshlrev_b32_e32 v135, 24, v113
	s_delay_alu instid0(VALU_DEP_2) | instskip(NEXT) | instid1(VALU_DEP_1)
	v_and_b32_e32 v134, 15, v134
	v_cmp_eq_u32_e32 vcc_lo, 0, v134
	v_and_b32_e32 v128, 7, v113
	s_delay_alu instid0(VALU_DEP_1) | instskip(NEXT) | instid1(VALU_DEP_1)
	v_clz_i32_u32_e32 v131, v128
	v_min_u32_e32 v131, 32, v131
	s_delay_alu instid0(VALU_DEP_1) | instskip(SKIP_1) | instid1(VALU_DEP_2)
	v_subrev_nc_u32_e32 v133, 28, v131
	v_sub_nc_u32_e32 v131, 29, v131
	v_lshlrev_b32_e32 v133, v133, v113
	s_delay_alu instid0(VALU_DEP_2) | instskip(NEXT) | instid1(VALU_DEP_2)
	v_cndmask_b32_e32 v131, v134, v131, vcc_lo
	v_and_b32_e32 v133, 7, v133
	s_delay_alu instid0(VALU_DEP_2) | instskip(NEXT) | instid1(VALU_DEP_2)
	v_lshl_add_u32 v131, v131, 23, 0x3b800000
	v_dual_cndmask_b32 v128, v128, v133 :: v_dual_and_b32 v133, 0x80000000, v135
	s_delay_alu instid0(VALU_DEP_1) | instskip(NEXT) | instid1(VALU_DEP_1)
	v_lshlrev_b32_e32 v128, 20, v128
	v_or3_b32 v128, v133, v131, v128
.LBB4_2647:                             ;   in Loop: Header=BB4_2319 Depth=2
	s_or_b32 exec_lo, exec_lo, s27
	s_delay_alu instid0(VALU_DEP_1) | instskip(SKIP_1) | instid1(VALU_DEP_1)
	v_dual_max_f32 v128, v128, v128 :: v_dual_max_f32 v117, v117, v117
	s_mov_b32 s11, 0
	v_max_f32_e32 v117, v117, v128
	s_branch .LBB4_2649
.LBB4_2648:                             ;   in Loop: Header=BB4_2319 Depth=2
	s_mov_b32 s11, -1
                                        ; implicit-def: $vgpr117
.LBB4_2649:                             ;   in Loop: Header=BB4_2319 Depth=2
	s_delay_alu instid0(SALU_CYCLE_1)
	s_and_b32 vcc_lo, exec_lo, s11
	s_cbranch_vccz .LBB4_2659
; %bb.2650:                             ;   in Loop: Header=BB4_2319 Depth=2
	v_and_b32_e32 v128, 0xff, v114
	s_mov_b32 s11, 0
	s_mov_b32 s28, exec_lo
                                        ; implicit-def: $sgpr27
	s_delay_alu instid0(VALU_DEP_1)
	v_cmpx_lt_i16_e64 0x7f, v128
	s_xor_b32 s28, exec_lo, s28
	s_cbranch_execnz .LBB4_2965
; %bb.2651:                             ;   in Loop: Header=BB4_2319 Depth=2
	s_or_saveexec_b32 s28, s28
	v_mov_b32_e32 v117, s27
	s_xor_b32 exec_lo, exec_lo, s28
	s_cbranch_execnz .LBB4_2968
.LBB4_2652:                             ;   in Loop: Header=BB4_2319 Depth=2
	s_or_b32 exec_lo, exec_lo, s28
	s_and_saveexec_b32 s27, s11
	s_cbranch_execz .LBB4_2654
.LBB4_2653:                             ;   in Loop: Header=BB4_2319 Depth=2
	v_lshrrev_b16 v133, 3, v114
	s_delay_alu instid0(VALU_DEP_1) | instskip(NEXT) | instid1(VALU_DEP_1)
	v_and_b32_e32 v133, 15, v133
	v_cmp_eq_u32_e32 vcc_lo, 0, v133
	v_and_b32_e32 v117, 7, v114
	s_delay_alu instid0(VALU_DEP_1) | instskip(NEXT) | instid1(VALU_DEP_1)
	v_clz_i32_u32_e32 v128, v117
	v_min_u32_e32 v128, 32, v128
	s_delay_alu instid0(VALU_DEP_1) | instskip(SKIP_1) | instid1(VALU_DEP_1)
	v_subrev_nc_u32_e32 v131, 28, v128
	v_sub_nc_u32_e32 v128, 29, v128
	v_dual_cndmask_b32 v128, v133, v128 :: v_dual_lshlrev_b32 v131, v131, v114
	s_delay_alu instid0(VALU_DEP_1) | instskip(SKIP_1) | instid1(VALU_DEP_3)
	v_and_b32_e32 v131, 7, v131
	v_lshlrev_b32_e32 v114, 24, v114
	v_lshl_add_u32 v128, v128, 23, 0x3b800000
	s_delay_alu instid0(VALU_DEP_2) | instskip(NEXT) | instid1(VALU_DEP_1)
	v_dual_cndmask_b32 v117, v117, v131 :: v_dual_and_b32 v114, 0x80000000, v114
	v_lshlrev_b32_e32 v117, 20, v117
	s_delay_alu instid0(VALU_DEP_1)
	v_or3_b32 v117, v114, v128, v117
.LBB4_2654:                             ;   in Loop: Header=BB4_2319 Depth=2
	s_or_b32 exec_lo, exec_lo, s27
	s_waitcnt vmcnt(4) lgkmcnt(4)
	v_and_b32_e32 v128, 0xff, v113
	s_mov_b32 s11, 0
	s_mov_b32 s28, exec_lo
                                        ; implicit-def: $sgpr27
	s_delay_alu instid0(VALU_DEP_1)
	v_cmpx_lt_i16_e64 0x7f, v128
	s_xor_b32 s28, exec_lo, s28
	s_cbranch_execnz .LBB4_2969
; %bb.2655:                             ;   in Loop: Header=BB4_2319 Depth=2
	s_or_saveexec_b32 s28, s28
	v_mov_b32_e32 v114, s27
	s_xor_b32 exec_lo, exec_lo, s28
	s_cbranch_execnz .LBB4_2972
.LBB4_2656:                             ;   in Loop: Header=BB4_2319 Depth=2
	s_or_b32 exec_lo, exec_lo, s28
	s_and_saveexec_b32 s27, s11
	s_cbranch_execz .LBB4_2658
.LBB4_2657:                             ;   in Loop: Header=BB4_2319 Depth=2
	v_and_b32_e32 v114, 7, v113
	v_lshrrev_b16 v133, 3, v113
	s_delay_alu instid0(VALU_DEP_2) | instskip(NEXT) | instid1(VALU_DEP_2)
	v_clz_i32_u32_e32 v128, v114
	v_and_b32_e32 v133, 15, v133
	s_delay_alu instid0(VALU_DEP_2) | instskip(NEXT) | instid1(VALU_DEP_2)
	v_min_u32_e32 v128, 32, v128
	v_cmp_eq_u32_e32 vcc_lo, 0, v133
	s_delay_alu instid0(VALU_DEP_2) | instskip(SKIP_1) | instid1(VALU_DEP_1)
	v_subrev_nc_u32_e32 v131, 28, v128
	v_sub_nc_u32_e32 v128, 29, v128
	v_dual_cndmask_b32 v128, v133, v128 :: v_dual_lshlrev_b32 v131, v131, v113
	v_lshlrev_b32_e32 v113, 24, v113
	s_delay_alu instid0(VALU_DEP_2) | instskip(NEXT) | instid1(VALU_DEP_3)
	v_and_b32_e32 v131, 7, v131
	v_lshl_add_u32 v128, v128, 23, 0x3b800000
	s_delay_alu instid0(VALU_DEP_2) | instskip(NEXT) | instid1(VALU_DEP_1)
	v_dual_cndmask_b32 v114, v114, v131 :: v_dual_and_b32 v113, 0x80000000, v113
	v_lshlrev_b32_e32 v114, 20, v114
	s_delay_alu instid0(VALU_DEP_1)
	v_or3_b32 v114, v113, v128, v114
.LBB4_2658:                             ;   in Loop: Header=BB4_2319 Depth=2
	s_or_b32 exec_lo, exec_lo, s27
	s_delay_alu instid0(VALU_DEP_1) | instskip(NEXT) | instid1(VALU_DEP_1)
	v_dual_max_f32 v113, v114, v114 :: v_dual_max_f32 v114, v117, v117
	v_min_f32_e32 v117, v114, v113
.LBB4_2659:                             ;   in Loop: Header=BB4_2319 Depth=2
	s_waitcnt vmcnt(4) lgkmcnt(4)
	s_delay_alu instid0(VALU_DEP_1) | instskip(NEXT) | instid1(VALU_DEP_1)
	v_and_b32_e32 v113, 0x7f800000, v117
	v_cmp_ne_u32_e32 vcc_lo, 0x7f800000, v113
	v_mov_b32_e32 v113, 0x80
	s_and_saveexec_b32 s27, vcc_lo
	s_cbranch_execz .LBB4_2667
; %bb.2660:                             ;   in Loop: Header=BB4_2319 Depth=2
	v_mov_b32_e32 v113, 0
	s_mov_b32 s28, exec_lo
	v_cmpx_ne_u32_e32 0, v117
	s_cbranch_execz .LBB4_2666
; %bb.2661:                             ;   in Loop: Header=BB4_2319 Depth=2
	v_bfe_u32 v113, v117, 23, 8
	v_and_b32_e32 v114, 0x7fffff, v117
	s_delay_alu instid0(VALU_DEP_2) | instskip(SKIP_1) | instid1(VALU_DEP_3)
	v_sub_nc_u32_e32 v128, 0x78, v113
	v_cmp_gt_u32_e32 vcc_lo, 0x79, v113
	v_or_b32_e32 v131, 0x800000, v114
	s_delay_alu instid0(VALU_DEP_3) | instskip(SKIP_2) | instid1(VALU_DEP_3)
	v_cndmask_b32_e32 v128, 0, v128, vcc_lo
	v_cmp_eq_u32_e32 vcc_lo, 0, v113
	v_add_nc_u32_e32 v113, 0xffffff89, v113
	v_cndmask_b32_e64 v128, v128, 0x77, vcc_lo
	v_cndmask_b32_e32 v114, v131, v114, vcc_lo
	s_delay_alu instid0(VALU_DEP_3) | instskip(NEXT) | instid1(VALU_DEP_3)
	v_cndmask_b32_e64 v113, v113, 0xffffff8a, vcc_lo
	v_lshl_add_u32 v131, 0x100000, v128, -1
	s_delay_alu instid0(VALU_DEP_3) | instskip(SKIP_1) | instid1(VALU_DEP_4)
	v_lshrrev_b32_e32 v133, v128, v114
	v_lshlrev_b32_e64 v135, v128, 0x80000
	v_add_nc_u32_e32 v128, v128, v113
	s_delay_alu instid0(VALU_DEP_4) | instskip(NEXT) | instid1(VALU_DEP_4)
	v_and_b32_e32 v114, v131, v114
	v_bfe_u32 v134, v133, 20, 1
	s_delay_alu instid0(VALU_DEP_2) | instskip(NEXT) | instid1(VALU_DEP_2)
	v_cmp_eq_u32_e64 s11, v114, v135
	v_add_nc_u32_e32 v131, -1, v134
	s_delay_alu instid0(VALU_DEP_1) | instskip(SKIP_2) | instid1(VALU_DEP_2)
	v_cndmask_b32_e64 v114, 0, v131, s11
	v_lshrrev_b32_e32 v131, 23, v133
	s_mov_b32 s11, exec_lo
	v_add_nc_u32_e32 v114, v114, v133
	s_delay_alu instid0(VALU_DEP_2) | instskip(NEXT) | instid1(VALU_DEP_2)
	v_xor_b32_e32 v131, 1, v131
	v_and_b32_e32 v113, 0xfffff, v114
	s_delay_alu instid0(VALU_DEP_1) | instskip(NEXT) | instid1(VALU_DEP_3)
	v_add_nc_u32_e32 v114, v113, v133
                                        ; implicit-def: $vgpr113
	v_cmpx_ne_u32_e64 v128, v131
	s_xor_b32 s11, exec_lo, s11
; %bb.2662:                             ;   in Loop: Header=BB4_2319 Depth=2
	s_delay_alu instid0(VALU_DEP_2) | instskip(SKIP_2) | instid1(VALU_DEP_2)
	v_cmp_lt_u32_e32 vcc_lo, 0xffffff, v114
	v_sub_nc_u32_e32 v113, v128, v131
	v_cndmask_b32_e64 v128, 0, 1, vcc_lo
	v_add_co_ci_u32_e32 v113, vcc_lo, 0, v113, vcc_lo
	s_delay_alu instid0(VALU_DEP_2)
	v_lshrrev_b32_e32 v114, v128, v114
; %bb.2663:                             ;   in Loop: Header=BB4_2319 Depth=2
	s_and_not1_saveexec_b32 s11, s11
; %bb.2664:                             ;   in Loop: Header=BB4_2319 Depth=2
	s_delay_alu instid0(VALU_DEP_1)
	v_bfe_u32 v113, v114, 23, 1
; %bb.2665:                             ;   in Loop: Header=BB4_2319 Depth=2
	s_or_b32 exec_lo, exec_lo, s11
	v_lshrrev_b32_e32 v114, 20, v114
	s_delay_alu instid0(VALU_DEP_2) | instskip(SKIP_2) | instid1(VALU_DEP_2)
	v_cmp_gt_i32_e32 vcc_lo, 16, v113
	v_lshrrev_b32_e32 v117, 24, v117
	v_min_i32_e32 v128, 15, v113
	v_dual_cndmask_b32 v114, 7, v114 :: v_dual_and_b32 v117, 0x80, v117
	s_delay_alu instid0(VALU_DEP_1) | instskip(SKIP_1) | instid1(VALU_DEP_2)
	v_or_b32_e32 v113, v113, v114
	v_and_b32_e32 v131, 7, v114
	v_cmp_ne_u32_e32 vcc_lo, 0, v113
	v_lshlrev_b32_e32 v128, 3, v128
	s_delay_alu instid0(VALU_DEP_1) | instskip(NEXT) | instid1(VALU_DEP_1)
	v_or3_b32 v114, v128, v117, v131
	v_cndmask_b32_e32 v113, 0, v114, vcc_lo
.LBB4_2666:                             ;   in Loop: Header=BB4_2319 Depth=2
	s_or_b32 exec_lo, exec_lo, s28
.LBB4_2667:                             ;   in Loop: Header=BB4_2319 Depth=2
	s_delay_alu instid0(SALU_CYCLE_1) | instskip(NEXT) | instid1(SALU_CYCLE_1)
	s_or_b32 exec_lo, exec_lo, s27
	s_and_not1_b32 vcc_lo, exec_lo, s25
	s_cbranch_vccnz .LBB4_2677
; %bb.2668:                             ;   in Loop: Header=BB4_2319 Depth=2
	v_and_b32_e32 v117, 0xff, v71
	s_mov_b32 s11, 0
	s_mov_b32 s28, exec_lo
                                        ; implicit-def: $sgpr27
	s_delay_alu instid0(VALU_DEP_1)
	v_cmpx_lt_i16_e32 0x7f, v117
	s_xor_b32 s28, exec_lo, s28
	s_cbranch_execnz .LBB4_2973
; %bb.2669:                             ;   in Loop: Header=BB4_2319 Depth=2
	s_or_saveexec_b32 s28, s28
	v_mov_b32_e32 v114, s27
	s_xor_b32 exec_lo, exec_lo, s28
	s_cbranch_execnz .LBB4_2976
.LBB4_2670:                             ;   in Loop: Header=BB4_2319 Depth=2
	s_or_b32 exec_lo, exec_lo, s28
	s_and_saveexec_b32 s27, s11
	s_cbranch_execz .LBB4_2672
.LBB4_2671:                             ;   in Loop: Header=BB4_2319 Depth=2
	v_lshrrev_b16 v131, 3, v71
	v_lshlrev_b32_e32 v133, 24, v71
	s_delay_alu instid0(VALU_DEP_2) | instskip(NEXT) | instid1(VALU_DEP_1)
	v_and_b32_e32 v131, 15, v131
	v_cmp_eq_u32_e32 vcc_lo, 0, v131
	v_and_b32_e32 v114, 7, v71
	s_delay_alu instid0(VALU_DEP_1) | instskip(NEXT) | instid1(VALU_DEP_1)
	v_clz_i32_u32_e32 v117, v114
	v_min_u32_e32 v117, 32, v117
	s_delay_alu instid0(VALU_DEP_1) | instskip(SKIP_1) | instid1(VALU_DEP_1)
	v_subrev_nc_u32_e32 v128, 28, v117
	v_sub_nc_u32_e32 v117, 29, v117
	v_dual_cndmask_b32 v117, v131, v117 :: v_dual_lshlrev_b32 v128, v128, v71
	s_delay_alu instid0(VALU_DEP_1) | instskip(NEXT) | instid1(VALU_DEP_2)
	v_and_b32_e32 v128, 7, v128
	v_lshl_add_u32 v117, v117, 23, 0x3b800000
	s_delay_alu instid0(VALU_DEP_2) | instskip(SKIP_1) | instid1(VALU_DEP_2)
	v_cndmask_b32_e32 v114, v114, v128, vcc_lo
	v_and_b32_e32 v128, 0x80000000, v133
	v_lshlrev_b32_e32 v114, 20, v114
	s_delay_alu instid0(VALU_DEP_1)
	v_or3_b32 v114, v128, v117, v114
.LBB4_2672:                             ;   in Loop: Header=BB4_2319 Depth=2
	s_or_b32 exec_lo, exec_lo, s27
	s_waitcnt vmcnt(3) lgkmcnt(3)
	v_and_b32_e32 v128, 0xff, v70
	s_mov_b32 s11, 0
	s_mov_b32 s28, exec_lo
                                        ; implicit-def: $sgpr27
	s_delay_alu instid0(VALU_DEP_1)
	v_cmpx_lt_i16_e64 0x7f, v128
	s_xor_b32 s28, exec_lo, s28
	s_cbranch_execnz .LBB4_2977
; %bb.2673:                             ;   in Loop: Header=BB4_2319 Depth=2
	s_or_saveexec_b32 s28, s28
	v_mov_b32_e32 v117, s27
	s_xor_b32 exec_lo, exec_lo, s28
	s_cbranch_execnz .LBB4_2980
.LBB4_2674:                             ;   in Loop: Header=BB4_2319 Depth=2
	s_or_b32 exec_lo, exec_lo, s28
	s_and_saveexec_b32 s27, s11
	s_cbranch_execz .LBB4_2676
.LBB4_2675:                             ;   in Loop: Header=BB4_2319 Depth=2
	v_lshrrev_b16 v133, 3, v70
	s_delay_alu instid0(VALU_DEP_1) | instskip(NEXT) | instid1(VALU_DEP_1)
	v_and_b32_e32 v133, 15, v133
	v_cmp_eq_u32_e32 vcc_lo, 0, v133
	v_and_b32_e32 v117, 7, v70
	s_delay_alu instid0(VALU_DEP_1) | instskip(NEXT) | instid1(VALU_DEP_1)
	v_clz_i32_u32_e32 v128, v117
	v_min_u32_e32 v128, 32, v128
	s_delay_alu instid0(VALU_DEP_1) | instskip(SKIP_1) | instid1(VALU_DEP_1)
	v_subrev_nc_u32_e32 v131, 28, v128
	v_sub_nc_u32_e32 v128, 29, v128
	v_dual_cndmask_b32 v128, v133, v128 :: v_dual_lshlrev_b32 v131, v131, v70
	s_delay_alu instid0(VALU_DEP_1) | instskip(SKIP_1) | instid1(VALU_DEP_3)
	v_and_b32_e32 v131, 7, v131
	v_lshlrev_b32_e32 v134, 24, v70
	v_lshl_add_u32 v128, v128, 23, 0x3b800000
	s_delay_alu instid0(VALU_DEP_3) | instskip(NEXT) | instid1(VALU_DEP_3)
	v_cndmask_b32_e32 v117, v117, v131, vcc_lo
	v_and_b32_e32 v131, 0x80000000, v134
	s_delay_alu instid0(VALU_DEP_2) | instskip(NEXT) | instid1(VALU_DEP_1)
	v_lshlrev_b32_e32 v117, 20, v117
	v_or3_b32 v117, v131, v128, v117
.LBB4_2676:                             ;   in Loop: Header=BB4_2319 Depth=2
	s_or_b32 exec_lo, exec_lo, s27
	s_delay_alu instid0(VALU_DEP_1) | instskip(SKIP_1) | instid1(VALU_DEP_1)
	v_dual_max_f32 v117, v117, v117 :: v_dual_max_f32 v114, v114, v114
	s_mov_b32 s11, 0
	v_max_f32_e32 v114, v114, v117
	s_branch .LBB4_2678
.LBB4_2677:                             ;   in Loop: Header=BB4_2319 Depth=2
	s_mov_b32 s11, -1
                                        ; implicit-def: $vgpr114
.LBB4_2678:                             ;   in Loop: Header=BB4_2319 Depth=2
	s_delay_alu instid0(SALU_CYCLE_1)
	s_and_b32 vcc_lo, exec_lo, s11
	s_cbranch_vccz .LBB4_2688
; %bb.2679:                             ;   in Loop: Header=BB4_2319 Depth=2
	v_and_b32_e32 v117, 0xff, v71
	s_mov_b32 s11, 0
	s_mov_b32 s28, exec_lo
                                        ; implicit-def: $sgpr27
	s_delay_alu instid0(VALU_DEP_1)
	v_cmpx_lt_i16_e32 0x7f, v117
	s_xor_b32 s28, exec_lo, s28
	s_cbranch_execnz .LBB4_2981
; %bb.2680:                             ;   in Loop: Header=BB4_2319 Depth=2
	s_or_saveexec_b32 s28, s28
	v_mov_b32_e32 v114, s27
	s_xor_b32 exec_lo, exec_lo, s28
	s_cbranch_execnz .LBB4_2984
.LBB4_2681:                             ;   in Loop: Header=BB4_2319 Depth=2
	s_or_b32 exec_lo, exec_lo, s28
	s_and_saveexec_b32 s27, s11
	s_cbranch_execz .LBB4_2683
.LBB4_2682:                             ;   in Loop: Header=BB4_2319 Depth=2
	v_lshrrev_b16 v131, 3, v71
	s_delay_alu instid0(VALU_DEP_1) | instskip(NEXT) | instid1(VALU_DEP_1)
	v_and_b32_e32 v131, 15, v131
	v_cmp_eq_u32_e32 vcc_lo, 0, v131
	v_and_b32_e32 v114, 7, v71
	s_delay_alu instid0(VALU_DEP_1) | instskip(NEXT) | instid1(VALU_DEP_1)
	v_clz_i32_u32_e32 v117, v114
	v_min_u32_e32 v117, 32, v117
	s_delay_alu instid0(VALU_DEP_1) | instskip(SKIP_1) | instid1(VALU_DEP_1)
	v_subrev_nc_u32_e32 v128, 28, v117
	v_sub_nc_u32_e32 v117, 29, v117
	v_dual_cndmask_b32 v117, v131, v117 :: v_dual_lshlrev_b32 v128, v128, v71
	v_lshlrev_b32_e32 v71, 24, v71
	s_delay_alu instid0(VALU_DEP_2) | instskip(NEXT) | instid1(VALU_DEP_3)
	v_and_b32_e32 v128, 7, v128
	v_lshl_add_u32 v117, v117, 23, 0x3b800000
	s_delay_alu instid0(VALU_DEP_2) | instskip(NEXT) | instid1(VALU_DEP_1)
	v_dual_cndmask_b32 v114, v114, v128 :: v_dual_and_b32 v71, 0x80000000, v71
	v_lshlrev_b32_e32 v114, 20, v114
	s_delay_alu instid0(VALU_DEP_1)
	v_or3_b32 v114, v71, v117, v114
.LBB4_2683:                             ;   in Loop: Header=BB4_2319 Depth=2
	s_or_b32 exec_lo, exec_lo, s27
	s_waitcnt vmcnt(3) lgkmcnt(3)
	v_and_b32_e32 v117, 0xff, v70
	s_mov_b32 s11, 0
	s_mov_b32 s28, exec_lo
                                        ; implicit-def: $sgpr27
	s_delay_alu instid0(VALU_DEP_1)
	v_cmpx_lt_i16_e32 0x7f, v117
	s_xor_b32 s28, exec_lo, s28
	s_cbranch_execnz .LBB4_2985
; %bb.2684:                             ;   in Loop: Header=BB4_2319 Depth=2
	s_or_saveexec_b32 s28, s28
	v_mov_b32_e32 v71, s27
	s_xor_b32 exec_lo, exec_lo, s28
	s_cbranch_execnz .LBB4_2988
.LBB4_2685:                             ;   in Loop: Header=BB4_2319 Depth=2
	s_or_b32 exec_lo, exec_lo, s28
	s_and_saveexec_b32 s27, s11
	s_cbranch_execz .LBB4_2687
.LBB4_2686:                             ;   in Loop: Header=BB4_2319 Depth=2
	v_and_b32_e32 v71, 7, v70
	v_lshrrev_b16 v131, 3, v70
	s_delay_alu instid0(VALU_DEP_2) | instskip(NEXT) | instid1(VALU_DEP_2)
	v_clz_i32_u32_e32 v117, v71
	v_and_b32_e32 v131, 15, v131
	s_delay_alu instid0(VALU_DEP_2) | instskip(NEXT) | instid1(VALU_DEP_2)
	v_min_u32_e32 v117, 32, v117
	v_cmp_eq_u32_e32 vcc_lo, 0, v131
	s_delay_alu instid0(VALU_DEP_2) | instskip(SKIP_1) | instid1(VALU_DEP_1)
	v_subrev_nc_u32_e32 v128, 28, v117
	v_sub_nc_u32_e32 v117, 29, v117
	v_dual_cndmask_b32 v117, v131, v117 :: v_dual_lshlrev_b32 v128, v128, v70
	s_delay_alu instid0(VALU_DEP_1) | instskip(SKIP_1) | instid1(VALU_DEP_3)
	v_and_b32_e32 v128, 7, v128
	v_lshlrev_b32_e32 v70, 24, v70
	v_lshl_add_u32 v117, v117, 23, 0x3b800000
	s_delay_alu instid0(VALU_DEP_2) | instskip(NEXT) | instid1(VALU_DEP_1)
	v_dual_cndmask_b32 v71, v71, v128 :: v_dual_and_b32 v70, 0x80000000, v70
	v_lshlrev_b32_e32 v71, 20, v71
	s_delay_alu instid0(VALU_DEP_1)
	v_or3_b32 v71, v70, v117, v71
.LBB4_2687:                             ;   in Loop: Header=BB4_2319 Depth=2
	s_or_b32 exec_lo, exec_lo, s27
	s_delay_alu instid0(VALU_DEP_1) | instskip(NEXT) | instid1(VALU_DEP_1)
	v_dual_max_f32 v70, v71, v71 :: v_dual_max_f32 v71, v114, v114
	v_min_f32_e32 v114, v71, v70
.LBB4_2688:                             ;   in Loop: Header=BB4_2319 Depth=2
	s_waitcnt vmcnt(3) lgkmcnt(3)
	s_delay_alu instid0(VALU_DEP_1) | instskip(NEXT) | instid1(VALU_DEP_1)
	v_and_b32_e32 v70, 0x7f800000, v114
	v_cmp_ne_u32_e32 vcc_lo, 0x7f800000, v70
	v_mov_b32_e32 v70, 0x80
	s_and_saveexec_b32 s27, vcc_lo
	s_cbranch_execz .LBB4_2696
; %bb.2689:                             ;   in Loop: Header=BB4_2319 Depth=2
	v_mov_b32_e32 v70, 0
	s_mov_b32 s28, exec_lo
	v_cmpx_ne_u32_e32 0, v114
	s_cbranch_execz .LBB4_2695
; %bb.2690:                             ;   in Loop: Header=BB4_2319 Depth=2
	v_bfe_u32 v70, v114, 23, 8
	v_and_b32_e32 v71, 0x7fffff, v114
	s_delay_alu instid0(VALU_DEP_2) | instskip(SKIP_1) | instid1(VALU_DEP_3)
	v_sub_nc_u32_e32 v117, 0x78, v70
	v_cmp_gt_u32_e32 vcc_lo, 0x79, v70
	v_or_b32_e32 v128, 0x800000, v71
	s_delay_alu instid0(VALU_DEP_3) | instskip(SKIP_2) | instid1(VALU_DEP_3)
	v_cndmask_b32_e32 v117, 0, v117, vcc_lo
	v_cmp_eq_u32_e32 vcc_lo, 0, v70
	v_add_nc_u32_e32 v70, 0xffffff89, v70
	v_cndmask_b32_e64 v117, v117, 0x77, vcc_lo
	v_cndmask_b32_e32 v71, v128, v71, vcc_lo
	s_delay_alu instid0(VALU_DEP_3) | instskip(NEXT) | instid1(VALU_DEP_3)
	v_cndmask_b32_e64 v70, v70, 0xffffff8a, vcc_lo
	v_lshl_add_u32 v128, 0x100000, v117, -1
	s_delay_alu instid0(VALU_DEP_3) | instskip(SKIP_1) | instid1(VALU_DEP_4)
	v_lshrrev_b32_e32 v131, v117, v71
	v_lshlrev_b32_e64 v134, v117, 0x80000
	v_add_nc_u32_e32 v117, v117, v70
	s_delay_alu instid0(VALU_DEP_4) | instskip(NEXT) | instid1(VALU_DEP_4)
	v_and_b32_e32 v71, v128, v71
	v_bfe_u32 v133, v131, 20, 1
	s_delay_alu instid0(VALU_DEP_2) | instskip(NEXT) | instid1(VALU_DEP_2)
	v_cmp_eq_u32_e64 s11, v71, v134
	v_add_nc_u32_e32 v128, -1, v133
	s_delay_alu instid0(VALU_DEP_1) | instskip(SKIP_2) | instid1(VALU_DEP_2)
	v_cndmask_b32_e64 v71, 0, v128, s11
	v_lshrrev_b32_e32 v128, 23, v131
	s_mov_b32 s11, exec_lo
	v_add_nc_u32_e32 v71, v71, v131
	s_delay_alu instid0(VALU_DEP_2) | instskip(NEXT) | instid1(VALU_DEP_2)
	v_xor_b32_e32 v128, 1, v128
	v_and_b32_e32 v70, 0xfffff, v71
	s_delay_alu instid0(VALU_DEP_1) | instskip(NEXT) | instid1(VALU_DEP_3)
	v_add_nc_u32_e32 v71, v70, v131
                                        ; implicit-def: $vgpr70
	v_cmpx_ne_u32_e64 v117, v128
	s_xor_b32 s11, exec_lo, s11
; %bb.2691:                             ;   in Loop: Header=BB4_2319 Depth=2
	s_delay_alu instid0(VALU_DEP_2) | instskip(SKIP_2) | instid1(VALU_DEP_2)
	v_cmp_lt_u32_e32 vcc_lo, 0xffffff, v71
	v_sub_nc_u32_e32 v70, v117, v128
	v_cndmask_b32_e64 v117, 0, 1, vcc_lo
	v_add_co_ci_u32_e32 v70, vcc_lo, 0, v70, vcc_lo
	s_delay_alu instid0(VALU_DEP_2)
	v_lshrrev_b32_e32 v71, v117, v71
; %bb.2692:                             ;   in Loop: Header=BB4_2319 Depth=2
	s_and_not1_saveexec_b32 s11, s11
; %bb.2693:                             ;   in Loop: Header=BB4_2319 Depth=2
	s_delay_alu instid0(VALU_DEP_1)
	v_bfe_u32 v70, v71, 23, 1
; %bb.2694:                             ;   in Loop: Header=BB4_2319 Depth=2
	s_or_b32 exec_lo, exec_lo, s11
	v_lshrrev_b32_e32 v71, 20, v71
	s_delay_alu instid0(VALU_DEP_2) | instskip(SKIP_2) | instid1(VALU_DEP_2)
	v_cmp_gt_i32_e32 vcc_lo, 16, v70
	v_lshrrev_b32_e32 v114, 24, v114
	v_min_i32_e32 v117, 15, v70
	v_dual_cndmask_b32 v71, 7, v71 :: v_dual_and_b32 v114, 0x80, v114
	s_delay_alu instid0(VALU_DEP_1) | instskip(SKIP_1) | instid1(VALU_DEP_2)
	v_or_b32_e32 v70, v70, v71
	v_and_b32_e32 v128, 7, v71
	v_cmp_ne_u32_e32 vcc_lo, 0, v70
	v_lshlrev_b32_e32 v117, 3, v117
	s_delay_alu instid0(VALU_DEP_1) | instskip(NEXT) | instid1(VALU_DEP_1)
	v_or3_b32 v71, v117, v114, v128
	v_cndmask_b32_e32 v70, 0, v71, vcc_lo
.LBB4_2695:                             ;   in Loop: Header=BB4_2319 Depth=2
	s_or_b32 exec_lo, exec_lo, s28
.LBB4_2696:                             ;   in Loop: Header=BB4_2319 Depth=2
	s_delay_alu instid0(SALU_CYCLE_1) | instskip(NEXT) | instid1(SALU_CYCLE_1)
	s_or_b32 exec_lo, exec_lo, s27
	s_and_not1_b32 vcc_lo, exec_lo, s25
	s_cbranch_vccnz .LBB4_2706
; %bb.2697:                             ;   in Loop: Header=BB4_2319 Depth=2
	v_and_b32_e32 v114, 0xff, v68
	s_mov_b32 s11, 0
	s_mov_b32 s28, exec_lo
                                        ; implicit-def: $sgpr27
	s_delay_alu instid0(VALU_DEP_1)
	v_cmpx_lt_i16_e32 0x7f, v114
	s_xor_b32 s28, exec_lo, s28
	s_cbranch_execnz .LBB4_2989
; %bb.2698:                             ;   in Loop: Header=BB4_2319 Depth=2
	s_or_saveexec_b32 s28, s28
	v_mov_b32_e32 v71, s27
	s_xor_b32 exec_lo, exec_lo, s28
	s_cbranch_execnz .LBB4_2992
.LBB4_2699:                             ;   in Loop: Header=BB4_2319 Depth=2
	s_or_b32 exec_lo, exec_lo, s28
	s_and_saveexec_b32 s27, s11
	s_cbranch_execz .LBB4_2701
.LBB4_2700:                             ;   in Loop: Header=BB4_2319 Depth=2
	v_lshrrev_b16 v128, 3, v68
	v_lshlrev_b32_e32 v131, 24, v68
	s_delay_alu instid0(VALU_DEP_2) | instskip(NEXT) | instid1(VALU_DEP_1)
	v_and_b32_e32 v128, 15, v128
	v_cmp_eq_u32_e32 vcc_lo, 0, v128
	v_and_b32_e32 v71, 7, v68
	s_delay_alu instid0(VALU_DEP_1) | instskip(NEXT) | instid1(VALU_DEP_1)
	v_clz_i32_u32_e32 v114, v71
	v_min_u32_e32 v114, 32, v114
	s_delay_alu instid0(VALU_DEP_1) | instskip(SKIP_1) | instid1(VALU_DEP_1)
	v_subrev_nc_u32_e32 v117, 28, v114
	v_sub_nc_u32_e32 v114, 29, v114
	v_dual_cndmask_b32 v114, v128, v114 :: v_dual_lshlrev_b32 v117, v117, v68
	s_delay_alu instid0(VALU_DEP_1) | instskip(NEXT) | instid1(VALU_DEP_2)
	v_and_b32_e32 v117, 7, v117
	v_lshl_add_u32 v114, v114, 23, 0x3b800000
	s_delay_alu instid0(VALU_DEP_2) | instskip(SKIP_1) | instid1(VALU_DEP_2)
	v_cndmask_b32_e32 v71, v71, v117, vcc_lo
	v_and_b32_e32 v117, 0x80000000, v131
	v_lshlrev_b32_e32 v71, 20, v71
	s_delay_alu instid0(VALU_DEP_1)
	v_or3_b32 v71, v117, v114, v71
.LBB4_2701:                             ;   in Loop: Header=BB4_2319 Depth=2
	s_or_b32 exec_lo, exec_lo, s27
	s_waitcnt vmcnt(2) lgkmcnt(2)
	v_and_b32_e32 v117, 0xff, v67
	s_mov_b32 s11, 0
	s_mov_b32 s28, exec_lo
                                        ; implicit-def: $sgpr27
	s_delay_alu instid0(VALU_DEP_1)
	v_cmpx_lt_i16_e32 0x7f, v117
	s_xor_b32 s28, exec_lo, s28
	s_cbranch_execnz .LBB4_2993
; %bb.2702:                             ;   in Loop: Header=BB4_2319 Depth=2
	s_or_saveexec_b32 s28, s28
	v_mov_b32_e32 v114, s27
	s_xor_b32 exec_lo, exec_lo, s28
	s_cbranch_execnz .LBB4_2996
.LBB4_2703:                             ;   in Loop: Header=BB4_2319 Depth=2
	s_or_b32 exec_lo, exec_lo, s28
	s_and_saveexec_b32 s27, s11
	s_cbranch_execz .LBB4_2705
.LBB4_2704:                             ;   in Loop: Header=BB4_2319 Depth=2
	v_lshrrev_b16 v131, 3, v67
	v_lshlrev_b32_e32 v133, 24, v67
	s_delay_alu instid0(VALU_DEP_2) | instskip(NEXT) | instid1(VALU_DEP_1)
	v_and_b32_e32 v131, 15, v131
	v_cmp_eq_u32_e32 vcc_lo, 0, v131
	v_and_b32_e32 v114, 7, v67
	s_delay_alu instid0(VALU_DEP_1) | instskip(NEXT) | instid1(VALU_DEP_1)
	v_clz_i32_u32_e32 v117, v114
	v_min_u32_e32 v117, 32, v117
	s_delay_alu instid0(VALU_DEP_1) | instskip(SKIP_1) | instid1(VALU_DEP_1)
	v_subrev_nc_u32_e32 v128, 28, v117
	v_sub_nc_u32_e32 v117, 29, v117
	v_dual_cndmask_b32 v117, v131, v117 :: v_dual_lshlrev_b32 v128, v128, v67
	s_delay_alu instid0(VALU_DEP_1) | instskip(NEXT) | instid1(VALU_DEP_2)
	v_and_b32_e32 v128, 7, v128
	v_lshl_add_u32 v117, v117, 23, 0x3b800000
	s_delay_alu instid0(VALU_DEP_2) | instskip(SKIP_1) | instid1(VALU_DEP_2)
	v_cndmask_b32_e32 v114, v114, v128, vcc_lo
	v_and_b32_e32 v128, 0x80000000, v133
	v_lshlrev_b32_e32 v114, 20, v114
	s_delay_alu instid0(VALU_DEP_1)
	v_or3_b32 v114, v128, v117, v114
.LBB4_2705:                             ;   in Loop: Header=BB4_2319 Depth=2
	s_or_b32 exec_lo, exec_lo, s27
	s_delay_alu instid0(VALU_DEP_1) | instskip(SKIP_1) | instid1(VALU_DEP_1)
	v_dual_max_f32 v114, v114, v114 :: v_dual_max_f32 v71, v71, v71
	s_mov_b32 s11, 0
	v_max_f32_e32 v71, v71, v114
	s_branch .LBB4_2707
.LBB4_2706:                             ;   in Loop: Header=BB4_2319 Depth=2
	s_mov_b32 s11, -1
                                        ; implicit-def: $vgpr71
.LBB4_2707:                             ;   in Loop: Header=BB4_2319 Depth=2
	s_delay_alu instid0(SALU_CYCLE_1)
	s_and_b32 vcc_lo, exec_lo, s11
	s_cbranch_vccz .LBB4_2717
; %bb.2708:                             ;   in Loop: Header=BB4_2319 Depth=2
	v_and_b32_e32 v114, 0xff, v68
	s_mov_b32 s11, 0
	s_mov_b32 s28, exec_lo
                                        ; implicit-def: $sgpr27
	s_delay_alu instid0(VALU_DEP_1)
	v_cmpx_lt_i16_e32 0x7f, v114
	s_xor_b32 s28, exec_lo, s28
	s_cbranch_execnz .LBB4_2997
; %bb.2709:                             ;   in Loop: Header=BB4_2319 Depth=2
	s_or_saveexec_b32 s28, s28
	v_mov_b32_e32 v71, s27
	s_xor_b32 exec_lo, exec_lo, s28
	s_cbranch_execnz .LBB4_3000
.LBB4_2710:                             ;   in Loop: Header=BB4_2319 Depth=2
	s_or_b32 exec_lo, exec_lo, s28
	s_and_saveexec_b32 s27, s11
	s_cbranch_execz .LBB4_2712
.LBB4_2711:                             ;   in Loop: Header=BB4_2319 Depth=2
	v_lshrrev_b16 v128, 3, v68
	s_delay_alu instid0(VALU_DEP_1) | instskip(NEXT) | instid1(VALU_DEP_1)
	v_and_b32_e32 v128, 15, v128
	v_cmp_eq_u32_e32 vcc_lo, 0, v128
	v_and_b32_e32 v71, 7, v68
	s_delay_alu instid0(VALU_DEP_1) | instskip(NEXT) | instid1(VALU_DEP_1)
	v_clz_i32_u32_e32 v114, v71
	v_min_u32_e32 v114, 32, v114
	s_delay_alu instid0(VALU_DEP_1) | instskip(SKIP_1) | instid1(VALU_DEP_1)
	v_subrev_nc_u32_e32 v117, 28, v114
	v_sub_nc_u32_e32 v114, 29, v114
	v_dual_cndmask_b32 v114, v128, v114 :: v_dual_lshlrev_b32 v117, v117, v68
	v_lshlrev_b32_e32 v68, 24, v68
	s_delay_alu instid0(VALU_DEP_2) | instskip(NEXT) | instid1(VALU_DEP_3)
	v_and_b32_e32 v117, 7, v117
	v_lshl_add_u32 v114, v114, 23, 0x3b800000
	s_delay_alu instid0(VALU_DEP_2) | instskip(NEXT) | instid1(VALU_DEP_1)
	v_dual_cndmask_b32 v71, v71, v117 :: v_dual_and_b32 v68, 0x80000000, v68
	v_lshlrev_b32_e32 v71, 20, v71
	s_delay_alu instid0(VALU_DEP_1)
	v_or3_b32 v71, v68, v114, v71
.LBB4_2712:                             ;   in Loop: Header=BB4_2319 Depth=2
	s_or_b32 exec_lo, exec_lo, s27
	s_waitcnt vmcnt(2) lgkmcnt(2)
	v_and_b32_e32 v114, 0xff, v67
	s_mov_b32 s11, 0
	s_mov_b32 s28, exec_lo
                                        ; implicit-def: $sgpr27
	s_delay_alu instid0(VALU_DEP_1)
	v_cmpx_lt_i16_e32 0x7f, v114
	s_xor_b32 s28, exec_lo, s28
	s_cbranch_execnz .LBB4_3001
; %bb.2713:                             ;   in Loop: Header=BB4_2319 Depth=2
	s_or_saveexec_b32 s28, s28
	v_mov_b32_e32 v68, s27
	s_xor_b32 exec_lo, exec_lo, s28
	s_cbranch_execnz .LBB4_3004
.LBB4_2714:                             ;   in Loop: Header=BB4_2319 Depth=2
	s_or_b32 exec_lo, exec_lo, s28
	s_and_saveexec_b32 s27, s11
	s_cbranch_execz .LBB4_2716
.LBB4_2715:                             ;   in Loop: Header=BB4_2319 Depth=2
	v_and_b32_e32 v68, 7, v67
	v_lshrrev_b16 v128, 3, v67
	s_delay_alu instid0(VALU_DEP_2) | instskip(NEXT) | instid1(VALU_DEP_2)
	v_clz_i32_u32_e32 v114, v68
	v_and_b32_e32 v128, 15, v128
	s_delay_alu instid0(VALU_DEP_2) | instskip(NEXT) | instid1(VALU_DEP_2)
	v_min_u32_e32 v114, 32, v114
	v_cmp_eq_u32_e32 vcc_lo, 0, v128
	s_delay_alu instid0(VALU_DEP_2) | instskip(SKIP_1) | instid1(VALU_DEP_1)
	v_subrev_nc_u32_e32 v117, 28, v114
	v_sub_nc_u32_e32 v114, 29, v114
	v_dual_cndmask_b32 v114, v128, v114 :: v_dual_lshlrev_b32 v117, v117, v67
	s_delay_alu instid0(VALU_DEP_1) | instskip(SKIP_1) | instid1(VALU_DEP_3)
	v_and_b32_e32 v117, 7, v117
	v_lshlrev_b32_e32 v67, 24, v67
	v_lshl_add_u32 v114, v114, 23, 0x3b800000
	s_delay_alu instid0(VALU_DEP_2) | instskip(NEXT) | instid1(VALU_DEP_1)
	v_dual_cndmask_b32 v68, v68, v117 :: v_dual_and_b32 v67, 0x80000000, v67
	v_lshlrev_b32_e32 v68, 20, v68
	s_delay_alu instid0(VALU_DEP_1)
	v_or3_b32 v68, v67, v114, v68
.LBB4_2716:                             ;   in Loop: Header=BB4_2319 Depth=2
	s_or_b32 exec_lo, exec_lo, s27
	s_delay_alu instid0(VALU_DEP_1) | instskip(NEXT) | instid1(VALU_DEP_1)
	v_dual_max_f32 v67, v68, v68 :: v_dual_max_f32 v68, v71, v71
	v_min_f32_e32 v71, v68, v67
.LBB4_2717:                             ;   in Loop: Header=BB4_2319 Depth=2
	s_waitcnt vmcnt(2) lgkmcnt(2)
	s_delay_alu instid0(VALU_DEP_1) | instskip(NEXT) | instid1(VALU_DEP_1)
	v_and_b32_e32 v67, 0x7f800000, v71
	v_cmp_ne_u32_e32 vcc_lo, 0x7f800000, v67
	v_mov_b32_e32 v67, 0x80
	s_and_saveexec_b32 s27, vcc_lo
	s_cbranch_execz .LBB4_2725
; %bb.2718:                             ;   in Loop: Header=BB4_2319 Depth=2
	v_mov_b32_e32 v67, 0
	s_mov_b32 s28, exec_lo
	v_cmpx_ne_u32_e32 0, v71
	s_cbranch_execz .LBB4_2724
; %bb.2719:                             ;   in Loop: Header=BB4_2319 Depth=2
	v_bfe_u32 v67, v71, 23, 8
	v_and_b32_e32 v68, 0x7fffff, v71
	s_delay_alu instid0(VALU_DEP_2) | instskip(SKIP_1) | instid1(VALU_DEP_3)
	v_sub_nc_u32_e32 v114, 0x78, v67
	v_cmp_gt_u32_e32 vcc_lo, 0x79, v67
	v_or_b32_e32 v117, 0x800000, v68
	s_delay_alu instid0(VALU_DEP_3) | instskip(SKIP_2) | instid1(VALU_DEP_3)
	v_cndmask_b32_e32 v114, 0, v114, vcc_lo
	v_cmp_eq_u32_e32 vcc_lo, 0, v67
	v_add_nc_u32_e32 v67, 0xffffff89, v67
	v_cndmask_b32_e64 v114, v114, 0x77, vcc_lo
	v_cndmask_b32_e32 v68, v117, v68, vcc_lo
	s_delay_alu instid0(VALU_DEP_3) | instskip(NEXT) | instid1(VALU_DEP_3)
	v_cndmask_b32_e64 v67, v67, 0xffffff8a, vcc_lo
	v_lshl_add_u32 v117, 0x100000, v114, -1
	s_delay_alu instid0(VALU_DEP_3) | instskip(SKIP_1) | instid1(VALU_DEP_4)
	v_lshrrev_b32_e32 v128, v114, v68
	v_lshlrev_b32_e64 v133, v114, 0x80000
	v_add_nc_u32_e32 v114, v114, v67
	s_delay_alu instid0(VALU_DEP_4) | instskip(NEXT) | instid1(VALU_DEP_4)
	v_and_b32_e32 v68, v117, v68
	v_bfe_u32 v131, v128, 20, 1
	s_delay_alu instid0(VALU_DEP_2) | instskip(NEXT) | instid1(VALU_DEP_2)
	v_cmp_eq_u32_e64 s11, v68, v133
	v_add_nc_u32_e32 v117, -1, v131
	s_delay_alu instid0(VALU_DEP_1) | instskip(SKIP_2) | instid1(VALU_DEP_2)
	v_cndmask_b32_e64 v68, 0, v117, s11
	v_lshrrev_b32_e32 v117, 23, v128
	s_mov_b32 s11, exec_lo
	v_add_nc_u32_e32 v68, v68, v128
	s_delay_alu instid0(VALU_DEP_2) | instskip(NEXT) | instid1(VALU_DEP_2)
	v_xor_b32_e32 v117, 1, v117
	v_and_b32_e32 v67, 0xfffff, v68
	s_delay_alu instid0(VALU_DEP_1) | instskip(NEXT) | instid1(VALU_DEP_3)
	v_add_nc_u32_e32 v68, v67, v128
                                        ; implicit-def: $vgpr67
	v_cmpx_ne_u32_e64 v114, v117
	s_xor_b32 s11, exec_lo, s11
; %bb.2720:                             ;   in Loop: Header=BB4_2319 Depth=2
	s_delay_alu instid0(VALU_DEP_2) | instskip(SKIP_2) | instid1(VALU_DEP_2)
	v_cmp_lt_u32_e32 vcc_lo, 0xffffff, v68
	v_sub_nc_u32_e32 v67, v114, v117
	v_cndmask_b32_e64 v114, 0, 1, vcc_lo
	v_add_co_ci_u32_e32 v67, vcc_lo, 0, v67, vcc_lo
	s_delay_alu instid0(VALU_DEP_2)
	v_lshrrev_b32_e32 v68, v114, v68
; %bb.2721:                             ;   in Loop: Header=BB4_2319 Depth=2
	s_and_not1_saveexec_b32 s11, s11
; %bb.2722:                             ;   in Loop: Header=BB4_2319 Depth=2
	s_delay_alu instid0(VALU_DEP_1)
	v_bfe_u32 v67, v68, 23, 1
; %bb.2723:                             ;   in Loop: Header=BB4_2319 Depth=2
	s_or_b32 exec_lo, exec_lo, s11
	v_lshrrev_b32_e32 v68, 20, v68
	s_delay_alu instid0(VALU_DEP_2) | instskip(SKIP_2) | instid1(VALU_DEP_2)
	v_cmp_gt_i32_e32 vcc_lo, 16, v67
	v_lshrrev_b32_e32 v71, 24, v71
	v_min_i32_e32 v114, 15, v67
	v_dual_cndmask_b32 v68, 7, v68 :: v_dual_and_b32 v71, 0x80, v71
	s_delay_alu instid0(VALU_DEP_1) | instskip(SKIP_1) | instid1(VALU_DEP_2)
	v_or_b32_e32 v67, v67, v68
	v_and_b32_e32 v117, 7, v68
	v_cmp_ne_u32_e32 vcc_lo, 0, v67
	v_lshlrev_b32_e32 v114, 3, v114
	s_delay_alu instid0(VALU_DEP_1) | instskip(NEXT) | instid1(VALU_DEP_1)
	v_or3_b32 v68, v114, v71, v117
	v_cndmask_b32_e32 v67, 0, v68, vcc_lo
.LBB4_2724:                             ;   in Loop: Header=BB4_2319 Depth=2
	s_or_b32 exec_lo, exec_lo, s28
.LBB4_2725:                             ;   in Loop: Header=BB4_2319 Depth=2
	s_delay_alu instid0(SALU_CYCLE_1) | instskip(NEXT) | instid1(SALU_CYCLE_1)
	s_or_b32 exec_lo, exec_lo, s27
	s_and_not1_b32 vcc_lo, exec_lo, s25
	s_cbranch_vccnz .LBB4_2735
; %bb.2726:                             ;   in Loop: Header=BB4_2319 Depth=2
	v_and_b32_e32 v71, 0xff, v25
	s_mov_b32 s11, 0
	s_mov_b32 s28, exec_lo
                                        ; implicit-def: $sgpr27
	s_delay_alu instid0(VALU_DEP_1)
	v_cmpx_lt_i16_e32 0x7f, v71
	s_xor_b32 s28, exec_lo, s28
	s_cbranch_execnz .LBB4_3005
; %bb.2727:                             ;   in Loop: Header=BB4_2319 Depth=2
	s_or_saveexec_b32 s28, s28
	v_mov_b32_e32 v68, s27
	s_xor_b32 exec_lo, exec_lo, s28
	s_cbranch_execnz .LBB4_3008
.LBB4_2728:                             ;   in Loop: Header=BB4_2319 Depth=2
	s_or_b32 exec_lo, exec_lo, s28
	s_and_saveexec_b32 s27, s11
	s_cbranch_execz .LBB4_2730
.LBB4_2729:                             ;   in Loop: Header=BB4_2319 Depth=2
	v_lshrrev_b16 v117, 3, v25
	v_lshlrev_b32_e32 v128, 24, v25
	s_delay_alu instid0(VALU_DEP_2) | instskip(NEXT) | instid1(VALU_DEP_1)
	v_and_b32_e32 v117, 15, v117
	v_cmp_eq_u32_e32 vcc_lo, 0, v117
	v_and_b32_e32 v68, 7, v25
	s_delay_alu instid0(VALU_DEP_1) | instskip(NEXT) | instid1(VALU_DEP_1)
	v_clz_i32_u32_e32 v71, v68
	v_min_u32_e32 v71, 32, v71
	s_delay_alu instid0(VALU_DEP_1) | instskip(SKIP_1) | instid1(VALU_DEP_1)
	v_subrev_nc_u32_e32 v114, 28, v71
	v_sub_nc_u32_e32 v71, 29, v71
	v_dual_cndmask_b32 v71, v117, v71 :: v_dual_lshlrev_b32 v114, v114, v25
	s_delay_alu instid0(VALU_DEP_1) | instskip(NEXT) | instid1(VALU_DEP_2)
	v_and_b32_e32 v114, 7, v114
	v_lshl_add_u32 v71, v71, 23, 0x3b800000
	s_delay_alu instid0(VALU_DEP_2) | instskip(SKIP_1) | instid1(VALU_DEP_2)
	v_cndmask_b32_e32 v68, v68, v114, vcc_lo
	v_and_b32_e32 v114, 0x80000000, v128
	v_lshlrev_b32_e32 v68, 20, v68
	s_delay_alu instid0(VALU_DEP_1)
	v_or3_b32 v68, v114, v71, v68
.LBB4_2730:                             ;   in Loop: Header=BB4_2319 Depth=2
	s_or_b32 exec_lo, exec_lo, s27
	s_waitcnt vmcnt(1) lgkmcnt(1)
	v_and_b32_e32 v114, 0xff, v24
	s_mov_b32 s11, 0
	s_mov_b32 s28, exec_lo
                                        ; implicit-def: $sgpr27
	s_delay_alu instid0(VALU_DEP_1)
	v_cmpx_lt_i16_e32 0x7f, v114
	s_xor_b32 s28, exec_lo, s28
	s_cbranch_execnz .LBB4_3009
; %bb.2731:                             ;   in Loop: Header=BB4_2319 Depth=2
	s_or_saveexec_b32 s28, s28
	v_mov_b32_e32 v71, s27
	s_xor_b32 exec_lo, exec_lo, s28
	s_cbranch_execnz .LBB4_3012
.LBB4_2732:                             ;   in Loop: Header=BB4_2319 Depth=2
	s_or_b32 exec_lo, exec_lo, s28
	s_and_saveexec_b32 s27, s11
	s_cbranch_execz .LBB4_2734
.LBB4_2733:                             ;   in Loop: Header=BB4_2319 Depth=2
	v_lshrrev_b16 v128, 3, v24
	v_lshlrev_b32_e32 v131, 24, v24
	s_delay_alu instid0(VALU_DEP_2) | instskip(NEXT) | instid1(VALU_DEP_1)
	v_and_b32_e32 v128, 15, v128
	v_cmp_eq_u32_e32 vcc_lo, 0, v128
	v_and_b32_e32 v71, 7, v24
	s_delay_alu instid0(VALU_DEP_1) | instskip(NEXT) | instid1(VALU_DEP_1)
	v_clz_i32_u32_e32 v114, v71
	v_min_u32_e32 v114, 32, v114
	s_delay_alu instid0(VALU_DEP_1) | instskip(SKIP_1) | instid1(VALU_DEP_1)
	v_subrev_nc_u32_e32 v117, 28, v114
	v_sub_nc_u32_e32 v114, 29, v114
	v_dual_cndmask_b32 v114, v128, v114 :: v_dual_lshlrev_b32 v117, v117, v24
	s_delay_alu instid0(VALU_DEP_1) | instskip(NEXT) | instid1(VALU_DEP_2)
	v_and_b32_e32 v117, 7, v117
	v_lshl_add_u32 v114, v114, 23, 0x3b800000
	s_delay_alu instid0(VALU_DEP_2) | instskip(SKIP_1) | instid1(VALU_DEP_2)
	v_cndmask_b32_e32 v71, v71, v117, vcc_lo
	v_and_b32_e32 v117, 0x80000000, v131
	v_lshlrev_b32_e32 v71, 20, v71
	s_delay_alu instid0(VALU_DEP_1)
	v_or3_b32 v71, v117, v114, v71
.LBB4_2734:                             ;   in Loop: Header=BB4_2319 Depth=2
	s_or_b32 exec_lo, exec_lo, s27
	s_delay_alu instid0(VALU_DEP_1) | instskip(SKIP_1) | instid1(VALU_DEP_1)
	v_dual_max_f32 v71, v71, v71 :: v_dual_max_f32 v68, v68, v68
	s_mov_b32 s11, 0
	v_max_f32_e32 v68, v68, v71
	s_branch .LBB4_2736
.LBB4_2735:                             ;   in Loop: Header=BB4_2319 Depth=2
	s_mov_b32 s11, -1
                                        ; implicit-def: $vgpr68
.LBB4_2736:                             ;   in Loop: Header=BB4_2319 Depth=2
	s_delay_alu instid0(SALU_CYCLE_1)
	s_and_b32 vcc_lo, exec_lo, s11
	s_cbranch_vccz .LBB4_2746
; %bb.2737:                             ;   in Loop: Header=BB4_2319 Depth=2
	v_and_b32_e32 v71, 0xff, v25
	s_mov_b32 s11, 0
	s_mov_b32 s28, exec_lo
                                        ; implicit-def: $sgpr27
	s_delay_alu instid0(VALU_DEP_1)
	v_cmpx_lt_i16_e32 0x7f, v71
	s_xor_b32 s28, exec_lo, s28
	s_cbranch_execnz .LBB4_3013
; %bb.2738:                             ;   in Loop: Header=BB4_2319 Depth=2
	s_or_saveexec_b32 s28, s28
	v_mov_b32_e32 v68, s27
	s_xor_b32 exec_lo, exec_lo, s28
	s_cbranch_execnz .LBB4_3016
.LBB4_2739:                             ;   in Loop: Header=BB4_2319 Depth=2
	s_or_b32 exec_lo, exec_lo, s28
	s_and_saveexec_b32 s27, s11
	s_cbranch_execz .LBB4_2741
.LBB4_2740:                             ;   in Loop: Header=BB4_2319 Depth=2
	v_lshrrev_b16 v117, 3, v25
	s_delay_alu instid0(VALU_DEP_1) | instskip(NEXT) | instid1(VALU_DEP_1)
	v_and_b32_e32 v117, 15, v117
	v_cmp_eq_u32_e32 vcc_lo, 0, v117
	v_and_b32_e32 v68, 7, v25
	s_delay_alu instid0(VALU_DEP_1) | instskip(NEXT) | instid1(VALU_DEP_1)
	v_clz_i32_u32_e32 v71, v68
	v_min_u32_e32 v71, 32, v71
	s_delay_alu instid0(VALU_DEP_1) | instskip(SKIP_1) | instid1(VALU_DEP_1)
	v_subrev_nc_u32_e32 v114, 28, v71
	v_sub_nc_u32_e32 v71, 29, v71
	v_dual_cndmask_b32 v71, v117, v71 :: v_dual_lshlrev_b32 v114, v114, v25
	v_lshlrev_b32_e32 v25, 24, v25
	s_delay_alu instid0(VALU_DEP_2) | instskip(NEXT) | instid1(VALU_DEP_3)
	v_and_b32_e32 v114, 7, v114
	v_lshl_add_u32 v71, v71, 23, 0x3b800000
	s_delay_alu instid0(VALU_DEP_2) | instskip(NEXT) | instid1(VALU_DEP_1)
	v_dual_cndmask_b32 v68, v68, v114 :: v_dual_and_b32 v25, 0x80000000, v25
	v_lshlrev_b32_e32 v68, 20, v68
	s_delay_alu instid0(VALU_DEP_1)
	v_or3_b32 v68, v25, v71, v68
.LBB4_2741:                             ;   in Loop: Header=BB4_2319 Depth=2
	s_or_b32 exec_lo, exec_lo, s27
	s_waitcnt vmcnt(1) lgkmcnt(1)
	v_and_b32_e32 v71, 0xff, v24
	s_mov_b32 s11, 0
	s_mov_b32 s28, exec_lo
                                        ; implicit-def: $sgpr27
	s_delay_alu instid0(VALU_DEP_1)
	v_cmpx_lt_i16_e32 0x7f, v71
	s_xor_b32 s28, exec_lo, s28
	s_cbranch_execnz .LBB4_3017
; %bb.2742:                             ;   in Loop: Header=BB4_2319 Depth=2
	s_or_saveexec_b32 s28, s28
	v_mov_b32_e32 v25, s27
	s_xor_b32 exec_lo, exec_lo, s28
	s_cbranch_execnz .LBB4_3020
.LBB4_2743:                             ;   in Loop: Header=BB4_2319 Depth=2
	s_or_b32 exec_lo, exec_lo, s28
	s_and_saveexec_b32 s27, s11
	s_cbranch_execz .LBB4_2745
.LBB4_2744:                             ;   in Loop: Header=BB4_2319 Depth=2
	v_and_b32_e32 v25, 7, v24
	v_lshrrev_b16 v117, 3, v24
	s_delay_alu instid0(VALU_DEP_2) | instskip(NEXT) | instid1(VALU_DEP_2)
	v_clz_i32_u32_e32 v71, v25
	v_and_b32_e32 v117, 15, v117
	s_delay_alu instid0(VALU_DEP_2) | instskip(NEXT) | instid1(VALU_DEP_2)
	v_min_u32_e32 v71, 32, v71
	v_cmp_eq_u32_e32 vcc_lo, 0, v117
	s_delay_alu instid0(VALU_DEP_2) | instskip(SKIP_1) | instid1(VALU_DEP_1)
	v_subrev_nc_u32_e32 v114, 28, v71
	v_sub_nc_u32_e32 v71, 29, v71
	v_dual_cndmask_b32 v71, v117, v71 :: v_dual_lshlrev_b32 v114, v114, v24
	s_delay_alu instid0(VALU_DEP_1) | instskip(SKIP_1) | instid1(VALU_DEP_3)
	v_and_b32_e32 v114, 7, v114
	v_lshlrev_b32_e32 v24, 24, v24
	v_lshl_add_u32 v71, v71, 23, 0x3b800000
	s_delay_alu instid0(VALU_DEP_2) | instskip(NEXT) | instid1(VALU_DEP_1)
	v_dual_cndmask_b32 v25, v25, v114 :: v_dual_and_b32 v24, 0x80000000, v24
	v_lshlrev_b32_e32 v25, 20, v25
	s_delay_alu instid0(VALU_DEP_1)
	v_or3_b32 v25, v24, v71, v25
.LBB4_2745:                             ;   in Loop: Header=BB4_2319 Depth=2
	s_or_b32 exec_lo, exec_lo, s27
	s_delay_alu instid0(VALU_DEP_1) | instskip(NEXT) | instid1(VALU_DEP_1)
	v_dual_max_f32 v24, v25, v25 :: v_dual_max_f32 v25, v68, v68
	v_min_f32_e32 v68, v25, v24
.LBB4_2746:                             ;   in Loop: Header=BB4_2319 Depth=2
	s_waitcnt vmcnt(1) lgkmcnt(1)
	s_delay_alu instid0(VALU_DEP_1) | instskip(NEXT) | instid1(VALU_DEP_1)
	v_and_b32_e32 v24, 0x7f800000, v68
	v_cmp_ne_u32_e32 vcc_lo, 0x7f800000, v24
	v_mov_b32_e32 v24, 0x80
	s_and_saveexec_b32 s27, vcc_lo
	s_cbranch_execz .LBB4_2754
; %bb.2747:                             ;   in Loop: Header=BB4_2319 Depth=2
	v_mov_b32_e32 v24, 0
	s_mov_b32 s28, exec_lo
	v_cmpx_ne_u32_e32 0, v68
	s_cbranch_execz .LBB4_2753
; %bb.2748:                             ;   in Loop: Header=BB4_2319 Depth=2
	v_bfe_u32 v24, v68, 23, 8
	v_and_b32_e32 v25, 0x7fffff, v68
	s_delay_alu instid0(VALU_DEP_2) | instskip(SKIP_1) | instid1(VALU_DEP_3)
	v_sub_nc_u32_e32 v71, 0x78, v24
	v_cmp_gt_u32_e32 vcc_lo, 0x79, v24
	v_or_b32_e32 v114, 0x800000, v25
	s_delay_alu instid0(VALU_DEP_3) | instskip(SKIP_2) | instid1(VALU_DEP_3)
	v_cndmask_b32_e32 v71, 0, v71, vcc_lo
	v_cmp_eq_u32_e32 vcc_lo, 0, v24
	v_add_nc_u32_e32 v24, 0xffffff89, v24
	v_cndmask_b32_e64 v71, v71, 0x77, vcc_lo
	v_cndmask_b32_e32 v25, v114, v25, vcc_lo
	s_delay_alu instid0(VALU_DEP_3) | instskip(NEXT) | instid1(VALU_DEP_3)
	v_cndmask_b32_e64 v24, v24, 0xffffff8a, vcc_lo
	v_lshl_add_u32 v114, 0x100000, v71, -1
	s_delay_alu instid0(VALU_DEP_3) | instskip(SKIP_1) | instid1(VALU_DEP_4)
	v_lshrrev_b32_e32 v117, v71, v25
	v_lshlrev_b32_e64 v131, v71, 0x80000
	v_add_nc_u32_e32 v71, v71, v24
	s_delay_alu instid0(VALU_DEP_4) | instskip(NEXT) | instid1(VALU_DEP_4)
	v_and_b32_e32 v25, v114, v25
	v_bfe_u32 v128, v117, 20, 1
	s_delay_alu instid0(VALU_DEP_2) | instskip(NEXT) | instid1(VALU_DEP_2)
	v_cmp_eq_u32_e64 s11, v25, v131
	v_add_nc_u32_e32 v114, -1, v128
	s_delay_alu instid0(VALU_DEP_1) | instskip(SKIP_2) | instid1(VALU_DEP_2)
	v_cndmask_b32_e64 v25, 0, v114, s11
	v_lshrrev_b32_e32 v114, 23, v117
	s_mov_b32 s11, exec_lo
	v_add_nc_u32_e32 v25, v25, v117
	s_delay_alu instid0(VALU_DEP_2) | instskip(NEXT) | instid1(VALU_DEP_2)
	v_xor_b32_e32 v114, 1, v114
	v_and_b32_e32 v24, 0xfffff, v25
	s_delay_alu instid0(VALU_DEP_1) | instskip(NEXT) | instid1(VALU_DEP_3)
	v_add_nc_u32_e32 v25, v24, v117
                                        ; implicit-def: $vgpr24
	v_cmpx_ne_u32_e64 v71, v114
	s_xor_b32 s11, exec_lo, s11
; %bb.2749:                             ;   in Loop: Header=BB4_2319 Depth=2
	s_delay_alu instid0(VALU_DEP_2) | instskip(SKIP_2) | instid1(VALU_DEP_2)
	v_cmp_lt_u32_e32 vcc_lo, 0xffffff, v25
	v_sub_nc_u32_e32 v24, v71, v114
	v_cndmask_b32_e64 v71, 0, 1, vcc_lo
	v_add_co_ci_u32_e32 v24, vcc_lo, 0, v24, vcc_lo
	s_delay_alu instid0(VALU_DEP_2)
	v_lshrrev_b32_e32 v25, v71, v25
; %bb.2750:                             ;   in Loop: Header=BB4_2319 Depth=2
	s_and_not1_saveexec_b32 s11, s11
; %bb.2751:                             ;   in Loop: Header=BB4_2319 Depth=2
	s_delay_alu instid0(VALU_DEP_1)
	v_bfe_u32 v24, v25, 23, 1
; %bb.2752:                             ;   in Loop: Header=BB4_2319 Depth=2
	s_or_b32 exec_lo, exec_lo, s11
	v_lshrrev_b32_e32 v25, 20, v25
	s_delay_alu instid0(VALU_DEP_2) | instskip(SKIP_2) | instid1(VALU_DEP_2)
	v_cmp_gt_i32_e32 vcc_lo, 16, v24
	v_lshrrev_b32_e32 v68, 24, v68
	v_min_i32_e32 v71, 15, v24
	v_dual_cndmask_b32 v25, 7, v25 :: v_dual_and_b32 v68, 0x80, v68
	s_delay_alu instid0(VALU_DEP_1) | instskip(SKIP_1) | instid1(VALU_DEP_2)
	v_or_b32_e32 v24, v24, v25
	v_and_b32_e32 v114, 7, v25
	v_cmp_ne_u32_e32 vcc_lo, 0, v24
	v_lshlrev_b32_e32 v71, 3, v71
	s_delay_alu instid0(VALU_DEP_1) | instskip(NEXT) | instid1(VALU_DEP_1)
	v_or3_b32 v25, v71, v68, v114
	v_cndmask_b32_e32 v24, 0, v25, vcc_lo
.LBB4_2753:                             ;   in Loop: Header=BB4_2319 Depth=2
	s_or_b32 exec_lo, exec_lo, s28
.LBB4_2754:                             ;   in Loop: Header=BB4_2319 Depth=2
	s_delay_alu instid0(SALU_CYCLE_1) | instskip(NEXT) | instid1(SALU_CYCLE_1)
	s_or_b32 exec_lo, exec_lo, s27
	s_and_not1_b32 vcc_lo, exec_lo, s25
	s_cbranch_vccnz .LBB4_2764
; %bb.2755:                             ;   in Loop: Header=BB4_2319 Depth=2
	v_and_b32_e32 v68, 0xff, v22
	s_mov_b32 s11, 0
	s_mov_b32 s28, exec_lo
                                        ; implicit-def: $sgpr27
	s_delay_alu instid0(VALU_DEP_1)
	v_cmpx_lt_i16_e32 0x7f, v68
	s_xor_b32 s28, exec_lo, s28
	s_cbranch_execnz .LBB4_3021
; %bb.2756:                             ;   in Loop: Header=BB4_2319 Depth=2
	s_or_saveexec_b32 s28, s28
	v_mov_b32_e32 v25, s27
	s_xor_b32 exec_lo, exec_lo, s28
	s_cbranch_execnz .LBB4_3024
.LBB4_2757:                             ;   in Loop: Header=BB4_2319 Depth=2
	s_or_b32 exec_lo, exec_lo, s28
	s_and_saveexec_b32 s27, s11
	s_cbranch_execz .LBB4_2759
.LBB4_2758:                             ;   in Loop: Header=BB4_2319 Depth=2
	v_lshrrev_b16 v114, 3, v22
	v_lshlrev_b32_e32 v117, 24, v22
	s_delay_alu instid0(VALU_DEP_2) | instskip(NEXT) | instid1(VALU_DEP_1)
	v_and_b32_e32 v114, 15, v114
	v_cmp_eq_u32_e32 vcc_lo, 0, v114
	v_and_b32_e32 v25, 7, v22
	s_delay_alu instid0(VALU_DEP_1) | instskip(NEXT) | instid1(VALU_DEP_1)
	v_clz_i32_u32_e32 v68, v25
	v_min_u32_e32 v68, 32, v68
	s_delay_alu instid0(VALU_DEP_1) | instskip(SKIP_1) | instid1(VALU_DEP_1)
	v_subrev_nc_u32_e32 v71, 28, v68
	v_sub_nc_u32_e32 v68, 29, v68
	v_dual_cndmask_b32 v68, v114, v68 :: v_dual_lshlrev_b32 v71, v71, v22
	s_delay_alu instid0(VALU_DEP_1) | instskip(NEXT) | instid1(VALU_DEP_2)
	v_and_b32_e32 v71, 7, v71
	v_lshl_add_u32 v68, v68, 23, 0x3b800000
	s_delay_alu instid0(VALU_DEP_2) | instskip(SKIP_1) | instid1(VALU_DEP_2)
	v_cndmask_b32_e32 v25, v25, v71, vcc_lo
	v_and_b32_e32 v71, 0x80000000, v117
	v_lshlrev_b32_e32 v25, 20, v25
	s_delay_alu instid0(VALU_DEP_1)
	v_or3_b32 v25, v71, v68, v25
.LBB4_2759:                             ;   in Loop: Header=BB4_2319 Depth=2
	s_or_b32 exec_lo, exec_lo, s27
	s_waitcnt vmcnt(0) lgkmcnt(0)
	v_and_b32_e32 v71, 0xff, v21
	s_mov_b32 s11, 0
	s_mov_b32 s28, exec_lo
                                        ; implicit-def: $sgpr27
	s_delay_alu instid0(VALU_DEP_1)
	v_cmpx_lt_i16_e32 0x7f, v71
	s_xor_b32 s28, exec_lo, s28
	s_cbranch_execnz .LBB4_3025
; %bb.2760:                             ;   in Loop: Header=BB4_2319 Depth=2
	s_or_saveexec_b32 s28, s28
	v_mov_b32_e32 v68, s27
	s_xor_b32 exec_lo, exec_lo, s28
	s_cbranch_execnz .LBB4_3028
.LBB4_2761:                             ;   in Loop: Header=BB4_2319 Depth=2
	s_or_b32 exec_lo, exec_lo, s28
	s_and_saveexec_b32 s27, s11
	s_cbranch_execz .LBB4_2763
.LBB4_2762:                             ;   in Loop: Header=BB4_2319 Depth=2
	v_lshrrev_b16 v117, 3, v21
	v_lshlrev_b32_e32 v128, 24, v21
	s_delay_alu instid0(VALU_DEP_2) | instskip(NEXT) | instid1(VALU_DEP_1)
	v_and_b32_e32 v117, 15, v117
	v_cmp_eq_u32_e32 vcc_lo, 0, v117
	v_and_b32_e32 v68, 7, v21
	s_delay_alu instid0(VALU_DEP_1) | instskip(NEXT) | instid1(VALU_DEP_1)
	v_clz_i32_u32_e32 v71, v68
	v_min_u32_e32 v71, 32, v71
	s_delay_alu instid0(VALU_DEP_1) | instskip(SKIP_1) | instid1(VALU_DEP_1)
	v_subrev_nc_u32_e32 v114, 28, v71
	v_sub_nc_u32_e32 v71, 29, v71
	v_dual_cndmask_b32 v71, v117, v71 :: v_dual_lshlrev_b32 v114, v114, v21
	s_delay_alu instid0(VALU_DEP_1) | instskip(NEXT) | instid1(VALU_DEP_2)
	v_and_b32_e32 v114, 7, v114
	v_lshl_add_u32 v71, v71, 23, 0x3b800000
	s_delay_alu instid0(VALU_DEP_2) | instskip(SKIP_1) | instid1(VALU_DEP_2)
	v_cndmask_b32_e32 v68, v68, v114, vcc_lo
	v_and_b32_e32 v114, 0x80000000, v128
	v_lshlrev_b32_e32 v68, 20, v68
	s_delay_alu instid0(VALU_DEP_1)
	v_or3_b32 v68, v114, v71, v68
.LBB4_2763:                             ;   in Loop: Header=BB4_2319 Depth=2
	s_or_b32 exec_lo, exec_lo, s27
	s_delay_alu instid0(VALU_DEP_1) | instskip(SKIP_1) | instid1(VALU_DEP_1)
	v_dual_max_f32 v68, v68, v68 :: v_dual_max_f32 v25, v25, v25
	s_mov_b32 s11, 0
	v_max_f32_e32 v25, v25, v68
	s_branch .LBB4_2765
.LBB4_2764:                             ;   in Loop: Header=BB4_2319 Depth=2
	s_mov_b32 s11, -1
                                        ; implicit-def: $vgpr25
.LBB4_2765:                             ;   in Loop: Header=BB4_2319 Depth=2
	s_delay_alu instid0(SALU_CYCLE_1)
	s_and_b32 vcc_lo, exec_lo, s11
	s_cbranch_vccz .LBB4_2775
; %bb.2766:                             ;   in Loop: Header=BB4_2319 Depth=2
	v_and_b32_e32 v68, 0xff, v22
	s_mov_b32 s11, 0
	s_mov_b32 s28, exec_lo
                                        ; implicit-def: $sgpr27
	s_delay_alu instid0(VALU_DEP_1)
	v_cmpx_lt_i16_e32 0x7f, v68
	s_xor_b32 s28, exec_lo, s28
	s_cbranch_execnz .LBB4_3029
; %bb.2767:                             ;   in Loop: Header=BB4_2319 Depth=2
	s_or_saveexec_b32 s28, s28
	v_mov_b32_e32 v25, s27
	s_xor_b32 exec_lo, exec_lo, s28
	s_cbranch_execnz .LBB4_3032
.LBB4_2768:                             ;   in Loop: Header=BB4_2319 Depth=2
	s_or_b32 exec_lo, exec_lo, s28
	s_and_saveexec_b32 s27, s11
	s_cbranch_execz .LBB4_2770
.LBB4_2769:                             ;   in Loop: Header=BB4_2319 Depth=2
	v_lshrrev_b16 v114, 3, v22
	s_delay_alu instid0(VALU_DEP_1) | instskip(NEXT) | instid1(VALU_DEP_1)
	v_and_b32_e32 v114, 15, v114
	v_cmp_eq_u32_e32 vcc_lo, 0, v114
	v_and_b32_e32 v25, 7, v22
	s_delay_alu instid0(VALU_DEP_1) | instskip(NEXT) | instid1(VALU_DEP_1)
	v_clz_i32_u32_e32 v68, v25
	v_min_u32_e32 v68, 32, v68
	s_delay_alu instid0(VALU_DEP_1) | instskip(SKIP_1) | instid1(VALU_DEP_1)
	v_subrev_nc_u32_e32 v71, 28, v68
	v_sub_nc_u32_e32 v68, 29, v68
	v_dual_cndmask_b32 v68, v114, v68 :: v_dual_lshlrev_b32 v71, v71, v22
	v_lshlrev_b32_e32 v22, 24, v22
	s_delay_alu instid0(VALU_DEP_2) | instskip(NEXT) | instid1(VALU_DEP_3)
	v_and_b32_e32 v71, 7, v71
	v_lshl_add_u32 v68, v68, 23, 0x3b800000
	s_delay_alu instid0(VALU_DEP_2) | instskip(NEXT) | instid1(VALU_DEP_1)
	v_dual_cndmask_b32 v25, v25, v71 :: v_dual_and_b32 v22, 0x80000000, v22
	v_lshlrev_b32_e32 v25, 20, v25
	s_delay_alu instid0(VALU_DEP_1)
	v_or3_b32 v25, v22, v68, v25
.LBB4_2770:                             ;   in Loop: Header=BB4_2319 Depth=2
	s_or_b32 exec_lo, exec_lo, s27
	s_waitcnt vmcnt(0) lgkmcnt(0)
	v_and_b32_e32 v68, 0xff, v21
	s_mov_b32 s11, 0
	s_mov_b32 s28, exec_lo
                                        ; implicit-def: $sgpr27
	s_delay_alu instid0(VALU_DEP_1)
	v_cmpx_lt_i16_e32 0x7f, v68
	s_xor_b32 s28, exec_lo, s28
	s_cbranch_execnz .LBB4_3033
; %bb.2771:                             ;   in Loop: Header=BB4_2319 Depth=2
	s_or_saveexec_b32 s28, s28
	v_mov_b32_e32 v22, s27
	s_xor_b32 exec_lo, exec_lo, s28
	s_cbranch_execnz .LBB4_3036
.LBB4_2772:                             ;   in Loop: Header=BB4_2319 Depth=2
	s_or_b32 exec_lo, exec_lo, s28
	s_and_saveexec_b32 s27, s11
	s_cbranch_execz .LBB4_2774
.LBB4_2773:                             ;   in Loop: Header=BB4_2319 Depth=2
	v_and_b32_e32 v22, 7, v21
	v_lshrrev_b16 v114, 3, v21
	s_delay_alu instid0(VALU_DEP_2) | instskip(NEXT) | instid1(VALU_DEP_2)
	v_clz_i32_u32_e32 v68, v22
	v_and_b32_e32 v114, 15, v114
	s_delay_alu instid0(VALU_DEP_2) | instskip(NEXT) | instid1(VALU_DEP_2)
	v_min_u32_e32 v68, 32, v68
	v_cmp_eq_u32_e32 vcc_lo, 0, v114
	s_delay_alu instid0(VALU_DEP_2) | instskip(SKIP_1) | instid1(VALU_DEP_1)
	v_subrev_nc_u32_e32 v71, 28, v68
	v_sub_nc_u32_e32 v68, 29, v68
	v_dual_cndmask_b32 v68, v114, v68 :: v_dual_lshlrev_b32 v71, v71, v21
	s_delay_alu instid0(VALU_DEP_1) | instskip(SKIP_1) | instid1(VALU_DEP_3)
	v_and_b32_e32 v71, 7, v71
	v_lshlrev_b32_e32 v21, 24, v21
	v_lshl_add_u32 v68, v68, 23, 0x3b800000
	s_delay_alu instid0(VALU_DEP_2) | instskip(NEXT) | instid1(VALU_DEP_1)
	v_dual_cndmask_b32 v22, v22, v71 :: v_dual_and_b32 v21, 0x80000000, v21
	v_lshlrev_b32_e32 v22, 20, v22
	s_delay_alu instid0(VALU_DEP_1)
	v_or3_b32 v22, v21, v68, v22
.LBB4_2774:                             ;   in Loop: Header=BB4_2319 Depth=2
	s_or_b32 exec_lo, exec_lo, s27
	s_delay_alu instid0(VALU_DEP_1) | instskip(NEXT) | instid1(VALU_DEP_1)
	v_dual_max_f32 v21, v22, v22 :: v_dual_max_f32 v22, v25, v25
	v_min_f32_e32 v25, v22, v21
.LBB4_2775:                             ;   in Loop: Header=BB4_2319 Depth=2
	s_waitcnt vmcnt(0) lgkmcnt(0)
	s_delay_alu instid0(VALU_DEP_1) | instskip(NEXT) | instid1(VALU_DEP_1)
	v_and_b32_e32 v21, 0x7f800000, v25
	v_cmp_ne_u32_e32 vcc_lo, 0x7f800000, v21
	v_mov_b32_e32 v21, 0x80
	s_and_saveexec_b32 s27, vcc_lo
	s_cbranch_execz .LBB4_2318
; %bb.2776:                             ;   in Loop: Header=BB4_2319 Depth=2
	v_mov_b32_e32 v21, 0
	s_mov_b32 s28, exec_lo
	v_cmpx_ne_u32_e32 0, v25
	s_cbranch_execz .LBB4_2317
; %bb.2777:                             ;   in Loop: Header=BB4_2319 Depth=2
	v_bfe_u32 v21, v25, 23, 8
	v_and_b32_e32 v22, 0x7fffff, v25
	s_delay_alu instid0(VALU_DEP_2) | instskip(SKIP_1) | instid1(VALU_DEP_3)
	v_sub_nc_u32_e32 v68, 0x78, v21
	v_cmp_gt_u32_e32 vcc_lo, 0x79, v21
	v_or_b32_e32 v71, 0x800000, v22
	s_delay_alu instid0(VALU_DEP_3) | instskip(SKIP_2) | instid1(VALU_DEP_3)
	v_cndmask_b32_e32 v68, 0, v68, vcc_lo
	v_cmp_eq_u32_e32 vcc_lo, 0, v21
	v_add_nc_u32_e32 v21, 0xffffff89, v21
	v_cndmask_b32_e64 v68, v68, 0x77, vcc_lo
	v_cndmask_b32_e32 v22, v71, v22, vcc_lo
	s_delay_alu instid0(VALU_DEP_3) | instskip(NEXT) | instid1(VALU_DEP_3)
	v_cndmask_b32_e64 v21, v21, 0xffffff8a, vcc_lo
	v_lshl_add_u32 v71, 0x100000, v68, -1
	s_delay_alu instid0(VALU_DEP_3) | instskip(SKIP_1) | instid1(VALU_DEP_4)
	v_lshrrev_b32_e32 v114, v68, v22
	v_lshlrev_b32_e64 v128, v68, 0x80000
	v_add_nc_u32_e32 v68, v68, v21
	s_delay_alu instid0(VALU_DEP_4) | instskip(NEXT) | instid1(VALU_DEP_4)
	v_and_b32_e32 v22, v71, v22
	v_bfe_u32 v117, v114, 20, 1
	s_delay_alu instid0(VALU_DEP_2) | instskip(NEXT) | instid1(VALU_DEP_2)
	v_cmp_eq_u32_e64 s11, v22, v128
	v_add_nc_u32_e32 v71, -1, v117
	s_delay_alu instid0(VALU_DEP_1) | instskip(SKIP_2) | instid1(VALU_DEP_2)
	v_cndmask_b32_e64 v22, 0, v71, s11
	v_lshrrev_b32_e32 v71, 23, v114
	s_mov_b32 s11, exec_lo
	v_add_nc_u32_e32 v22, v22, v114
	s_delay_alu instid0(VALU_DEP_2) | instskip(NEXT) | instid1(VALU_DEP_2)
	v_xor_b32_e32 v71, 1, v71
	v_and_b32_e32 v21, 0xfffff, v22
	s_delay_alu instid0(VALU_DEP_1) | instskip(NEXT) | instid1(VALU_DEP_3)
	v_add_nc_u32_e32 v22, v21, v114
                                        ; implicit-def: $vgpr21
	v_cmpx_ne_u32_e64 v68, v71
	s_xor_b32 s11, exec_lo, s11
; %bb.2778:                             ;   in Loop: Header=BB4_2319 Depth=2
	s_delay_alu instid0(VALU_DEP_2) | instskip(SKIP_2) | instid1(VALU_DEP_2)
	v_cmp_lt_u32_e32 vcc_lo, 0xffffff, v22
	v_sub_nc_u32_e32 v21, v68, v71
	v_cndmask_b32_e64 v68, 0, 1, vcc_lo
	v_add_co_ci_u32_e32 v21, vcc_lo, 0, v21, vcc_lo
	s_delay_alu instid0(VALU_DEP_2)
	v_lshrrev_b32_e32 v22, v68, v22
; %bb.2779:                             ;   in Loop: Header=BB4_2319 Depth=2
	s_and_not1_saveexec_b32 s11, s11
	s_cbranch_execz .LBB4_2316
; %bb.2780:                             ;   in Loop: Header=BB4_2319 Depth=2
	s_delay_alu instid0(VALU_DEP_1)
	v_bfe_u32 v21, v22, 23, 1
	s_branch .LBB4_2316
.LBB4_2781:                             ;   in Loop: Header=BB4_2319 Depth=2
	s_mov_b32 s11, -1
	s_mov_b32 s29, exec_lo
                                        ; implicit-def: $sgpr27
	v_cmpx_eq_u16_e64 0x80, v150
; %bb.2782:                             ;   in Loop: Header=BB4_2319 Depth=2
	s_mov_b32 s27, 0x7f800001
	s_xor_b32 s11, exec_lo, -1
; %bb.2783:                             ;   in Loop: Header=BB4_2319 Depth=2
	s_or_b32 exec_lo, exec_lo, s29
	s_delay_alu instid0(SALU_CYCLE_1)
	s_and_b32 s11, s11, exec_lo
                                        ; implicit-def: $vgpr150
	s_or_saveexec_b32 s28, s28
	v_mov_b32_e32 v149, s27
	s_xor_b32 exec_lo, exec_lo, s28
	s_cbranch_execz .LBB4_2322
.LBB4_2784:                             ;   in Loop: Header=BB4_2319 Depth=2
	v_cmp_ne_u16_e64 vcc_lo, 0, v150
	v_mov_b32_e32 v149, 0
	s_and_not1_b32 s11, s11, exec_lo
	s_delay_alu instid0(VALU_DEP_2) | instskip(NEXT) | instid1(SALU_CYCLE_1)
	s_and_b32 s27, vcc_lo, exec_lo
	s_or_b32 s11, s11, s27
	s_or_b32 exec_lo, exec_lo, s28
	s_and_saveexec_b32 s27, s11
	s_cbranch_execnz .LBB4_2323
	s_branch .LBB4_2324
.LBB4_2785:                             ;   in Loop: Header=BB4_2319 Depth=2
	s_mov_b32 s11, -1
	s_mov_b32 s29, exec_lo
                                        ; implicit-def: $sgpr27
	v_cmpx_eq_u16_e64 0x80, v151
; %bb.2786:                             ;   in Loop: Header=BB4_2319 Depth=2
	s_mov_b32 s27, 0x7f800001
	s_xor_b32 s11, exec_lo, -1
; %bb.2787:                             ;   in Loop: Header=BB4_2319 Depth=2
	s_or_b32 exec_lo, exec_lo, s29
	s_delay_alu instid0(SALU_CYCLE_1)
	s_and_b32 s11, s11, exec_lo
                                        ; implicit-def: $vgpr151
	s_or_saveexec_b32 s28, s28
	v_mov_b32_e32 v150, s27
	s_xor_b32 exec_lo, exec_lo, s28
	s_cbranch_execz .LBB4_2326
.LBB4_2788:                             ;   in Loop: Header=BB4_2319 Depth=2
	v_cmp_ne_u16_e64 vcc_lo, 0, v151
	v_mov_b32_e32 v150, 0
	s_and_not1_b32 s11, s11, exec_lo
	s_delay_alu instid0(VALU_DEP_2) | instskip(NEXT) | instid1(SALU_CYCLE_1)
	s_and_b32 s27, vcc_lo, exec_lo
	s_or_b32 s11, s11, s27
	s_or_b32 exec_lo, exec_lo, s28
	s_and_saveexec_b32 s27, s11
	s_cbranch_execnz .LBB4_2327
	s_branch .LBB4_2328
.LBB4_2789:                             ;   in Loop: Header=BB4_2319 Depth=2
	s_mov_b32 s11, -1
	s_mov_b32 s29, exec_lo
                                        ; implicit-def: $sgpr27
	v_cmpx_eq_u16_e64 0x80, v150
; %bb.2790:                             ;   in Loop: Header=BB4_2319 Depth=2
	s_mov_b32 s27, 0x7f800001
	s_xor_b32 s11, exec_lo, -1
; %bb.2791:                             ;   in Loop: Header=BB4_2319 Depth=2
	s_or_b32 exec_lo, exec_lo, s29
	s_delay_alu instid0(SALU_CYCLE_1)
	s_and_b32 s11, s11, exec_lo
                                        ; implicit-def: $vgpr150
	s_or_saveexec_b32 s28, s28
	v_mov_b32_e32 v149, s27
	s_xor_b32 exec_lo, exec_lo, s28
	s_cbranch_execz .LBB4_2333
.LBB4_2792:                             ;   in Loop: Header=BB4_2319 Depth=2
	v_cmp_ne_u16_e64 vcc_lo, 0, v150
	v_mov_b32_e32 v149, 0
	s_and_not1_b32 s11, s11, exec_lo
	s_delay_alu instid0(VALU_DEP_2) | instskip(NEXT) | instid1(SALU_CYCLE_1)
	s_and_b32 s27, vcc_lo, exec_lo
	s_or_b32 s11, s11, s27
	s_or_b32 exec_lo, exec_lo, s28
	s_and_saveexec_b32 s27, s11
	s_cbranch_execnz .LBB4_2334
	s_branch .LBB4_2335
.LBB4_2793:                             ;   in Loop: Header=BB4_2319 Depth=2
	s_mov_b32 s11, -1
	s_mov_b32 s29, exec_lo
                                        ; implicit-def: $sgpr27
	v_cmpx_eq_u16_e64 0x80, v150
; %bb.2794:                             ;   in Loop: Header=BB4_2319 Depth=2
	s_mov_b32 s27, 0x7f800001
	s_xor_b32 s11, exec_lo, -1
; %bb.2795:                             ;   in Loop: Header=BB4_2319 Depth=2
	s_or_b32 exec_lo, exec_lo, s29
	s_delay_alu instid0(SALU_CYCLE_1)
	s_and_b32 s11, s11, exec_lo
                                        ; implicit-def: $vgpr150
	s_or_saveexec_b32 s28, s28
	v_mov_b32_e32 v148, s27
	s_xor_b32 exec_lo, exec_lo, s28
	s_cbranch_execz .LBB4_2337
.LBB4_2796:                             ;   in Loop: Header=BB4_2319 Depth=2
	v_cmp_ne_u16_e64 vcc_lo, 0, v150
	v_mov_b32_e32 v148, 0
	s_and_not1_b32 s11, s11, exec_lo
	s_delay_alu instid0(VALU_DEP_2) | instskip(NEXT) | instid1(SALU_CYCLE_1)
	s_and_b32 s27, vcc_lo, exec_lo
	s_or_b32 s11, s11, s27
	s_or_b32 exec_lo, exec_lo, s28
	s_and_saveexec_b32 s27, s11
	s_cbranch_execnz .LBB4_2338
	s_branch .LBB4_2339
.LBB4_2797:                             ;   in Loop: Header=BB4_2319 Depth=2
	s_mov_b32 s11, -1
	s_mov_b32 s29, exec_lo
                                        ; implicit-def: $sgpr27
	v_cmpx_eq_u16_e64 0x80, v149
; %bb.2798:                             ;   in Loop: Header=BB4_2319 Depth=2
	s_mov_b32 s27, 0x7f800001
	s_xor_b32 s11, exec_lo, -1
; %bb.2799:                             ;   in Loop: Header=BB4_2319 Depth=2
	s_or_b32 exec_lo, exec_lo, s29
	s_delay_alu instid0(SALU_CYCLE_1)
	s_and_b32 s11, s11, exec_lo
                                        ; implicit-def: $vgpr149
	s_or_saveexec_b32 s28, s28
	v_mov_b32_e32 v148, s27
	s_xor_b32 exec_lo, exec_lo, s28
	s_cbranch_execz .LBB4_2351
.LBB4_2800:                             ;   in Loop: Header=BB4_2319 Depth=2
	v_cmp_ne_u16_e64 vcc_lo, 0, v149
	v_mov_b32_e32 v148, 0
	s_and_not1_b32 s11, s11, exec_lo
	s_delay_alu instid0(VALU_DEP_2) | instskip(NEXT) | instid1(SALU_CYCLE_1)
	s_and_b32 s27, vcc_lo, exec_lo
	s_or_b32 s11, s11, s27
	s_or_b32 exec_lo, exec_lo, s28
	s_and_saveexec_b32 s27, s11
	s_cbranch_execnz .LBB4_2352
	s_branch .LBB4_2353
.LBB4_2801:                             ;   in Loop: Header=BB4_2319 Depth=2
	s_mov_b32 s11, -1
	s_mov_b32 s29, exec_lo
                                        ; implicit-def: $sgpr27
	v_cmpx_eq_u16_e64 0x80, v150
; %bb.2802:                             ;   in Loop: Header=BB4_2319 Depth=2
	s_mov_b32 s27, 0x7f800001
	s_xor_b32 s11, exec_lo, -1
; %bb.2803:                             ;   in Loop: Header=BB4_2319 Depth=2
	s_or_b32 exec_lo, exec_lo, s29
	s_delay_alu instid0(SALU_CYCLE_1)
	s_and_b32 s11, s11, exec_lo
                                        ; implicit-def: $vgpr150
	s_or_saveexec_b32 s28, s28
	v_mov_b32_e32 v149, s27
	s_xor_b32 exec_lo, exec_lo, s28
	s_cbranch_execz .LBB4_2355
.LBB4_2804:                             ;   in Loop: Header=BB4_2319 Depth=2
	v_cmp_ne_u16_e64 vcc_lo, 0, v150
	v_mov_b32_e32 v149, 0
	s_and_not1_b32 s11, s11, exec_lo
	s_delay_alu instid0(VALU_DEP_2) | instskip(NEXT) | instid1(SALU_CYCLE_1)
	s_and_b32 s27, vcc_lo, exec_lo
	s_or_b32 s11, s11, s27
	s_or_b32 exec_lo, exec_lo, s28
	s_and_saveexec_b32 s27, s11
	s_cbranch_execnz .LBB4_2356
	s_branch .LBB4_2357
.LBB4_2805:                             ;   in Loop: Header=BB4_2319 Depth=2
	s_mov_b32 s11, -1
	s_mov_b32 s29, exec_lo
                                        ; implicit-def: $sgpr27
	v_cmpx_eq_u16_e64 0x80, v149
; %bb.2806:                             ;   in Loop: Header=BB4_2319 Depth=2
	s_mov_b32 s27, 0x7f800001
	s_xor_b32 s11, exec_lo, -1
; %bb.2807:                             ;   in Loop: Header=BB4_2319 Depth=2
	s_or_b32 exec_lo, exec_lo, s29
	s_delay_alu instid0(SALU_CYCLE_1)
	s_and_b32 s11, s11, exec_lo
                                        ; implicit-def: $vgpr149
	s_or_saveexec_b32 s28, s28
	v_mov_b32_e32 v148, s27
	s_xor_b32 exec_lo, exec_lo, s28
	s_cbranch_execz .LBB4_2362
.LBB4_2808:                             ;   in Loop: Header=BB4_2319 Depth=2
	v_cmp_ne_u16_e64 vcc_lo, 0, v149
	v_mov_b32_e32 v148, 0
	s_and_not1_b32 s11, s11, exec_lo
	s_delay_alu instid0(VALU_DEP_2) | instskip(NEXT) | instid1(SALU_CYCLE_1)
	s_and_b32 s27, vcc_lo, exec_lo
	s_or_b32 s11, s11, s27
	s_or_b32 exec_lo, exec_lo, s28
	s_and_saveexec_b32 s27, s11
	s_cbranch_execnz .LBB4_2363
	s_branch .LBB4_2364
.LBB4_2809:                             ;   in Loop: Header=BB4_2319 Depth=2
	s_mov_b32 s11, -1
	s_mov_b32 s29, exec_lo
                                        ; implicit-def: $sgpr27
	v_cmpx_eq_u16_e64 0x80, v149
; %bb.2810:                             ;   in Loop: Header=BB4_2319 Depth=2
	s_mov_b32 s27, 0x7f800001
	s_xor_b32 s11, exec_lo, -1
; %bb.2811:                             ;   in Loop: Header=BB4_2319 Depth=2
	s_or_b32 exec_lo, exec_lo, s29
	s_delay_alu instid0(SALU_CYCLE_1)
	s_and_b32 s11, s11, exec_lo
                                        ; implicit-def: $vgpr149
	s_or_saveexec_b32 s28, s28
	v_mov_b32_e32 v147, s27
	s_xor_b32 exec_lo, exec_lo, s28
	s_cbranch_execz .LBB4_2366
.LBB4_2812:                             ;   in Loop: Header=BB4_2319 Depth=2
	v_cmp_ne_u16_e64 vcc_lo, 0, v149
	v_mov_b32_e32 v147, 0
	s_and_not1_b32 s11, s11, exec_lo
	s_delay_alu instid0(VALU_DEP_2) | instskip(NEXT) | instid1(SALU_CYCLE_1)
	s_and_b32 s27, vcc_lo, exec_lo
	s_or_b32 s11, s11, s27
	s_or_b32 exec_lo, exec_lo, s28
	s_and_saveexec_b32 s27, s11
	s_cbranch_execnz .LBB4_2367
	s_branch .LBB4_2368
.LBB4_2813:                             ;   in Loop: Header=BB4_2319 Depth=2
	s_mov_b32 s11, -1
	s_mov_b32 s29, exec_lo
                                        ; implicit-def: $sgpr27
	v_cmpx_eq_u16_e64 0x80, v148
; %bb.2814:                             ;   in Loop: Header=BB4_2319 Depth=2
	s_mov_b32 s27, 0x7f800001
	s_xor_b32 s11, exec_lo, -1
; %bb.2815:                             ;   in Loop: Header=BB4_2319 Depth=2
	s_or_b32 exec_lo, exec_lo, s29
	s_delay_alu instid0(SALU_CYCLE_1)
	s_and_b32 s11, s11, exec_lo
                                        ; implicit-def: $vgpr148
	s_or_saveexec_b32 s28, s28
	v_mov_b32_e32 v147, s27
	s_xor_b32 exec_lo, exec_lo, s28
	s_cbranch_execz .LBB4_2380
.LBB4_2816:                             ;   in Loop: Header=BB4_2319 Depth=2
	v_cmp_ne_u16_e64 vcc_lo, 0, v148
	v_mov_b32_e32 v147, 0
	s_and_not1_b32 s11, s11, exec_lo
	s_delay_alu instid0(VALU_DEP_2) | instskip(NEXT) | instid1(SALU_CYCLE_1)
	s_and_b32 s27, vcc_lo, exec_lo
	s_or_b32 s11, s11, s27
	s_or_b32 exec_lo, exec_lo, s28
	s_and_saveexec_b32 s27, s11
	s_cbranch_execnz .LBB4_2381
	s_branch .LBB4_2382
.LBB4_2817:                             ;   in Loop: Header=BB4_2319 Depth=2
	s_mov_b32 s11, -1
	s_mov_b32 s29, exec_lo
                                        ; implicit-def: $sgpr27
	v_cmpx_eq_u16_e64 0x80, v149
; %bb.2818:                             ;   in Loop: Header=BB4_2319 Depth=2
	s_mov_b32 s27, 0x7f800001
	s_xor_b32 s11, exec_lo, -1
; %bb.2819:                             ;   in Loop: Header=BB4_2319 Depth=2
	s_or_b32 exec_lo, exec_lo, s29
	s_delay_alu instid0(SALU_CYCLE_1)
	s_and_b32 s11, s11, exec_lo
                                        ; implicit-def: $vgpr149
	s_or_saveexec_b32 s28, s28
	v_mov_b32_e32 v148, s27
	s_xor_b32 exec_lo, exec_lo, s28
	s_cbranch_execz .LBB4_2384
.LBB4_2820:                             ;   in Loop: Header=BB4_2319 Depth=2
	v_cmp_ne_u16_e64 vcc_lo, 0, v149
	v_mov_b32_e32 v148, 0
	s_and_not1_b32 s11, s11, exec_lo
	s_delay_alu instid0(VALU_DEP_2) | instskip(NEXT) | instid1(SALU_CYCLE_1)
	s_and_b32 s27, vcc_lo, exec_lo
	s_or_b32 s11, s11, s27
	s_or_b32 exec_lo, exec_lo, s28
	s_and_saveexec_b32 s27, s11
	s_cbranch_execnz .LBB4_2385
	s_branch .LBB4_2386
.LBB4_2821:                             ;   in Loop: Header=BB4_2319 Depth=2
	s_mov_b32 s11, -1
	s_mov_b32 s29, exec_lo
                                        ; implicit-def: $sgpr27
	v_cmpx_eq_u16_e64 0x80, v148
; %bb.2822:                             ;   in Loop: Header=BB4_2319 Depth=2
	s_mov_b32 s27, 0x7f800001
	s_xor_b32 s11, exec_lo, -1
; %bb.2823:                             ;   in Loop: Header=BB4_2319 Depth=2
	s_or_b32 exec_lo, exec_lo, s29
	s_delay_alu instid0(SALU_CYCLE_1)
	s_and_b32 s11, s11, exec_lo
                                        ; implicit-def: $vgpr148
	s_or_saveexec_b32 s28, s28
	v_mov_b32_e32 v147, s27
	s_xor_b32 exec_lo, exec_lo, s28
	s_cbranch_execz .LBB4_2391
.LBB4_2824:                             ;   in Loop: Header=BB4_2319 Depth=2
	v_cmp_ne_u16_e64 vcc_lo, 0, v148
	v_mov_b32_e32 v147, 0
	s_and_not1_b32 s11, s11, exec_lo
	s_delay_alu instid0(VALU_DEP_2) | instskip(NEXT) | instid1(SALU_CYCLE_1)
	s_and_b32 s27, vcc_lo, exec_lo
	s_or_b32 s11, s11, s27
	s_or_b32 exec_lo, exec_lo, s28
	s_and_saveexec_b32 s27, s11
	s_cbranch_execnz .LBB4_2392
	s_branch .LBB4_2393
.LBB4_2825:                             ;   in Loop: Header=BB4_2319 Depth=2
	s_mov_b32 s11, -1
	s_mov_b32 s29, exec_lo
                                        ; implicit-def: $sgpr27
	v_cmpx_eq_u16_e64 0x80, v148
; %bb.2826:                             ;   in Loop: Header=BB4_2319 Depth=2
	s_mov_b32 s27, 0x7f800001
	s_xor_b32 s11, exec_lo, -1
; %bb.2827:                             ;   in Loop: Header=BB4_2319 Depth=2
	s_or_b32 exec_lo, exec_lo, s29
	s_delay_alu instid0(SALU_CYCLE_1)
	s_and_b32 s11, s11, exec_lo
                                        ; implicit-def: $vgpr148
	s_or_saveexec_b32 s28, s28
	v_mov_b32_e32 v146, s27
	s_xor_b32 exec_lo, exec_lo, s28
	s_cbranch_execz .LBB4_2395
.LBB4_2828:                             ;   in Loop: Header=BB4_2319 Depth=2
	v_cmp_ne_u16_e64 vcc_lo, 0, v148
	v_mov_b32_e32 v146, 0
	s_and_not1_b32 s11, s11, exec_lo
	s_delay_alu instid0(VALU_DEP_2) | instskip(NEXT) | instid1(SALU_CYCLE_1)
	s_and_b32 s27, vcc_lo, exec_lo
	s_or_b32 s11, s11, s27
	s_or_b32 exec_lo, exec_lo, s28
	s_and_saveexec_b32 s27, s11
	s_cbranch_execnz .LBB4_2396
	s_branch .LBB4_2397
.LBB4_2829:                             ;   in Loop: Header=BB4_2319 Depth=2
	s_mov_b32 s11, -1
	s_mov_b32 s29, exec_lo
                                        ; implicit-def: $sgpr27
	v_cmpx_eq_u16_e64 0x80, v147
; %bb.2830:                             ;   in Loop: Header=BB4_2319 Depth=2
	s_mov_b32 s27, 0x7f800001
	s_xor_b32 s11, exec_lo, -1
; %bb.2831:                             ;   in Loop: Header=BB4_2319 Depth=2
	s_or_b32 exec_lo, exec_lo, s29
	s_delay_alu instid0(SALU_CYCLE_1)
	s_and_b32 s11, s11, exec_lo
                                        ; implicit-def: $vgpr147
	s_or_saveexec_b32 s28, s28
	v_mov_b32_e32 v146, s27
	s_xor_b32 exec_lo, exec_lo, s28
	s_cbranch_execz .LBB4_2409
.LBB4_2832:                             ;   in Loop: Header=BB4_2319 Depth=2
	v_cmp_ne_u16_e64 vcc_lo, 0, v147
	v_mov_b32_e32 v146, 0
	s_and_not1_b32 s11, s11, exec_lo
	s_delay_alu instid0(VALU_DEP_2) | instskip(NEXT) | instid1(SALU_CYCLE_1)
	s_and_b32 s27, vcc_lo, exec_lo
	s_or_b32 s11, s11, s27
	s_or_b32 exec_lo, exec_lo, s28
	s_and_saveexec_b32 s27, s11
	s_cbranch_execnz .LBB4_2410
	s_branch .LBB4_2411
.LBB4_2833:                             ;   in Loop: Header=BB4_2319 Depth=2
	s_mov_b32 s11, -1
	s_mov_b32 s29, exec_lo
                                        ; implicit-def: $sgpr27
	v_cmpx_eq_u16_e64 0x80, v148
; %bb.2834:                             ;   in Loop: Header=BB4_2319 Depth=2
	s_mov_b32 s27, 0x7f800001
	s_xor_b32 s11, exec_lo, -1
; %bb.2835:                             ;   in Loop: Header=BB4_2319 Depth=2
	s_or_b32 exec_lo, exec_lo, s29
	s_delay_alu instid0(SALU_CYCLE_1)
	s_and_b32 s11, s11, exec_lo
                                        ; implicit-def: $vgpr148
	s_or_saveexec_b32 s28, s28
	v_mov_b32_e32 v147, s27
	s_xor_b32 exec_lo, exec_lo, s28
	s_cbranch_execz .LBB4_2413
.LBB4_2836:                             ;   in Loop: Header=BB4_2319 Depth=2
	v_cmp_ne_u16_e64 vcc_lo, 0, v148
	v_mov_b32_e32 v147, 0
	s_and_not1_b32 s11, s11, exec_lo
	s_delay_alu instid0(VALU_DEP_2) | instskip(NEXT) | instid1(SALU_CYCLE_1)
	s_and_b32 s27, vcc_lo, exec_lo
	s_or_b32 s11, s11, s27
	s_or_b32 exec_lo, exec_lo, s28
	s_and_saveexec_b32 s27, s11
	s_cbranch_execnz .LBB4_2414
	s_branch .LBB4_2415
.LBB4_2837:                             ;   in Loop: Header=BB4_2319 Depth=2
	s_mov_b32 s11, -1
	s_mov_b32 s29, exec_lo
                                        ; implicit-def: $sgpr27
	v_cmpx_eq_u16_e64 0x80, v147
; %bb.2838:                             ;   in Loop: Header=BB4_2319 Depth=2
	s_mov_b32 s27, 0x7f800001
	s_xor_b32 s11, exec_lo, -1
; %bb.2839:                             ;   in Loop: Header=BB4_2319 Depth=2
	s_or_b32 exec_lo, exec_lo, s29
	s_delay_alu instid0(SALU_CYCLE_1)
	s_and_b32 s11, s11, exec_lo
                                        ; implicit-def: $vgpr147
	s_or_saveexec_b32 s28, s28
	v_mov_b32_e32 v146, s27
	s_xor_b32 exec_lo, exec_lo, s28
	s_cbranch_execz .LBB4_2420
.LBB4_2840:                             ;   in Loop: Header=BB4_2319 Depth=2
	v_cmp_ne_u16_e64 vcc_lo, 0, v147
	v_mov_b32_e32 v146, 0
	s_and_not1_b32 s11, s11, exec_lo
	s_delay_alu instid0(VALU_DEP_2) | instskip(NEXT) | instid1(SALU_CYCLE_1)
	s_and_b32 s27, vcc_lo, exec_lo
	s_or_b32 s11, s11, s27
	s_or_b32 exec_lo, exec_lo, s28
	s_and_saveexec_b32 s27, s11
	s_cbranch_execnz .LBB4_2421
	s_branch .LBB4_2422
.LBB4_2841:                             ;   in Loop: Header=BB4_2319 Depth=2
	s_mov_b32 s11, -1
	s_mov_b32 s29, exec_lo
                                        ; implicit-def: $sgpr27
	v_cmpx_eq_u16_e64 0x80, v147
; %bb.2842:                             ;   in Loop: Header=BB4_2319 Depth=2
	s_mov_b32 s27, 0x7f800001
	s_xor_b32 s11, exec_lo, -1
; %bb.2843:                             ;   in Loop: Header=BB4_2319 Depth=2
	s_or_b32 exec_lo, exec_lo, s29
	s_delay_alu instid0(SALU_CYCLE_1)
	s_and_b32 s11, s11, exec_lo
                                        ; implicit-def: $vgpr147
	s_or_saveexec_b32 s28, s28
	v_mov_b32_e32 v145, s27
	s_xor_b32 exec_lo, exec_lo, s28
	s_cbranch_execz .LBB4_2424
.LBB4_2844:                             ;   in Loop: Header=BB4_2319 Depth=2
	v_cmp_ne_u16_e64 vcc_lo, 0, v147
	v_mov_b32_e32 v145, 0
	s_and_not1_b32 s11, s11, exec_lo
	s_delay_alu instid0(VALU_DEP_2) | instskip(NEXT) | instid1(SALU_CYCLE_1)
	s_and_b32 s27, vcc_lo, exec_lo
	s_or_b32 s11, s11, s27
	s_or_b32 exec_lo, exec_lo, s28
	s_and_saveexec_b32 s27, s11
	s_cbranch_execnz .LBB4_2425
	s_branch .LBB4_2426
.LBB4_2845:                             ;   in Loop: Header=BB4_2319 Depth=2
	s_mov_b32 s11, -1
	s_mov_b32 s29, exec_lo
                                        ; implicit-def: $sgpr27
	v_cmpx_eq_u16_e64 0x80, v146
; %bb.2846:                             ;   in Loop: Header=BB4_2319 Depth=2
	s_mov_b32 s27, 0x7f800001
	s_xor_b32 s11, exec_lo, -1
; %bb.2847:                             ;   in Loop: Header=BB4_2319 Depth=2
	s_or_b32 exec_lo, exec_lo, s29
	s_delay_alu instid0(SALU_CYCLE_1)
	s_and_b32 s11, s11, exec_lo
                                        ; implicit-def: $vgpr146
	s_or_saveexec_b32 s28, s28
	v_mov_b32_e32 v145, s27
	s_xor_b32 exec_lo, exec_lo, s28
	s_cbranch_execz .LBB4_2438
.LBB4_2848:                             ;   in Loop: Header=BB4_2319 Depth=2
	v_cmp_ne_u16_e64 vcc_lo, 0, v146
	v_mov_b32_e32 v145, 0
	s_and_not1_b32 s11, s11, exec_lo
	s_delay_alu instid0(VALU_DEP_2) | instskip(NEXT) | instid1(SALU_CYCLE_1)
	s_and_b32 s27, vcc_lo, exec_lo
	s_or_b32 s11, s11, s27
	s_or_b32 exec_lo, exec_lo, s28
	s_and_saveexec_b32 s27, s11
	s_cbranch_execnz .LBB4_2439
	s_branch .LBB4_2440
.LBB4_2849:                             ;   in Loop: Header=BB4_2319 Depth=2
	s_mov_b32 s11, -1
	s_mov_b32 s29, exec_lo
                                        ; implicit-def: $sgpr27
	v_cmpx_eq_u16_e64 0x80, v147
; %bb.2850:                             ;   in Loop: Header=BB4_2319 Depth=2
	s_mov_b32 s27, 0x7f800001
	s_xor_b32 s11, exec_lo, -1
; %bb.2851:                             ;   in Loop: Header=BB4_2319 Depth=2
	s_or_b32 exec_lo, exec_lo, s29
	s_delay_alu instid0(SALU_CYCLE_1)
	s_and_b32 s11, s11, exec_lo
                                        ; implicit-def: $vgpr147
	s_or_saveexec_b32 s28, s28
	v_mov_b32_e32 v146, s27
	s_xor_b32 exec_lo, exec_lo, s28
	s_cbranch_execz .LBB4_2442
.LBB4_2852:                             ;   in Loop: Header=BB4_2319 Depth=2
	v_cmp_ne_u16_e64 vcc_lo, 0, v147
	v_mov_b32_e32 v146, 0
	s_and_not1_b32 s11, s11, exec_lo
	s_delay_alu instid0(VALU_DEP_2) | instskip(NEXT) | instid1(SALU_CYCLE_1)
	s_and_b32 s27, vcc_lo, exec_lo
	s_or_b32 s11, s11, s27
	s_or_b32 exec_lo, exec_lo, s28
	s_and_saveexec_b32 s27, s11
	s_cbranch_execnz .LBB4_2443
	s_branch .LBB4_2444
.LBB4_2853:                             ;   in Loop: Header=BB4_2319 Depth=2
	s_mov_b32 s11, -1
	s_mov_b32 s29, exec_lo
                                        ; implicit-def: $sgpr27
	v_cmpx_eq_u16_e64 0x80, v146
; %bb.2854:                             ;   in Loop: Header=BB4_2319 Depth=2
	s_mov_b32 s27, 0x7f800001
	s_xor_b32 s11, exec_lo, -1
; %bb.2855:                             ;   in Loop: Header=BB4_2319 Depth=2
	s_or_b32 exec_lo, exec_lo, s29
	s_delay_alu instid0(SALU_CYCLE_1)
	s_and_b32 s11, s11, exec_lo
                                        ; implicit-def: $vgpr146
	s_or_saveexec_b32 s28, s28
	v_mov_b32_e32 v145, s27
	s_xor_b32 exec_lo, exec_lo, s28
	s_cbranch_execz .LBB4_2449
.LBB4_2856:                             ;   in Loop: Header=BB4_2319 Depth=2
	v_cmp_ne_u16_e64 vcc_lo, 0, v146
	v_mov_b32_e32 v145, 0
	s_and_not1_b32 s11, s11, exec_lo
	s_delay_alu instid0(VALU_DEP_2) | instskip(NEXT) | instid1(SALU_CYCLE_1)
	s_and_b32 s27, vcc_lo, exec_lo
	s_or_b32 s11, s11, s27
	s_or_b32 exec_lo, exec_lo, s28
	s_and_saveexec_b32 s27, s11
	s_cbranch_execnz .LBB4_2450
	s_branch .LBB4_2451
.LBB4_2857:                             ;   in Loop: Header=BB4_2319 Depth=2
	s_mov_b32 s11, -1
	s_mov_b32 s29, exec_lo
                                        ; implicit-def: $sgpr27
	v_cmpx_eq_u16_e64 0x80, v146
; %bb.2858:                             ;   in Loop: Header=BB4_2319 Depth=2
	s_mov_b32 s27, 0x7f800001
	s_xor_b32 s11, exec_lo, -1
; %bb.2859:                             ;   in Loop: Header=BB4_2319 Depth=2
	s_or_b32 exec_lo, exec_lo, s29
	s_delay_alu instid0(SALU_CYCLE_1)
	s_and_b32 s11, s11, exec_lo
                                        ; implicit-def: $vgpr146
	s_or_saveexec_b32 s28, s28
	v_mov_b32_e32 v144, s27
	s_xor_b32 exec_lo, exec_lo, s28
	s_cbranch_execz .LBB4_2453
.LBB4_2860:                             ;   in Loop: Header=BB4_2319 Depth=2
	v_cmp_ne_u16_e64 vcc_lo, 0, v146
	v_mov_b32_e32 v144, 0
	s_and_not1_b32 s11, s11, exec_lo
	s_delay_alu instid0(VALU_DEP_2) | instskip(NEXT) | instid1(SALU_CYCLE_1)
	s_and_b32 s27, vcc_lo, exec_lo
	s_or_b32 s11, s11, s27
	s_or_b32 exec_lo, exec_lo, s28
	s_and_saveexec_b32 s27, s11
	s_cbranch_execnz .LBB4_2454
	s_branch .LBB4_2455
.LBB4_2861:                             ;   in Loop: Header=BB4_2319 Depth=2
	s_mov_b32 s11, -1
	s_mov_b32 s29, exec_lo
                                        ; implicit-def: $sgpr27
	v_cmpx_eq_u16_e64 0x80, v145
; %bb.2862:                             ;   in Loop: Header=BB4_2319 Depth=2
	s_mov_b32 s27, 0x7f800001
	s_xor_b32 s11, exec_lo, -1
; %bb.2863:                             ;   in Loop: Header=BB4_2319 Depth=2
	s_or_b32 exec_lo, exec_lo, s29
	s_delay_alu instid0(SALU_CYCLE_1)
	s_and_b32 s11, s11, exec_lo
                                        ; implicit-def: $vgpr145
	s_or_saveexec_b32 s28, s28
	v_mov_b32_e32 v144, s27
	s_xor_b32 exec_lo, exec_lo, s28
	s_cbranch_execz .LBB4_2467
.LBB4_2864:                             ;   in Loop: Header=BB4_2319 Depth=2
	v_cmp_ne_u16_e64 vcc_lo, 0, v145
	v_mov_b32_e32 v144, 0
	s_and_not1_b32 s11, s11, exec_lo
	s_delay_alu instid0(VALU_DEP_2) | instskip(NEXT) | instid1(SALU_CYCLE_1)
	s_and_b32 s27, vcc_lo, exec_lo
	s_or_b32 s11, s11, s27
	s_or_b32 exec_lo, exec_lo, s28
	s_and_saveexec_b32 s27, s11
	s_cbranch_execnz .LBB4_2468
	s_branch .LBB4_2469
.LBB4_2865:                             ;   in Loop: Header=BB4_2319 Depth=2
	s_mov_b32 s11, -1
	s_mov_b32 s29, exec_lo
                                        ; implicit-def: $sgpr27
	v_cmpx_eq_u16_e64 0x80, v146
; %bb.2866:                             ;   in Loop: Header=BB4_2319 Depth=2
	s_mov_b32 s27, 0x7f800001
	s_xor_b32 s11, exec_lo, -1
; %bb.2867:                             ;   in Loop: Header=BB4_2319 Depth=2
	s_or_b32 exec_lo, exec_lo, s29
	s_delay_alu instid0(SALU_CYCLE_1)
	s_and_b32 s11, s11, exec_lo
                                        ; implicit-def: $vgpr146
	s_or_saveexec_b32 s28, s28
	v_mov_b32_e32 v145, s27
	s_xor_b32 exec_lo, exec_lo, s28
	s_cbranch_execz .LBB4_2471
.LBB4_2868:                             ;   in Loop: Header=BB4_2319 Depth=2
	v_cmp_ne_u16_e64 vcc_lo, 0, v146
	v_mov_b32_e32 v145, 0
	s_and_not1_b32 s11, s11, exec_lo
	s_delay_alu instid0(VALU_DEP_2) | instskip(NEXT) | instid1(SALU_CYCLE_1)
	s_and_b32 s27, vcc_lo, exec_lo
	s_or_b32 s11, s11, s27
	s_or_b32 exec_lo, exec_lo, s28
	s_and_saveexec_b32 s27, s11
	s_cbranch_execnz .LBB4_2472
	s_branch .LBB4_2473
.LBB4_2869:                             ;   in Loop: Header=BB4_2319 Depth=2
	s_mov_b32 s11, -1
	s_mov_b32 s29, exec_lo
                                        ; implicit-def: $sgpr27
	v_cmpx_eq_u16_e64 0x80, v145
; %bb.2870:                             ;   in Loop: Header=BB4_2319 Depth=2
	s_mov_b32 s27, 0x7f800001
	s_xor_b32 s11, exec_lo, -1
; %bb.2871:                             ;   in Loop: Header=BB4_2319 Depth=2
	s_or_b32 exec_lo, exec_lo, s29
	s_delay_alu instid0(SALU_CYCLE_1)
	s_and_b32 s11, s11, exec_lo
                                        ; implicit-def: $vgpr145
	s_or_saveexec_b32 s28, s28
	v_mov_b32_e32 v144, s27
	s_xor_b32 exec_lo, exec_lo, s28
	s_cbranch_execz .LBB4_2478
.LBB4_2872:                             ;   in Loop: Header=BB4_2319 Depth=2
	v_cmp_ne_u16_e64 vcc_lo, 0, v145
	v_mov_b32_e32 v144, 0
	s_and_not1_b32 s11, s11, exec_lo
	s_delay_alu instid0(VALU_DEP_2) | instskip(NEXT) | instid1(SALU_CYCLE_1)
	s_and_b32 s27, vcc_lo, exec_lo
	s_or_b32 s11, s11, s27
	s_or_b32 exec_lo, exec_lo, s28
	s_and_saveexec_b32 s27, s11
	s_cbranch_execnz .LBB4_2479
	s_branch .LBB4_2480
.LBB4_2873:                             ;   in Loop: Header=BB4_2319 Depth=2
	s_mov_b32 s11, -1
	s_mov_b32 s29, exec_lo
                                        ; implicit-def: $sgpr27
	v_cmpx_eq_u16_e64 0x80, v145
; %bb.2874:                             ;   in Loop: Header=BB4_2319 Depth=2
	s_mov_b32 s27, 0x7f800001
	s_xor_b32 s11, exec_lo, -1
; %bb.2875:                             ;   in Loop: Header=BB4_2319 Depth=2
	s_or_b32 exec_lo, exec_lo, s29
	s_delay_alu instid0(SALU_CYCLE_1)
	s_and_b32 s11, s11, exec_lo
                                        ; implicit-def: $vgpr145
	s_or_saveexec_b32 s28, s28
	v_mov_b32_e32 v135, s27
	s_xor_b32 exec_lo, exec_lo, s28
	s_cbranch_execz .LBB4_2482
.LBB4_2876:                             ;   in Loop: Header=BB4_2319 Depth=2
	v_cmp_ne_u16_e64 vcc_lo, 0, v145
	v_mov_b32_e32 v135, 0
	s_and_not1_b32 s11, s11, exec_lo
	s_delay_alu instid0(VALU_DEP_2) | instskip(NEXT) | instid1(SALU_CYCLE_1)
	s_and_b32 s27, vcc_lo, exec_lo
	s_or_b32 s11, s11, s27
	s_or_b32 exec_lo, exec_lo, s28
	s_and_saveexec_b32 s27, s11
	s_cbranch_execnz .LBB4_2483
	s_branch .LBB4_2484
.LBB4_2877:                             ;   in Loop: Header=BB4_2319 Depth=2
	s_mov_b32 s11, -1
	s_mov_b32 s29, exec_lo
                                        ; implicit-def: $sgpr27
	v_cmpx_eq_u16_e64 0x80, v144
; %bb.2878:                             ;   in Loop: Header=BB4_2319 Depth=2
	s_mov_b32 s27, 0x7f800001
	s_xor_b32 s11, exec_lo, -1
; %bb.2879:                             ;   in Loop: Header=BB4_2319 Depth=2
	s_or_b32 exec_lo, exec_lo, s29
	s_delay_alu instid0(SALU_CYCLE_1)
	s_and_b32 s11, s11, exec_lo
                                        ; implicit-def: $vgpr144
	s_or_saveexec_b32 s28, s28
	v_mov_b32_e32 v135, s27
	s_xor_b32 exec_lo, exec_lo, s28
	s_cbranch_execz .LBB4_2496
.LBB4_2880:                             ;   in Loop: Header=BB4_2319 Depth=2
	v_cmp_ne_u16_e64 vcc_lo, 0, v144
	v_mov_b32_e32 v135, 0
	s_and_not1_b32 s11, s11, exec_lo
	s_delay_alu instid0(VALU_DEP_2) | instskip(NEXT) | instid1(SALU_CYCLE_1)
	s_and_b32 s27, vcc_lo, exec_lo
	s_or_b32 s11, s11, s27
	s_or_b32 exec_lo, exec_lo, s28
	s_and_saveexec_b32 s27, s11
	s_cbranch_execnz .LBB4_2497
	s_branch .LBB4_2498
.LBB4_2881:                             ;   in Loop: Header=BB4_2319 Depth=2
	s_mov_b32 s11, -1
	s_mov_b32 s29, exec_lo
                                        ; implicit-def: $sgpr27
	v_cmpx_eq_u16_e64 0x80, v145
; %bb.2882:                             ;   in Loop: Header=BB4_2319 Depth=2
	s_mov_b32 s27, 0x7f800001
	s_xor_b32 s11, exec_lo, -1
; %bb.2883:                             ;   in Loop: Header=BB4_2319 Depth=2
	s_or_b32 exec_lo, exec_lo, s29
	s_delay_alu instid0(SALU_CYCLE_1)
	s_and_b32 s11, s11, exec_lo
                                        ; implicit-def: $vgpr145
	s_or_saveexec_b32 s28, s28
	v_mov_b32_e32 v144, s27
	s_xor_b32 exec_lo, exec_lo, s28
	s_cbranch_execz .LBB4_2500
.LBB4_2884:                             ;   in Loop: Header=BB4_2319 Depth=2
	v_cmp_ne_u16_e64 vcc_lo, 0, v145
	v_mov_b32_e32 v144, 0
	s_and_not1_b32 s11, s11, exec_lo
	s_delay_alu instid0(VALU_DEP_2) | instskip(NEXT) | instid1(SALU_CYCLE_1)
	s_and_b32 s27, vcc_lo, exec_lo
	s_or_b32 s11, s11, s27
	s_or_b32 exec_lo, exec_lo, s28
	s_and_saveexec_b32 s27, s11
	s_cbranch_execnz .LBB4_2501
	s_branch .LBB4_2502
.LBB4_2885:                             ;   in Loop: Header=BB4_2319 Depth=2
	s_mov_b32 s11, -1
	s_mov_b32 s29, exec_lo
                                        ; implicit-def: $sgpr27
	v_cmpx_eq_u16_e64 0x80, v144
; %bb.2886:                             ;   in Loop: Header=BB4_2319 Depth=2
	s_mov_b32 s27, 0x7f800001
	s_xor_b32 s11, exec_lo, -1
; %bb.2887:                             ;   in Loop: Header=BB4_2319 Depth=2
	s_or_b32 exec_lo, exec_lo, s29
	s_delay_alu instid0(SALU_CYCLE_1)
	s_and_b32 s11, s11, exec_lo
                                        ; implicit-def: $vgpr144
	s_or_saveexec_b32 s28, s28
	v_mov_b32_e32 v135, s27
	s_xor_b32 exec_lo, exec_lo, s28
	s_cbranch_execz .LBB4_2507
.LBB4_2888:                             ;   in Loop: Header=BB4_2319 Depth=2
	v_cmp_ne_u16_e64 vcc_lo, 0, v144
	v_mov_b32_e32 v135, 0
	s_and_not1_b32 s11, s11, exec_lo
	s_delay_alu instid0(VALU_DEP_2) | instskip(NEXT) | instid1(SALU_CYCLE_1)
	s_and_b32 s27, vcc_lo, exec_lo
	s_or_b32 s11, s11, s27
	s_or_b32 exec_lo, exec_lo, s28
	s_and_saveexec_b32 s27, s11
	s_cbranch_execnz .LBB4_2508
	s_branch .LBB4_2509
.LBB4_2889:                             ;   in Loop: Header=BB4_2319 Depth=2
	s_mov_b32 s11, -1
	s_mov_b32 s29, exec_lo
                                        ; implicit-def: $sgpr27
	v_cmpx_eq_u16_e64 0x80, v144
; %bb.2890:                             ;   in Loop: Header=BB4_2319 Depth=2
	s_mov_b32 s27, 0x7f800001
	s_xor_b32 s11, exec_lo, -1
; %bb.2891:                             ;   in Loop: Header=BB4_2319 Depth=2
	s_or_b32 exec_lo, exec_lo, s29
	s_delay_alu instid0(SALU_CYCLE_1)
	s_and_b32 s11, s11, exec_lo
                                        ; implicit-def: $vgpr144
	s_or_saveexec_b32 s28, s28
	v_mov_b32_e32 v134, s27
	s_xor_b32 exec_lo, exec_lo, s28
	s_cbranch_execz .LBB4_2511
.LBB4_2892:                             ;   in Loop: Header=BB4_2319 Depth=2
	v_cmp_ne_u16_e64 vcc_lo, 0, v144
	v_mov_b32_e32 v134, 0
	s_and_not1_b32 s11, s11, exec_lo
	s_delay_alu instid0(VALU_DEP_2) | instskip(NEXT) | instid1(SALU_CYCLE_1)
	s_and_b32 s27, vcc_lo, exec_lo
	s_or_b32 s11, s11, s27
	s_or_b32 exec_lo, exec_lo, s28
	s_and_saveexec_b32 s27, s11
	s_cbranch_execnz .LBB4_2512
	s_branch .LBB4_2513
.LBB4_2893:                             ;   in Loop: Header=BB4_2319 Depth=2
	s_mov_b32 s11, -1
	s_mov_b32 s29, exec_lo
                                        ; implicit-def: $sgpr27
	v_cmpx_eq_u16_e64 0x80, v135
; %bb.2894:                             ;   in Loop: Header=BB4_2319 Depth=2
	s_mov_b32 s27, 0x7f800001
	s_xor_b32 s11, exec_lo, -1
; %bb.2895:                             ;   in Loop: Header=BB4_2319 Depth=2
	s_or_b32 exec_lo, exec_lo, s29
	s_delay_alu instid0(SALU_CYCLE_1)
	s_and_b32 s11, s11, exec_lo
                                        ; implicit-def: $vgpr135
	s_or_saveexec_b32 s28, s28
	v_mov_b32_e32 v134, s27
	s_xor_b32 exec_lo, exec_lo, s28
	s_cbranch_execz .LBB4_2525
.LBB4_2896:                             ;   in Loop: Header=BB4_2319 Depth=2
	v_cmp_ne_u16_e64 vcc_lo, 0, v135
	v_mov_b32_e32 v134, 0
	s_and_not1_b32 s11, s11, exec_lo
	s_delay_alu instid0(VALU_DEP_2) | instskip(NEXT) | instid1(SALU_CYCLE_1)
	s_and_b32 s27, vcc_lo, exec_lo
	s_or_b32 s11, s11, s27
	s_or_b32 exec_lo, exec_lo, s28
	s_and_saveexec_b32 s27, s11
	s_cbranch_execnz .LBB4_2526
	s_branch .LBB4_2527
.LBB4_2897:                             ;   in Loop: Header=BB4_2319 Depth=2
	s_mov_b32 s11, -1
	s_mov_b32 s29, exec_lo
                                        ; implicit-def: $sgpr27
	v_cmpx_eq_u16_e64 0x80, v144
; %bb.2898:                             ;   in Loop: Header=BB4_2319 Depth=2
	s_mov_b32 s27, 0x7f800001
	s_xor_b32 s11, exec_lo, -1
; %bb.2899:                             ;   in Loop: Header=BB4_2319 Depth=2
	s_or_b32 exec_lo, exec_lo, s29
	s_delay_alu instid0(SALU_CYCLE_1)
	s_and_b32 s11, s11, exec_lo
                                        ; implicit-def: $vgpr144
	s_or_saveexec_b32 s28, s28
	v_mov_b32_e32 v135, s27
	s_xor_b32 exec_lo, exec_lo, s28
	s_cbranch_execz .LBB4_2529
.LBB4_2900:                             ;   in Loop: Header=BB4_2319 Depth=2
	v_cmp_ne_u16_e64 vcc_lo, 0, v144
	v_mov_b32_e32 v135, 0
	s_and_not1_b32 s11, s11, exec_lo
	s_delay_alu instid0(VALU_DEP_2) | instskip(NEXT) | instid1(SALU_CYCLE_1)
	s_and_b32 s27, vcc_lo, exec_lo
	s_or_b32 s11, s11, s27
	s_or_b32 exec_lo, exec_lo, s28
	s_and_saveexec_b32 s27, s11
	s_cbranch_execnz .LBB4_2530
	s_branch .LBB4_2531
.LBB4_2901:                             ;   in Loop: Header=BB4_2319 Depth=2
	s_mov_b32 s11, -1
	s_mov_b32 s29, exec_lo
                                        ; implicit-def: $sgpr27
	v_cmpx_eq_u16_e64 0x80, v135
; %bb.2902:                             ;   in Loop: Header=BB4_2319 Depth=2
	s_mov_b32 s27, 0x7f800001
	s_xor_b32 s11, exec_lo, -1
; %bb.2903:                             ;   in Loop: Header=BB4_2319 Depth=2
	s_or_b32 exec_lo, exec_lo, s29
	s_delay_alu instid0(SALU_CYCLE_1)
	s_and_b32 s11, s11, exec_lo
                                        ; implicit-def: $vgpr135
	s_or_saveexec_b32 s28, s28
	v_mov_b32_e32 v134, s27
	s_xor_b32 exec_lo, exec_lo, s28
	s_cbranch_execz .LBB4_2536
.LBB4_2904:                             ;   in Loop: Header=BB4_2319 Depth=2
	v_cmp_ne_u16_e64 vcc_lo, 0, v135
	v_mov_b32_e32 v134, 0
	s_and_not1_b32 s11, s11, exec_lo
	s_delay_alu instid0(VALU_DEP_2) | instskip(NEXT) | instid1(SALU_CYCLE_1)
	s_and_b32 s27, vcc_lo, exec_lo
	s_or_b32 s11, s11, s27
	s_or_b32 exec_lo, exec_lo, s28
	s_and_saveexec_b32 s27, s11
	s_cbranch_execnz .LBB4_2537
	s_branch .LBB4_2538
.LBB4_2905:                             ;   in Loop: Header=BB4_2319 Depth=2
	s_mov_b32 s11, -1
	s_mov_b32 s29, exec_lo
                                        ; implicit-def: $sgpr27
	v_cmpx_eq_u16_e64 0x80, v135
; %bb.2906:                             ;   in Loop: Header=BB4_2319 Depth=2
	s_mov_b32 s27, 0x7f800001
	s_xor_b32 s11, exec_lo, -1
; %bb.2907:                             ;   in Loop: Header=BB4_2319 Depth=2
	s_or_b32 exec_lo, exec_lo, s29
	s_delay_alu instid0(SALU_CYCLE_1)
	s_and_b32 s11, s11, exec_lo
                                        ; implicit-def: $vgpr135
	s_or_saveexec_b32 s28, s28
	v_mov_b32_e32 v133, s27
	s_xor_b32 exec_lo, exec_lo, s28
	s_cbranch_execz .LBB4_2540
.LBB4_2908:                             ;   in Loop: Header=BB4_2319 Depth=2
	v_cmp_ne_u16_e64 vcc_lo, 0, v135
	v_mov_b32_e32 v133, 0
	s_and_not1_b32 s11, s11, exec_lo
	s_delay_alu instid0(VALU_DEP_2) | instskip(NEXT) | instid1(SALU_CYCLE_1)
	s_and_b32 s27, vcc_lo, exec_lo
	s_or_b32 s11, s11, s27
	s_or_b32 exec_lo, exec_lo, s28
	s_and_saveexec_b32 s27, s11
	s_cbranch_execnz .LBB4_2541
	s_branch .LBB4_2542
.LBB4_2909:                             ;   in Loop: Header=BB4_2319 Depth=2
	s_mov_b32 s11, -1
	s_mov_b32 s29, exec_lo
                                        ; implicit-def: $sgpr27
	v_cmpx_eq_u16_e64 0x80, v134
; %bb.2910:                             ;   in Loop: Header=BB4_2319 Depth=2
	s_mov_b32 s27, 0x7f800001
	s_xor_b32 s11, exec_lo, -1
; %bb.2911:                             ;   in Loop: Header=BB4_2319 Depth=2
	s_or_b32 exec_lo, exec_lo, s29
	s_delay_alu instid0(SALU_CYCLE_1)
	s_and_b32 s11, s11, exec_lo
                                        ; implicit-def: $vgpr134
	s_or_saveexec_b32 s28, s28
	v_mov_b32_e32 v133, s27
	s_xor_b32 exec_lo, exec_lo, s28
	s_cbranch_execz .LBB4_2554
.LBB4_2912:                             ;   in Loop: Header=BB4_2319 Depth=2
	v_cmp_ne_u16_e64 vcc_lo, 0, v134
	v_mov_b32_e32 v133, 0
	s_and_not1_b32 s11, s11, exec_lo
	s_delay_alu instid0(VALU_DEP_2) | instskip(NEXT) | instid1(SALU_CYCLE_1)
	s_and_b32 s27, vcc_lo, exec_lo
	s_or_b32 s11, s11, s27
	s_or_b32 exec_lo, exec_lo, s28
	s_and_saveexec_b32 s27, s11
	s_cbranch_execnz .LBB4_2555
	s_branch .LBB4_2556
.LBB4_2913:                             ;   in Loop: Header=BB4_2319 Depth=2
	s_mov_b32 s11, -1
	s_mov_b32 s29, exec_lo
                                        ; implicit-def: $sgpr27
	v_cmpx_eq_u16_e64 0x80, v135
; %bb.2914:                             ;   in Loop: Header=BB4_2319 Depth=2
	s_mov_b32 s27, 0x7f800001
	s_xor_b32 s11, exec_lo, -1
; %bb.2915:                             ;   in Loop: Header=BB4_2319 Depth=2
	s_or_b32 exec_lo, exec_lo, s29
	s_delay_alu instid0(SALU_CYCLE_1)
	s_and_b32 s11, s11, exec_lo
                                        ; implicit-def: $vgpr135
	s_or_saveexec_b32 s28, s28
	v_mov_b32_e32 v134, s27
	s_xor_b32 exec_lo, exec_lo, s28
	s_cbranch_execz .LBB4_2558
.LBB4_2916:                             ;   in Loop: Header=BB4_2319 Depth=2
	v_cmp_ne_u16_e64 vcc_lo, 0, v135
	v_mov_b32_e32 v134, 0
	s_and_not1_b32 s11, s11, exec_lo
	s_delay_alu instid0(VALU_DEP_2) | instskip(NEXT) | instid1(SALU_CYCLE_1)
	s_and_b32 s27, vcc_lo, exec_lo
	s_or_b32 s11, s11, s27
	s_or_b32 exec_lo, exec_lo, s28
	s_and_saveexec_b32 s27, s11
	s_cbranch_execnz .LBB4_2559
	s_branch .LBB4_2560
.LBB4_2917:                             ;   in Loop: Header=BB4_2319 Depth=2
	s_mov_b32 s11, -1
	s_mov_b32 s29, exec_lo
                                        ; implicit-def: $sgpr27
	v_cmpx_eq_u16_e64 0x80, v134
; %bb.2918:                             ;   in Loop: Header=BB4_2319 Depth=2
	s_mov_b32 s27, 0x7f800001
	s_xor_b32 s11, exec_lo, -1
; %bb.2919:                             ;   in Loop: Header=BB4_2319 Depth=2
	s_or_b32 exec_lo, exec_lo, s29
	s_delay_alu instid0(SALU_CYCLE_1)
	s_and_b32 s11, s11, exec_lo
                                        ; implicit-def: $vgpr134
	s_or_saveexec_b32 s28, s28
	v_mov_b32_e32 v133, s27
	s_xor_b32 exec_lo, exec_lo, s28
	s_cbranch_execz .LBB4_2565
.LBB4_2920:                             ;   in Loop: Header=BB4_2319 Depth=2
	v_cmp_ne_u16_e64 vcc_lo, 0, v134
	v_mov_b32_e32 v133, 0
	s_and_not1_b32 s11, s11, exec_lo
	s_delay_alu instid0(VALU_DEP_2) | instskip(NEXT) | instid1(SALU_CYCLE_1)
	s_and_b32 s27, vcc_lo, exec_lo
	s_or_b32 s11, s11, s27
	s_or_b32 exec_lo, exec_lo, s28
	s_and_saveexec_b32 s27, s11
	s_cbranch_execnz .LBB4_2566
	s_branch .LBB4_2567
.LBB4_2921:                             ;   in Loop: Header=BB4_2319 Depth=2
	s_mov_b32 s11, -1
	s_mov_b32 s29, exec_lo
                                        ; implicit-def: $sgpr27
	v_cmpx_eq_u16_e64 0x80, v134
; %bb.2922:                             ;   in Loop: Header=BB4_2319 Depth=2
	s_mov_b32 s27, 0x7f800001
	s_xor_b32 s11, exec_lo, -1
; %bb.2923:                             ;   in Loop: Header=BB4_2319 Depth=2
	s_or_b32 exec_lo, exec_lo, s29
	s_delay_alu instid0(SALU_CYCLE_1)
	s_and_b32 s11, s11, exec_lo
                                        ; implicit-def: $vgpr134
	s_or_saveexec_b32 s28, s28
	v_mov_b32_e32 v131, s27
	s_xor_b32 exec_lo, exec_lo, s28
	s_cbranch_execz .LBB4_2569
.LBB4_2924:                             ;   in Loop: Header=BB4_2319 Depth=2
	v_cmp_ne_u16_e64 vcc_lo, 0, v134
	v_mov_b32_e32 v131, 0
	s_and_not1_b32 s11, s11, exec_lo
	s_delay_alu instid0(VALU_DEP_2) | instskip(NEXT) | instid1(SALU_CYCLE_1)
	s_and_b32 s27, vcc_lo, exec_lo
	s_or_b32 s11, s11, s27
	s_or_b32 exec_lo, exec_lo, s28
	s_and_saveexec_b32 s27, s11
	s_cbranch_execnz .LBB4_2570
	s_branch .LBB4_2571
.LBB4_2925:                             ;   in Loop: Header=BB4_2319 Depth=2
	s_mov_b32 s11, -1
	s_mov_b32 s29, exec_lo
                                        ; implicit-def: $sgpr27
	v_cmpx_eq_u16_e64 0x80, v133
; %bb.2926:                             ;   in Loop: Header=BB4_2319 Depth=2
	s_mov_b32 s27, 0x7f800001
	s_xor_b32 s11, exec_lo, -1
; %bb.2927:                             ;   in Loop: Header=BB4_2319 Depth=2
	s_or_b32 exec_lo, exec_lo, s29
	s_delay_alu instid0(SALU_CYCLE_1)
	s_and_b32 s11, s11, exec_lo
                                        ; implicit-def: $vgpr133
	s_or_saveexec_b32 s28, s28
	v_mov_b32_e32 v131, s27
	s_xor_b32 exec_lo, exec_lo, s28
	s_cbranch_execz .LBB4_2583
.LBB4_2928:                             ;   in Loop: Header=BB4_2319 Depth=2
	v_cmp_ne_u16_e64 vcc_lo, 0, v133
	v_mov_b32_e32 v131, 0
	s_and_not1_b32 s11, s11, exec_lo
	s_delay_alu instid0(VALU_DEP_2) | instskip(NEXT) | instid1(SALU_CYCLE_1)
	s_and_b32 s27, vcc_lo, exec_lo
	s_or_b32 s11, s11, s27
	s_or_b32 exec_lo, exec_lo, s28
	s_and_saveexec_b32 s27, s11
	s_cbranch_execnz .LBB4_2584
	s_branch .LBB4_2585
.LBB4_2929:                             ;   in Loop: Header=BB4_2319 Depth=2
	s_mov_b32 s11, -1
	s_mov_b32 s29, exec_lo
                                        ; implicit-def: $sgpr27
	v_cmpx_eq_u16_e64 0x80, v134
; %bb.2930:                             ;   in Loop: Header=BB4_2319 Depth=2
	s_mov_b32 s27, 0x7f800001
	s_xor_b32 s11, exec_lo, -1
; %bb.2931:                             ;   in Loop: Header=BB4_2319 Depth=2
	s_or_b32 exec_lo, exec_lo, s29
	s_delay_alu instid0(SALU_CYCLE_1)
	s_and_b32 s11, s11, exec_lo
                                        ; implicit-def: $vgpr134
	s_or_saveexec_b32 s28, s28
	v_mov_b32_e32 v133, s27
	s_xor_b32 exec_lo, exec_lo, s28
	s_cbranch_execz .LBB4_2587
.LBB4_2932:                             ;   in Loop: Header=BB4_2319 Depth=2
	v_cmp_ne_u16_e64 vcc_lo, 0, v134
	v_mov_b32_e32 v133, 0
	s_and_not1_b32 s11, s11, exec_lo
	s_delay_alu instid0(VALU_DEP_2) | instskip(NEXT) | instid1(SALU_CYCLE_1)
	s_and_b32 s27, vcc_lo, exec_lo
	s_or_b32 s11, s11, s27
	s_or_b32 exec_lo, exec_lo, s28
	s_and_saveexec_b32 s27, s11
	s_cbranch_execnz .LBB4_2588
	s_branch .LBB4_2589
.LBB4_2933:                             ;   in Loop: Header=BB4_2319 Depth=2
	s_mov_b32 s11, -1
	s_mov_b32 s29, exec_lo
                                        ; implicit-def: $sgpr27
	v_cmpx_eq_u16_e64 0x80, v133
; %bb.2934:                             ;   in Loop: Header=BB4_2319 Depth=2
	s_mov_b32 s27, 0x7f800001
	s_xor_b32 s11, exec_lo, -1
; %bb.2935:                             ;   in Loop: Header=BB4_2319 Depth=2
	s_or_b32 exec_lo, exec_lo, s29
	s_delay_alu instid0(SALU_CYCLE_1)
	s_and_b32 s11, s11, exec_lo
                                        ; implicit-def: $vgpr133
	s_or_saveexec_b32 s28, s28
	v_mov_b32_e32 v131, s27
	s_xor_b32 exec_lo, exec_lo, s28
	s_cbranch_execz .LBB4_2594
.LBB4_2936:                             ;   in Loop: Header=BB4_2319 Depth=2
	v_cmp_ne_u16_e64 vcc_lo, 0, v133
	v_mov_b32_e32 v131, 0
	s_and_not1_b32 s11, s11, exec_lo
	s_delay_alu instid0(VALU_DEP_2) | instskip(NEXT) | instid1(SALU_CYCLE_1)
	s_and_b32 s27, vcc_lo, exec_lo
	s_or_b32 s11, s11, s27
	s_or_b32 exec_lo, exec_lo, s28
	s_and_saveexec_b32 s27, s11
	s_cbranch_execnz .LBB4_2595
	s_branch .LBB4_2596
.LBB4_2937:                             ;   in Loop: Header=BB4_2319 Depth=2
	s_mov_b32 s11, -1
	s_mov_b32 s29, exec_lo
                                        ; implicit-def: $sgpr27
	v_cmpx_eq_u16_e64 0x80, v133
; %bb.2938:                             ;   in Loop: Header=BB4_2319 Depth=2
	s_mov_b32 s27, 0x7f800001
	s_xor_b32 s11, exec_lo, -1
; %bb.2939:                             ;   in Loop: Header=BB4_2319 Depth=2
	s_or_b32 exec_lo, exec_lo, s29
	s_delay_alu instid0(SALU_CYCLE_1)
	s_and_b32 s11, s11, exec_lo
                                        ; implicit-def: $vgpr133
	s_or_saveexec_b32 s28, s28
	v_mov_b32_e32 v128, s27
	s_xor_b32 exec_lo, exec_lo, s28
	s_cbranch_execz .LBB4_2598
.LBB4_2940:                             ;   in Loop: Header=BB4_2319 Depth=2
	v_cmp_ne_u16_e64 vcc_lo, 0, v133
	v_mov_b32_e32 v128, 0
	s_and_not1_b32 s11, s11, exec_lo
	s_delay_alu instid0(VALU_DEP_2) | instskip(NEXT) | instid1(SALU_CYCLE_1)
	s_and_b32 s27, vcc_lo, exec_lo
	s_or_b32 s11, s11, s27
	s_or_b32 exec_lo, exec_lo, s28
	s_and_saveexec_b32 s27, s11
	s_cbranch_execnz .LBB4_2599
	s_branch .LBB4_2600
.LBB4_2941:                             ;   in Loop: Header=BB4_2319 Depth=2
	s_mov_b32 s11, -1
	s_mov_b32 s29, exec_lo
                                        ; implicit-def: $sgpr27
	v_cmpx_eq_u16_e64 0x80, v131
; %bb.2942:                             ;   in Loop: Header=BB4_2319 Depth=2
	s_mov_b32 s27, 0x7f800001
	s_xor_b32 s11, exec_lo, -1
; %bb.2943:                             ;   in Loop: Header=BB4_2319 Depth=2
	s_or_b32 exec_lo, exec_lo, s29
	s_delay_alu instid0(SALU_CYCLE_1)
	s_and_b32 s11, s11, exec_lo
                                        ; implicit-def: $vgpr131
	s_or_saveexec_b32 s28, s28
	v_mov_b32_e32 v128, s27
	s_xor_b32 exec_lo, exec_lo, s28
	s_cbranch_execz .LBB4_2612
.LBB4_2944:                             ;   in Loop: Header=BB4_2319 Depth=2
	v_cmp_ne_u16_e64 vcc_lo, 0, v131
	v_mov_b32_e32 v128, 0
	s_and_not1_b32 s11, s11, exec_lo
	s_delay_alu instid0(VALU_DEP_2) | instskip(NEXT) | instid1(SALU_CYCLE_1)
	s_and_b32 s27, vcc_lo, exec_lo
	s_or_b32 s11, s11, s27
	s_or_b32 exec_lo, exec_lo, s28
	s_and_saveexec_b32 s27, s11
	s_cbranch_execnz .LBB4_2613
	s_branch .LBB4_2614
.LBB4_2945:                             ;   in Loop: Header=BB4_2319 Depth=2
	s_mov_b32 s11, -1
	s_mov_b32 s29, exec_lo
                                        ; implicit-def: $sgpr27
	v_cmpx_eq_u16_e64 0x80, v133
; %bb.2946:                             ;   in Loop: Header=BB4_2319 Depth=2
	s_mov_b32 s27, 0x7f800001
	s_xor_b32 s11, exec_lo, -1
; %bb.2947:                             ;   in Loop: Header=BB4_2319 Depth=2
	s_or_b32 exec_lo, exec_lo, s29
	s_delay_alu instid0(SALU_CYCLE_1)
	s_and_b32 s11, s11, exec_lo
                                        ; implicit-def: $vgpr133
	s_or_saveexec_b32 s28, s28
	v_mov_b32_e32 v131, s27
	s_xor_b32 exec_lo, exec_lo, s28
	s_cbranch_execz .LBB4_2616
.LBB4_2948:                             ;   in Loop: Header=BB4_2319 Depth=2
	v_cmp_ne_u16_e64 vcc_lo, 0, v133
	v_mov_b32_e32 v131, 0
	s_and_not1_b32 s11, s11, exec_lo
	s_delay_alu instid0(VALU_DEP_2) | instskip(NEXT) | instid1(SALU_CYCLE_1)
	s_and_b32 s27, vcc_lo, exec_lo
	s_or_b32 s11, s11, s27
	s_or_b32 exec_lo, exec_lo, s28
	s_and_saveexec_b32 s27, s11
	s_cbranch_execnz .LBB4_2617
	s_branch .LBB4_2618
.LBB4_2949:                             ;   in Loop: Header=BB4_2319 Depth=2
	s_mov_b32 s11, -1
	s_mov_b32 s29, exec_lo
                                        ; implicit-def: $sgpr27
	v_cmpx_eq_u16_e64 0x80, v131
; %bb.2950:                             ;   in Loop: Header=BB4_2319 Depth=2
	s_mov_b32 s27, 0x7f800001
	s_xor_b32 s11, exec_lo, -1
; %bb.2951:                             ;   in Loop: Header=BB4_2319 Depth=2
	s_or_b32 exec_lo, exec_lo, s29
	s_delay_alu instid0(SALU_CYCLE_1)
	s_and_b32 s11, s11, exec_lo
                                        ; implicit-def: $vgpr131
	s_or_saveexec_b32 s28, s28
	v_mov_b32_e32 v128, s27
	s_xor_b32 exec_lo, exec_lo, s28
	s_cbranch_execz .LBB4_2623
.LBB4_2952:                             ;   in Loop: Header=BB4_2319 Depth=2
	v_cmp_ne_u16_e64 vcc_lo, 0, v131
	v_mov_b32_e32 v128, 0
	s_and_not1_b32 s11, s11, exec_lo
	s_delay_alu instid0(VALU_DEP_2) | instskip(NEXT) | instid1(SALU_CYCLE_1)
	s_and_b32 s27, vcc_lo, exec_lo
	s_or_b32 s11, s11, s27
	s_or_b32 exec_lo, exec_lo, s28
	s_and_saveexec_b32 s27, s11
	s_cbranch_execnz .LBB4_2624
	s_branch .LBB4_2625
.LBB4_2953:                             ;   in Loop: Header=BB4_2319 Depth=2
	s_mov_b32 s11, -1
	s_mov_b32 s29, exec_lo
                                        ; implicit-def: $sgpr27
	v_cmpx_eq_u16_e64 0x80, v131
; %bb.2954:                             ;   in Loop: Header=BB4_2319 Depth=2
	s_mov_b32 s27, 0x7f800001
	s_xor_b32 s11, exec_lo, -1
; %bb.2955:                             ;   in Loop: Header=BB4_2319 Depth=2
	s_or_b32 exec_lo, exec_lo, s29
	s_delay_alu instid0(SALU_CYCLE_1)
	s_and_b32 s11, s11, exec_lo
                                        ; implicit-def: $vgpr131
	s_or_saveexec_b32 s28, s28
	v_mov_b32_e32 v117, s27
	s_xor_b32 exec_lo, exec_lo, s28
	s_cbranch_execz .LBB4_2627
.LBB4_2956:                             ;   in Loop: Header=BB4_2319 Depth=2
	v_cmp_ne_u16_e64 vcc_lo, 0, v131
	v_mov_b32_e32 v117, 0
	s_and_not1_b32 s11, s11, exec_lo
	s_delay_alu instid0(VALU_DEP_2) | instskip(NEXT) | instid1(SALU_CYCLE_1)
	s_and_b32 s27, vcc_lo, exec_lo
	s_or_b32 s11, s11, s27
	s_or_b32 exec_lo, exec_lo, s28
	s_and_saveexec_b32 s27, s11
	s_cbranch_execnz .LBB4_2628
	s_branch .LBB4_2629
.LBB4_2957:                             ;   in Loop: Header=BB4_2319 Depth=2
	s_mov_b32 s11, -1
	s_mov_b32 s29, exec_lo
                                        ; implicit-def: $sgpr27
	v_cmpx_eq_u16_e64 0x80, v128
; %bb.2958:                             ;   in Loop: Header=BB4_2319 Depth=2
	s_mov_b32 s27, 0x7f800001
	s_xor_b32 s11, exec_lo, -1
; %bb.2959:                             ;   in Loop: Header=BB4_2319 Depth=2
	s_or_b32 exec_lo, exec_lo, s29
	s_delay_alu instid0(SALU_CYCLE_1)
	s_and_b32 s11, s11, exec_lo
                                        ; implicit-def: $vgpr128
	s_or_saveexec_b32 s28, s28
	v_mov_b32_e32 v117, s27
	s_xor_b32 exec_lo, exec_lo, s28
	s_cbranch_execz .LBB4_2641
.LBB4_2960:                             ;   in Loop: Header=BB4_2319 Depth=2
	v_cmp_ne_u16_e64 vcc_lo, 0, v128
	v_mov_b32_e32 v117, 0
	s_and_not1_b32 s11, s11, exec_lo
	s_delay_alu instid0(VALU_DEP_2) | instskip(NEXT) | instid1(SALU_CYCLE_1)
	s_and_b32 s27, vcc_lo, exec_lo
	s_or_b32 s11, s11, s27
	s_or_b32 exec_lo, exec_lo, s28
	s_and_saveexec_b32 s27, s11
	s_cbranch_execnz .LBB4_2642
	s_branch .LBB4_2643
.LBB4_2961:                             ;   in Loop: Header=BB4_2319 Depth=2
	s_mov_b32 s11, -1
	s_mov_b32 s29, exec_lo
                                        ; implicit-def: $sgpr27
	v_cmpx_eq_u16_e64 0x80, v131
; %bb.2962:                             ;   in Loop: Header=BB4_2319 Depth=2
	s_mov_b32 s27, 0x7f800001
	s_xor_b32 s11, exec_lo, -1
; %bb.2963:                             ;   in Loop: Header=BB4_2319 Depth=2
	s_or_b32 exec_lo, exec_lo, s29
	s_delay_alu instid0(SALU_CYCLE_1)
	s_and_b32 s11, s11, exec_lo
                                        ; implicit-def: $vgpr131
	s_or_saveexec_b32 s28, s28
	v_mov_b32_e32 v128, s27
	s_xor_b32 exec_lo, exec_lo, s28
	s_cbranch_execz .LBB4_2645
.LBB4_2964:                             ;   in Loop: Header=BB4_2319 Depth=2
	v_cmp_ne_u16_e64 vcc_lo, 0, v131
	v_mov_b32_e32 v128, 0
	s_and_not1_b32 s11, s11, exec_lo
	s_delay_alu instid0(VALU_DEP_2) | instskip(NEXT) | instid1(SALU_CYCLE_1)
	s_and_b32 s27, vcc_lo, exec_lo
	s_or_b32 s11, s11, s27
	s_or_b32 exec_lo, exec_lo, s28
	s_and_saveexec_b32 s27, s11
	s_cbranch_execnz .LBB4_2646
	s_branch .LBB4_2647
.LBB4_2965:                             ;   in Loop: Header=BB4_2319 Depth=2
	s_mov_b32 s11, -1
	s_mov_b32 s29, exec_lo
                                        ; implicit-def: $sgpr27
	v_cmpx_eq_u16_e64 0x80, v128
; %bb.2966:                             ;   in Loop: Header=BB4_2319 Depth=2
	s_mov_b32 s27, 0x7f800001
	s_xor_b32 s11, exec_lo, -1
; %bb.2967:                             ;   in Loop: Header=BB4_2319 Depth=2
	s_or_b32 exec_lo, exec_lo, s29
	s_delay_alu instid0(SALU_CYCLE_1)
	s_and_b32 s11, s11, exec_lo
                                        ; implicit-def: $vgpr128
	s_or_saveexec_b32 s28, s28
	v_mov_b32_e32 v117, s27
	s_xor_b32 exec_lo, exec_lo, s28
	s_cbranch_execz .LBB4_2652
.LBB4_2968:                             ;   in Loop: Header=BB4_2319 Depth=2
	v_cmp_ne_u16_e64 vcc_lo, 0, v128
	v_mov_b32_e32 v117, 0
	s_and_not1_b32 s11, s11, exec_lo
	s_delay_alu instid0(VALU_DEP_2) | instskip(NEXT) | instid1(SALU_CYCLE_1)
	s_and_b32 s27, vcc_lo, exec_lo
	s_or_b32 s11, s11, s27
	s_or_b32 exec_lo, exec_lo, s28
	s_and_saveexec_b32 s27, s11
	s_cbranch_execnz .LBB4_2653
	s_branch .LBB4_2654
.LBB4_2969:                             ;   in Loop: Header=BB4_2319 Depth=2
	s_mov_b32 s11, -1
	s_mov_b32 s29, exec_lo
                                        ; implicit-def: $sgpr27
	v_cmpx_eq_u16_e64 0x80, v128
; %bb.2970:                             ;   in Loop: Header=BB4_2319 Depth=2
	s_mov_b32 s27, 0x7f800001
	s_xor_b32 s11, exec_lo, -1
; %bb.2971:                             ;   in Loop: Header=BB4_2319 Depth=2
	s_or_b32 exec_lo, exec_lo, s29
	s_delay_alu instid0(SALU_CYCLE_1)
	s_and_b32 s11, s11, exec_lo
                                        ; implicit-def: $vgpr128
	s_or_saveexec_b32 s28, s28
	v_mov_b32_e32 v114, s27
	s_xor_b32 exec_lo, exec_lo, s28
	s_cbranch_execz .LBB4_2656
.LBB4_2972:                             ;   in Loop: Header=BB4_2319 Depth=2
	v_cmp_ne_u16_e64 vcc_lo, 0, v128
	v_mov_b32_e32 v114, 0
	s_and_not1_b32 s11, s11, exec_lo
	s_delay_alu instid0(VALU_DEP_2) | instskip(NEXT) | instid1(SALU_CYCLE_1)
	s_and_b32 s27, vcc_lo, exec_lo
	s_or_b32 s11, s11, s27
	s_or_b32 exec_lo, exec_lo, s28
	s_and_saveexec_b32 s27, s11
	s_cbranch_execnz .LBB4_2657
	s_branch .LBB4_2658
.LBB4_2973:                             ;   in Loop: Header=BB4_2319 Depth=2
	s_mov_b32 s11, -1
	s_mov_b32 s29, exec_lo
                                        ; implicit-def: $sgpr27
	v_cmpx_eq_u16_e32 0x80, v117
; %bb.2974:                             ;   in Loop: Header=BB4_2319 Depth=2
	s_mov_b32 s27, 0x7f800001
	s_xor_b32 s11, exec_lo, -1
; %bb.2975:                             ;   in Loop: Header=BB4_2319 Depth=2
	s_or_b32 exec_lo, exec_lo, s29
	s_delay_alu instid0(SALU_CYCLE_1)
	s_and_b32 s11, s11, exec_lo
                                        ; implicit-def: $vgpr117
	s_or_saveexec_b32 s28, s28
	v_mov_b32_e32 v114, s27
	s_xor_b32 exec_lo, exec_lo, s28
	s_cbranch_execz .LBB4_2670
.LBB4_2976:                             ;   in Loop: Header=BB4_2319 Depth=2
	v_cmp_ne_u16_e32 vcc_lo, 0, v117
	v_mov_b32_e32 v114, 0
	s_and_not1_b32 s11, s11, exec_lo
	s_and_b32 s27, vcc_lo, exec_lo
	s_delay_alu instid0(SALU_CYCLE_1)
	s_or_b32 s11, s11, s27
	s_or_b32 exec_lo, exec_lo, s28
	s_and_saveexec_b32 s27, s11
	s_cbranch_execnz .LBB4_2671
	s_branch .LBB4_2672
.LBB4_2977:                             ;   in Loop: Header=BB4_2319 Depth=2
	s_mov_b32 s11, -1
	s_mov_b32 s29, exec_lo
                                        ; implicit-def: $sgpr27
	v_cmpx_eq_u16_e64 0x80, v128
; %bb.2978:                             ;   in Loop: Header=BB4_2319 Depth=2
	s_mov_b32 s27, 0x7f800001
	s_xor_b32 s11, exec_lo, -1
; %bb.2979:                             ;   in Loop: Header=BB4_2319 Depth=2
	s_or_b32 exec_lo, exec_lo, s29
	s_delay_alu instid0(SALU_CYCLE_1)
	s_and_b32 s11, s11, exec_lo
                                        ; implicit-def: $vgpr128
	s_or_saveexec_b32 s28, s28
	v_mov_b32_e32 v117, s27
	s_xor_b32 exec_lo, exec_lo, s28
	s_cbranch_execz .LBB4_2674
.LBB4_2980:                             ;   in Loop: Header=BB4_2319 Depth=2
	v_cmp_ne_u16_e64 vcc_lo, 0, v128
	v_mov_b32_e32 v117, 0
	s_and_not1_b32 s11, s11, exec_lo
	s_delay_alu instid0(VALU_DEP_2) | instskip(NEXT) | instid1(SALU_CYCLE_1)
	s_and_b32 s27, vcc_lo, exec_lo
	s_or_b32 s11, s11, s27
	s_or_b32 exec_lo, exec_lo, s28
	s_and_saveexec_b32 s27, s11
	s_cbranch_execnz .LBB4_2675
	s_branch .LBB4_2676
.LBB4_2981:                             ;   in Loop: Header=BB4_2319 Depth=2
	s_mov_b32 s11, -1
	s_mov_b32 s29, exec_lo
                                        ; implicit-def: $sgpr27
	v_cmpx_eq_u16_e32 0x80, v117
; %bb.2982:                             ;   in Loop: Header=BB4_2319 Depth=2
	s_mov_b32 s27, 0x7f800001
	s_xor_b32 s11, exec_lo, -1
; %bb.2983:                             ;   in Loop: Header=BB4_2319 Depth=2
	s_or_b32 exec_lo, exec_lo, s29
	s_delay_alu instid0(SALU_CYCLE_1)
	s_and_b32 s11, s11, exec_lo
                                        ; implicit-def: $vgpr117
	s_or_saveexec_b32 s28, s28
	v_mov_b32_e32 v114, s27
	s_xor_b32 exec_lo, exec_lo, s28
	s_cbranch_execz .LBB4_2681
.LBB4_2984:                             ;   in Loop: Header=BB4_2319 Depth=2
	v_cmp_ne_u16_e32 vcc_lo, 0, v117
	v_mov_b32_e32 v114, 0
	s_and_not1_b32 s11, s11, exec_lo
	s_and_b32 s27, vcc_lo, exec_lo
	s_delay_alu instid0(SALU_CYCLE_1)
	s_or_b32 s11, s11, s27
	s_or_b32 exec_lo, exec_lo, s28
	s_and_saveexec_b32 s27, s11
	s_cbranch_execnz .LBB4_2682
	s_branch .LBB4_2683
.LBB4_2985:                             ;   in Loop: Header=BB4_2319 Depth=2
	s_mov_b32 s11, -1
	s_mov_b32 s29, exec_lo
                                        ; implicit-def: $sgpr27
	v_cmpx_eq_u16_e32 0x80, v117
; %bb.2986:                             ;   in Loop: Header=BB4_2319 Depth=2
	s_mov_b32 s27, 0x7f800001
	s_xor_b32 s11, exec_lo, -1
; %bb.2987:                             ;   in Loop: Header=BB4_2319 Depth=2
	s_or_b32 exec_lo, exec_lo, s29
	s_delay_alu instid0(SALU_CYCLE_1)
	s_and_b32 s11, s11, exec_lo
                                        ; implicit-def: $vgpr117
	s_or_saveexec_b32 s28, s28
	v_mov_b32_e32 v71, s27
	s_xor_b32 exec_lo, exec_lo, s28
	s_cbranch_execz .LBB4_2685
.LBB4_2988:                             ;   in Loop: Header=BB4_2319 Depth=2
	v_cmp_ne_u16_e32 vcc_lo, 0, v117
	v_mov_b32_e32 v71, 0
	s_and_not1_b32 s11, s11, exec_lo
	s_and_b32 s27, vcc_lo, exec_lo
	s_delay_alu instid0(SALU_CYCLE_1)
	s_or_b32 s11, s11, s27
	s_or_b32 exec_lo, exec_lo, s28
	s_and_saveexec_b32 s27, s11
	s_cbranch_execnz .LBB4_2686
	s_branch .LBB4_2687
.LBB4_2989:                             ;   in Loop: Header=BB4_2319 Depth=2
	s_mov_b32 s11, -1
	s_mov_b32 s29, exec_lo
                                        ; implicit-def: $sgpr27
	v_cmpx_eq_u16_e32 0x80, v114
; %bb.2990:                             ;   in Loop: Header=BB4_2319 Depth=2
	s_mov_b32 s27, 0x7f800001
	s_xor_b32 s11, exec_lo, -1
; %bb.2991:                             ;   in Loop: Header=BB4_2319 Depth=2
	s_or_b32 exec_lo, exec_lo, s29
	s_delay_alu instid0(SALU_CYCLE_1)
	s_and_b32 s11, s11, exec_lo
                                        ; implicit-def: $vgpr114
	s_or_saveexec_b32 s28, s28
	v_mov_b32_e32 v71, s27
	s_xor_b32 exec_lo, exec_lo, s28
	s_cbranch_execz .LBB4_2699
.LBB4_2992:                             ;   in Loop: Header=BB4_2319 Depth=2
	v_cmp_ne_u16_e32 vcc_lo, 0, v114
	v_mov_b32_e32 v71, 0
	s_and_not1_b32 s11, s11, exec_lo
	s_and_b32 s27, vcc_lo, exec_lo
	s_delay_alu instid0(SALU_CYCLE_1)
	s_or_b32 s11, s11, s27
	s_or_b32 exec_lo, exec_lo, s28
	s_and_saveexec_b32 s27, s11
	s_cbranch_execnz .LBB4_2700
	s_branch .LBB4_2701
.LBB4_2993:                             ;   in Loop: Header=BB4_2319 Depth=2
	s_mov_b32 s11, -1
	s_mov_b32 s29, exec_lo
                                        ; implicit-def: $sgpr27
	v_cmpx_eq_u16_e32 0x80, v117
; %bb.2994:                             ;   in Loop: Header=BB4_2319 Depth=2
	s_mov_b32 s27, 0x7f800001
	s_xor_b32 s11, exec_lo, -1
; %bb.2995:                             ;   in Loop: Header=BB4_2319 Depth=2
	s_or_b32 exec_lo, exec_lo, s29
	s_delay_alu instid0(SALU_CYCLE_1)
	s_and_b32 s11, s11, exec_lo
                                        ; implicit-def: $vgpr117
	s_or_saveexec_b32 s28, s28
	v_mov_b32_e32 v114, s27
	s_xor_b32 exec_lo, exec_lo, s28
	s_cbranch_execz .LBB4_2703
.LBB4_2996:                             ;   in Loop: Header=BB4_2319 Depth=2
	v_cmp_ne_u16_e32 vcc_lo, 0, v117
	v_mov_b32_e32 v114, 0
	s_and_not1_b32 s11, s11, exec_lo
	s_and_b32 s27, vcc_lo, exec_lo
	s_delay_alu instid0(SALU_CYCLE_1)
	s_or_b32 s11, s11, s27
	s_or_b32 exec_lo, exec_lo, s28
	s_and_saveexec_b32 s27, s11
	s_cbranch_execnz .LBB4_2704
	s_branch .LBB4_2705
.LBB4_2997:                             ;   in Loop: Header=BB4_2319 Depth=2
	s_mov_b32 s11, -1
	s_mov_b32 s29, exec_lo
                                        ; implicit-def: $sgpr27
	v_cmpx_eq_u16_e32 0x80, v114
; %bb.2998:                             ;   in Loop: Header=BB4_2319 Depth=2
	s_mov_b32 s27, 0x7f800001
	s_xor_b32 s11, exec_lo, -1
; %bb.2999:                             ;   in Loop: Header=BB4_2319 Depth=2
	s_or_b32 exec_lo, exec_lo, s29
	s_delay_alu instid0(SALU_CYCLE_1)
	s_and_b32 s11, s11, exec_lo
                                        ; implicit-def: $vgpr114
	s_or_saveexec_b32 s28, s28
	v_mov_b32_e32 v71, s27
	s_xor_b32 exec_lo, exec_lo, s28
	s_cbranch_execz .LBB4_2710
.LBB4_3000:                             ;   in Loop: Header=BB4_2319 Depth=2
	v_cmp_ne_u16_e32 vcc_lo, 0, v114
	v_mov_b32_e32 v71, 0
	s_and_not1_b32 s11, s11, exec_lo
	s_and_b32 s27, vcc_lo, exec_lo
	s_delay_alu instid0(SALU_CYCLE_1)
	s_or_b32 s11, s11, s27
	s_or_b32 exec_lo, exec_lo, s28
	s_and_saveexec_b32 s27, s11
	s_cbranch_execnz .LBB4_2711
	s_branch .LBB4_2712
.LBB4_3001:                             ;   in Loop: Header=BB4_2319 Depth=2
	s_mov_b32 s11, -1
	s_mov_b32 s29, exec_lo
                                        ; implicit-def: $sgpr27
	v_cmpx_eq_u16_e32 0x80, v114
; %bb.3002:                             ;   in Loop: Header=BB4_2319 Depth=2
	s_mov_b32 s27, 0x7f800001
	s_xor_b32 s11, exec_lo, -1
; %bb.3003:                             ;   in Loop: Header=BB4_2319 Depth=2
	s_or_b32 exec_lo, exec_lo, s29
	s_delay_alu instid0(SALU_CYCLE_1)
	s_and_b32 s11, s11, exec_lo
                                        ; implicit-def: $vgpr114
	s_or_saveexec_b32 s28, s28
	v_mov_b32_e32 v68, s27
	s_xor_b32 exec_lo, exec_lo, s28
	s_cbranch_execz .LBB4_2714
.LBB4_3004:                             ;   in Loop: Header=BB4_2319 Depth=2
	v_cmp_ne_u16_e32 vcc_lo, 0, v114
	v_mov_b32_e32 v68, 0
	s_and_not1_b32 s11, s11, exec_lo
	s_and_b32 s27, vcc_lo, exec_lo
	s_delay_alu instid0(SALU_CYCLE_1)
	s_or_b32 s11, s11, s27
	s_or_b32 exec_lo, exec_lo, s28
	s_and_saveexec_b32 s27, s11
	s_cbranch_execnz .LBB4_2715
	s_branch .LBB4_2716
.LBB4_3005:                             ;   in Loop: Header=BB4_2319 Depth=2
	s_mov_b32 s11, -1
	s_mov_b32 s29, exec_lo
                                        ; implicit-def: $sgpr27
	v_cmpx_eq_u16_e32 0x80, v71
; %bb.3006:                             ;   in Loop: Header=BB4_2319 Depth=2
	s_mov_b32 s27, 0x7f800001
	s_xor_b32 s11, exec_lo, -1
; %bb.3007:                             ;   in Loop: Header=BB4_2319 Depth=2
	s_or_b32 exec_lo, exec_lo, s29
	s_delay_alu instid0(SALU_CYCLE_1)
	s_and_b32 s11, s11, exec_lo
                                        ; implicit-def: $vgpr71
	s_or_saveexec_b32 s28, s28
	v_mov_b32_e32 v68, s27
	s_xor_b32 exec_lo, exec_lo, s28
	s_cbranch_execz .LBB4_2728
.LBB4_3008:                             ;   in Loop: Header=BB4_2319 Depth=2
	v_cmp_ne_u16_e32 vcc_lo, 0, v71
	v_mov_b32_e32 v68, 0
	s_and_not1_b32 s11, s11, exec_lo
	s_and_b32 s27, vcc_lo, exec_lo
	s_delay_alu instid0(SALU_CYCLE_1)
	s_or_b32 s11, s11, s27
	s_or_b32 exec_lo, exec_lo, s28
	s_and_saveexec_b32 s27, s11
	s_cbranch_execnz .LBB4_2729
	s_branch .LBB4_2730
.LBB4_3009:                             ;   in Loop: Header=BB4_2319 Depth=2
	s_mov_b32 s11, -1
	s_mov_b32 s29, exec_lo
                                        ; implicit-def: $sgpr27
	v_cmpx_eq_u16_e32 0x80, v114
; %bb.3010:                             ;   in Loop: Header=BB4_2319 Depth=2
	s_mov_b32 s27, 0x7f800001
	s_xor_b32 s11, exec_lo, -1
; %bb.3011:                             ;   in Loop: Header=BB4_2319 Depth=2
	s_or_b32 exec_lo, exec_lo, s29
	s_delay_alu instid0(SALU_CYCLE_1)
	s_and_b32 s11, s11, exec_lo
                                        ; implicit-def: $vgpr114
	s_or_saveexec_b32 s28, s28
	v_mov_b32_e32 v71, s27
	s_xor_b32 exec_lo, exec_lo, s28
	s_cbranch_execz .LBB4_2732
.LBB4_3012:                             ;   in Loop: Header=BB4_2319 Depth=2
	v_cmp_ne_u16_e32 vcc_lo, 0, v114
	v_mov_b32_e32 v71, 0
	s_and_not1_b32 s11, s11, exec_lo
	s_and_b32 s27, vcc_lo, exec_lo
	s_delay_alu instid0(SALU_CYCLE_1)
	s_or_b32 s11, s11, s27
	s_or_b32 exec_lo, exec_lo, s28
	s_and_saveexec_b32 s27, s11
	s_cbranch_execnz .LBB4_2733
	s_branch .LBB4_2734
.LBB4_3013:                             ;   in Loop: Header=BB4_2319 Depth=2
	s_mov_b32 s11, -1
	s_mov_b32 s29, exec_lo
                                        ; implicit-def: $sgpr27
	v_cmpx_eq_u16_e32 0x80, v71
; %bb.3014:                             ;   in Loop: Header=BB4_2319 Depth=2
	s_mov_b32 s27, 0x7f800001
	s_xor_b32 s11, exec_lo, -1
; %bb.3015:                             ;   in Loop: Header=BB4_2319 Depth=2
	s_or_b32 exec_lo, exec_lo, s29
	s_delay_alu instid0(SALU_CYCLE_1)
	s_and_b32 s11, s11, exec_lo
                                        ; implicit-def: $vgpr71
	s_or_saveexec_b32 s28, s28
	v_mov_b32_e32 v68, s27
	s_xor_b32 exec_lo, exec_lo, s28
	s_cbranch_execz .LBB4_2739
.LBB4_3016:                             ;   in Loop: Header=BB4_2319 Depth=2
	v_cmp_ne_u16_e32 vcc_lo, 0, v71
	v_mov_b32_e32 v68, 0
	s_and_not1_b32 s11, s11, exec_lo
	s_and_b32 s27, vcc_lo, exec_lo
	s_delay_alu instid0(SALU_CYCLE_1)
	s_or_b32 s11, s11, s27
	s_or_b32 exec_lo, exec_lo, s28
	s_and_saveexec_b32 s27, s11
	s_cbranch_execnz .LBB4_2740
	s_branch .LBB4_2741
.LBB4_3017:                             ;   in Loop: Header=BB4_2319 Depth=2
	s_mov_b32 s11, -1
	s_mov_b32 s29, exec_lo
                                        ; implicit-def: $sgpr27
	v_cmpx_eq_u16_e32 0x80, v71
; %bb.3018:                             ;   in Loop: Header=BB4_2319 Depth=2
	s_mov_b32 s27, 0x7f800001
	s_xor_b32 s11, exec_lo, -1
; %bb.3019:                             ;   in Loop: Header=BB4_2319 Depth=2
	s_or_b32 exec_lo, exec_lo, s29
	s_delay_alu instid0(SALU_CYCLE_1)
	s_and_b32 s11, s11, exec_lo
                                        ; implicit-def: $vgpr71
	s_or_saveexec_b32 s28, s28
	v_mov_b32_e32 v25, s27
	s_xor_b32 exec_lo, exec_lo, s28
	s_cbranch_execz .LBB4_2743
.LBB4_3020:                             ;   in Loop: Header=BB4_2319 Depth=2
	v_cmp_ne_u16_e32 vcc_lo, 0, v71
	v_mov_b32_e32 v25, 0
	s_and_not1_b32 s11, s11, exec_lo
	s_and_b32 s27, vcc_lo, exec_lo
	s_delay_alu instid0(SALU_CYCLE_1)
	s_or_b32 s11, s11, s27
	s_or_b32 exec_lo, exec_lo, s28
	s_and_saveexec_b32 s27, s11
	s_cbranch_execnz .LBB4_2744
	s_branch .LBB4_2745
.LBB4_3021:                             ;   in Loop: Header=BB4_2319 Depth=2
	s_mov_b32 s11, -1
	s_mov_b32 s29, exec_lo
                                        ; implicit-def: $sgpr27
	v_cmpx_eq_u16_e32 0x80, v68
; %bb.3022:                             ;   in Loop: Header=BB4_2319 Depth=2
	s_mov_b32 s27, 0x7f800001
	s_xor_b32 s11, exec_lo, -1
; %bb.3023:                             ;   in Loop: Header=BB4_2319 Depth=2
	s_or_b32 exec_lo, exec_lo, s29
	s_delay_alu instid0(SALU_CYCLE_1)
	s_and_b32 s11, s11, exec_lo
                                        ; implicit-def: $vgpr68
	s_or_saveexec_b32 s28, s28
	v_mov_b32_e32 v25, s27
	s_xor_b32 exec_lo, exec_lo, s28
	s_cbranch_execz .LBB4_2757
.LBB4_3024:                             ;   in Loop: Header=BB4_2319 Depth=2
	v_cmp_ne_u16_e32 vcc_lo, 0, v68
	v_mov_b32_e32 v25, 0
	s_and_not1_b32 s11, s11, exec_lo
	s_and_b32 s27, vcc_lo, exec_lo
	s_delay_alu instid0(SALU_CYCLE_1)
	s_or_b32 s11, s11, s27
	s_or_b32 exec_lo, exec_lo, s28
	s_and_saveexec_b32 s27, s11
	s_cbranch_execnz .LBB4_2758
	s_branch .LBB4_2759
.LBB4_3025:                             ;   in Loop: Header=BB4_2319 Depth=2
	s_mov_b32 s11, -1
	s_mov_b32 s29, exec_lo
                                        ; implicit-def: $sgpr27
	v_cmpx_eq_u16_e32 0x80, v71
; %bb.3026:                             ;   in Loop: Header=BB4_2319 Depth=2
	s_mov_b32 s27, 0x7f800001
	s_xor_b32 s11, exec_lo, -1
; %bb.3027:                             ;   in Loop: Header=BB4_2319 Depth=2
	s_or_b32 exec_lo, exec_lo, s29
	s_delay_alu instid0(SALU_CYCLE_1)
	s_and_b32 s11, s11, exec_lo
                                        ; implicit-def: $vgpr71
	s_or_saveexec_b32 s28, s28
	v_mov_b32_e32 v68, s27
	s_xor_b32 exec_lo, exec_lo, s28
	s_cbranch_execz .LBB4_2761
.LBB4_3028:                             ;   in Loop: Header=BB4_2319 Depth=2
	v_cmp_ne_u16_e32 vcc_lo, 0, v71
	v_mov_b32_e32 v68, 0
	s_and_not1_b32 s11, s11, exec_lo
	s_and_b32 s27, vcc_lo, exec_lo
	s_delay_alu instid0(SALU_CYCLE_1)
	s_or_b32 s11, s11, s27
	s_or_b32 exec_lo, exec_lo, s28
	s_and_saveexec_b32 s27, s11
	s_cbranch_execnz .LBB4_2762
	s_branch .LBB4_2763
.LBB4_3029:                             ;   in Loop: Header=BB4_2319 Depth=2
	s_mov_b32 s11, -1
	s_mov_b32 s29, exec_lo
                                        ; implicit-def: $sgpr27
	v_cmpx_eq_u16_e32 0x80, v68
; %bb.3030:                             ;   in Loop: Header=BB4_2319 Depth=2
	s_mov_b32 s27, 0x7f800001
	s_xor_b32 s11, exec_lo, -1
; %bb.3031:                             ;   in Loop: Header=BB4_2319 Depth=2
	s_or_b32 exec_lo, exec_lo, s29
	s_delay_alu instid0(SALU_CYCLE_1)
	s_and_b32 s11, s11, exec_lo
                                        ; implicit-def: $vgpr68
	s_or_saveexec_b32 s28, s28
	v_mov_b32_e32 v25, s27
	s_xor_b32 exec_lo, exec_lo, s28
	s_cbranch_execz .LBB4_2768
.LBB4_3032:                             ;   in Loop: Header=BB4_2319 Depth=2
	v_cmp_ne_u16_e32 vcc_lo, 0, v68
	v_mov_b32_e32 v25, 0
	s_and_not1_b32 s11, s11, exec_lo
	s_and_b32 s27, vcc_lo, exec_lo
	s_delay_alu instid0(SALU_CYCLE_1)
	s_or_b32 s11, s11, s27
	s_or_b32 exec_lo, exec_lo, s28
	s_and_saveexec_b32 s27, s11
	s_cbranch_execnz .LBB4_2769
	s_branch .LBB4_2770
.LBB4_3033:                             ;   in Loop: Header=BB4_2319 Depth=2
	s_mov_b32 s11, -1
	s_mov_b32 s29, exec_lo
                                        ; implicit-def: $sgpr27
	v_cmpx_eq_u16_e32 0x80, v68
; %bb.3034:                             ;   in Loop: Header=BB4_2319 Depth=2
	s_mov_b32 s27, 0x7f800001
	s_xor_b32 s11, exec_lo, -1
; %bb.3035:                             ;   in Loop: Header=BB4_2319 Depth=2
	s_or_b32 exec_lo, exec_lo, s29
	s_delay_alu instid0(SALU_CYCLE_1)
	s_and_b32 s11, s11, exec_lo
                                        ; implicit-def: $vgpr68
	s_or_saveexec_b32 s28, s28
	v_mov_b32_e32 v22, s27
	s_xor_b32 exec_lo, exec_lo, s28
	s_cbranch_execz .LBB4_2772
.LBB4_3036:                             ;   in Loop: Header=BB4_2319 Depth=2
	v_cmp_ne_u16_e32 vcc_lo, 0, v68
	v_mov_b32_e32 v22, 0
	s_and_not1_b32 s11, s11, exec_lo
	s_and_b32 s27, vcc_lo, exec_lo
	s_delay_alu instid0(SALU_CYCLE_1)
	s_or_b32 s11, s11, s27
	s_or_b32 exec_lo, exec_lo, s28
	s_and_saveexec_b32 s27, s11
	s_cbranch_execnz .LBB4_2773
	s_branch .LBB4_2774
.LBB4_3037:                             ;   in Loop: Header=BB4_53 Depth=1
	s_or_b32 exec_lo, exec_lo, s26
.LBB4_3038:                             ;   in Loop: Header=BB4_53 Depth=1
	s_delay_alu instid0(SALU_CYCLE_1) | instskip(SKIP_1) | instid1(VALU_DEP_1)
	s_or_b32 exec_lo, exec_lo, s24
	v_lshlrev_b32_e32 v10, 9, v20
	v_cmp_ne_u32_e32 vcc_lo, v17, v10
	s_and_b32 exec_lo, exec_lo, vcc_lo
	s_cbranch_execz .LBB4_3088
; %bb.3039:                             ;   in Loop: Header=BB4_53 Depth=1
	v_ashrrev_i32_e32 v11, 31, v18
	v_lshlrev_b32_e32 v12, 5, v19
	s_delay_alu instid0(VALU_DEP_2) | instskip(NEXT) | instid1(VALU_DEP_1)
	v_lshrrev_b32_e32 v11, 27, v11
	v_add_nc_u32_e32 v11, v18, v11
	s_delay_alu instid0(VALU_DEP_1) | instskip(NEXT) | instid1(VALU_DEP_1)
	v_and_b32_e32 v11, 0xffffffe0, v11
	v_sub_nc_u32_e32 v11, v18, v11
	s_delay_alu instid0(VALU_DEP_1) | instskip(NEXT) | instid1(VALU_DEP_1)
	v_sub_nc_u32_e32 v11, v11, v12
	v_add_nc_u32_e32 v10, v10, v11
	s_delay_alu instid0(VALU_DEP_1) | instskip(NEXT) | instid1(VALU_DEP_1)
	v_sub_nc_u32_e32 v17, v17, v10
	v_cmp_lt_i32_e32 vcc_lo, 0, v17
	s_and_b32 exec_lo, exec_lo, vcc_lo
	s_cbranch_execz .LBB4_3088
; %bb.3040:                             ;   in Loop: Header=BB4_53 Depth=1
	s_cbranch_execnz .LBB4_6755
; %bb.3041:                             ;   in Loop: Header=BB4_53 Depth=1
	ds_load_b128 v[11:14], v0
	ds_load_b64 v[18:19], v0
	v_add_nc_u32_e32 v15, v10, v16
	s_bitcmp1_b32 s23, 0
	s_mov_b32 s23, 0
	s_cselect_b32 s24, -1, 0
	s_delay_alu instid0(VALU_DEP_1) | instskip(SKIP_2) | instid1(VALU_DEP_2)
	v_ashrrev_i32_e32 v16, 31, v15
	s_waitcnt lgkmcnt(1)
	v_add_co_u32 v10, vcc_lo, v11, v15
	v_add_co_ci_u32_e32 v11, vcc_lo, v12, v16, vcc_lo
	v_add_co_u32 v12, vcc_lo, v13, v15
	v_add_co_ci_u32_e32 v13, vcc_lo, v14, v16, vcc_lo
	s_waitcnt lgkmcnt(0)
	v_add_co_u32 v14, vcc_lo, v18, v15
	v_add_co_ci_u32_e32 v15, vcc_lo, v19, v16, vcc_lo
	s_branch .LBB4_3045
.LBB4_3042:                             ;   in Loop: Header=BB4_3045 Depth=2
	s_or_b32 exec_lo, exec_lo, s11
	s_delay_alu instid0(VALU_DEP_1) | instskip(NEXT) | instid1(VALU_DEP_2)
	v_lshrrev_b32_e32 v18, 20, v18
	v_cmp_gt_i32_e32 vcc_lo, 16, v16
	v_lshrrev_b32_e32 v19, 24, v20
	v_min_i32_e32 v20, 15, v16
	s_delay_alu instid0(VALU_DEP_2) | instskip(NEXT) | instid1(VALU_DEP_2)
	v_dual_cndmask_b32 v18, 7, v18 :: v_dual_and_b32 v19, 0x80, v19
	v_lshlrev_b32_e32 v20, 3, v20
	s_delay_alu instid0(VALU_DEP_2) | instskip(SKIP_1) | instid1(VALU_DEP_2)
	v_and_b32_e32 v21, 7, v18
	v_or_b32_e32 v16, v16, v18
	v_or3_b32 v18, v20, v19, v21
	s_delay_alu instid0(VALU_DEP_2) | instskip(NEXT) | instid1(VALU_DEP_2)
	v_cmp_ne_u32_e32 vcc_lo, 0, v16
	v_cndmask_b32_e32 v16, 0, v18, vcc_lo
.LBB4_3043:                             ;   in Loop: Header=BB4_3045 Depth=2
	s_or_b32 exec_lo, exec_lo, s26
.LBB4_3044:                             ;   in Loop: Header=BB4_3045 Depth=2
	s_delay_alu instid0(SALU_CYCLE_1)
	s_or_b32 exec_lo, exec_lo, s25
	v_add_co_u32 v10, vcc_lo, v10, v99
	v_sub_nc_u32_e32 v17, v17, v99
	v_add_co_ci_u32_e32 v11, vcc_lo, v11, v102, vcc_lo
	v_add_co_u32 v12, vcc_lo, v12, v99
	v_add_co_ci_u32_e32 v13, vcc_lo, v13, v102, vcc_lo
	flat_store_b8 v[14:15], v16 glc slc dlc
	v_cmp_gt_i32_e32 vcc_lo, 1, v17
	v_add_co_u32 v14, s11, v14, v99
	s_delay_alu instid0(VALU_DEP_1) | instskip(SKIP_1) | instid1(SALU_CYCLE_1)
	v_add_co_ci_u32_e64 v15, s11, v15, v102, s11
	s_or_b32 s23, vcc_lo, s23
	s_and_not1_b32 exec_lo, exec_lo, s23
	s_cbranch_execz .LBB4_3088
.LBB4_3045:                             ;   Parent Loop BB4_53 Depth=1
                                        ; =>  This Inner Loop Header: Depth=2
	flat_load_u8 v18, v[12:13] slc dlc
	s_waitcnt vmcnt(1) lgkmcnt(2)
	flat_load_u8 v19, v[10:11] slc dlc
	s_waitcnt vmcnt(1) lgkmcnt(1)
	v_and_b32_e32 v16, 7, v18
	v_bfe_u32 v22, v18, 3, 4
	s_delay_alu instid0(VALU_DEP_2) | instskip(NEXT) | instid1(VALU_DEP_2)
	v_clz_i32_u32_e32 v20, v16
	v_cmp_eq_u32_e32 vcc_lo, 0, v22
	s_delay_alu instid0(VALU_DEP_2) | instskip(NEXT) | instid1(VALU_DEP_1)
	v_min_u32_e32 v20, 32, v20
	v_subrev_nc_u32_e32 v21, 28, v20
	v_sub_nc_u32_e32 v20, 29, v20
	s_delay_alu instid0(VALU_DEP_1) | instskip(NEXT) | instid1(VALU_DEP_1)
	v_dual_cndmask_b32 v20, v22, v20 :: v_dual_lshlrev_b32 v21, v21, v18
	v_and_b32_e32 v21, 7, v21
	v_lshlrev_b32_e32 v23, 24, v18
	s_delay_alu instid0(VALU_DEP_3) | instskip(NEXT) | instid1(VALU_DEP_2)
	v_lshl_add_u32 v20, v20, 23, 0x3b800000
	v_dual_cndmask_b32 v16, v16, v21 :: v_dual_and_b32 v21, 0x80000000, v23
	s_and_b32 vcc_lo, exec_lo, s24
	s_delay_alu instid0(VALU_DEP_1) | instskip(NEXT) | instid1(VALU_DEP_1)
	v_lshlrev_b32_e32 v16, 20, v16
	v_or3_b32 v16, v21, v20, v16
	s_cbranch_vccz .LBB4_3055
; %bb.3046:                             ;   in Loop: Header=BB4_3045 Depth=2
	s_waitcnt vmcnt(0) lgkmcnt(0)
	v_and_b32_e32 v21, 0xff, v19
	s_mov_b32 s11, 0
	s_mov_b32 s26, exec_lo
                                        ; implicit-def: $sgpr25
	s_delay_alu instid0(VALU_DEP_1)
	v_cmpx_lt_i16_e32 0x7f, v21
	s_xor_b32 s26, exec_lo, s26
	s_cbranch_execnz .LBB4_3072
; %bb.3047:                             ;   in Loop: Header=BB4_3045 Depth=2
	s_or_saveexec_b32 s26, s26
	v_mov_b32_e32 v20, s25
	s_xor_b32 exec_lo, exec_lo, s26
	s_cbranch_execnz .LBB4_3075
.LBB4_3048:                             ;   in Loop: Header=BB4_3045 Depth=2
	s_or_b32 exec_lo, exec_lo, s26
	s_and_saveexec_b32 s25, s11
	s_cbranch_execz .LBB4_3050
.LBB4_3049:                             ;   in Loop: Header=BB4_3045 Depth=2
	v_lshrrev_b16 v23, 3, v19
	v_lshlrev_b32_e32 v24, 24, v19
	s_delay_alu instid0(VALU_DEP_2) | instskip(NEXT) | instid1(VALU_DEP_1)
	v_and_b32_e32 v23, 15, v23
	v_cmp_eq_u32_e32 vcc_lo, 0, v23
	v_and_b32_e32 v20, 7, v19
	s_delay_alu instid0(VALU_DEP_1) | instskip(NEXT) | instid1(VALU_DEP_1)
	v_clz_i32_u32_e32 v21, v20
	v_min_u32_e32 v21, 32, v21
	s_delay_alu instid0(VALU_DEP_1) | instskip(SKIP_1) | instid1(VALU_DEP_1)
	v_subrev_nc_u32_e32 v22, 28, v21
	v_sub_nc_u32_e32 v21, 29, v21
	v_dual_cndmask_b32 v21, v23, v21 :: v_dual_lshlrev_b32 v22, v22, v19
	s_delay_alu instid0(VALU_DEP_1) | instskip(NEXT) | instid1(VALU_DEP_2)
	v_and_b32_e32 v22, 7, v22
	v_lshl_add_u32 v21, v21, 23, 0x3b800000
	s_delay_alu instid0(VALU_DEP_2) | instskip(SKIP_1) | instid1(VALU_DEP_2)
	v_cndmask_b32_e32 v20, v20, v22, vcc_lo
	v_and_b32_e32 v22, 0x80000000, v24
	v_lshlrev_b32_e32 v20, 20, v20
	s_delay_alu instid0(VALU_DEP_1)
	v_or3_b32 v20, v22, v21, v20
.LBB4_3050:                             ;   in Loop: Header=BB4_3045 Depth=2
	s_or_b32 exec_lo, exec_lo, s25
	v_and_b32_e32 v21, 0xff, v18
	s_mov_b32 s11, 0
	s_mov_b32 s26, exec_lo
                                        ; implicit-def: $sgpr25
	s_delay_alu instid0(VALU_DEP_1)
	v_cmpx_lt_i16_e32 0x7f, v21
	s_xor_b32 s26, exec_lo, s26
	s_cbranch_execnz .LBB4_3076
; %bb.3051:                             ;   in Loop: Header=BB4_3045 Depth=2
	s_or_saveexec_b32 s26, s26
	v_mov_b32_e32 v22, s25
	s_xor_b32 exec_lo, exec_lo, s26
	s_cbranch_execnz .LBB4_3079
.LBB4_3052:                             ;   in Loop: Header=BB4_3045 Depth=2
	s_or_b32 exec_lo, exec_lo, s26
	s_and_saveexec_b32 s25, s11
.LBB4_3053:                             ;   in Loop: Header=BB4_3045 Depth=2
	v_mov_b32_e32 v22, v16
.LBB4_3054:                             ;   in Loop: Header=BB4_3045 Depth=2
	s_or_b32 exec_lo, exec_lo, s25
	s_delay_alu instid0(VALU_DEP_1) | instskip(SKIP_1) | instid1(VALU_DEP_1)
	v_dual_max_f32 v21, v22, v22 :: v_dual_max_f32 v20, v20, v20
	s_mov_b32 s11, 0
	v_max_f32_e32 v20, v20, v21
	s_branch .LBB4_3056
.LBB4_3055:                             ;   in Loop: Header=BB4_3045 Depth=2
	s_mov_b32 s11, -1
                                        ; implicit-def: $vgpr20
.LBB4_3056:                             ;   in Loop: Header=BB4_3045 Depth=2
	s_delay_alu instid0(SALU_CYCLE_1)
	s_and_b32 vcc_lo, exec_lo, s11
	s_cbranch_vccz .LBB4_3066
; %bb.3057:                             ;   in Loop: Header=BB4_3045 Depth=2
	s_waitcnt vmcnt(0) lgkmcnt(0)
	v_and_b32_e32 v21, 0xff, v19
	s_mov_b32 s11, 0
	s_mov_b32 s26, exec_lo
                                        ; implicit-def: $sgpr25
	s_delay_alu instid0(VALU_DEP_1)
	v_cmpx_lt_i16_e32 0x7f, v21
	s_xor_b32 s26, exec_lo, s26
	s_cbranch_execnz .LBB4_3080
; %bb.3058:                             ;   in Loop: Header=BB4_3045 Depth=2
	s_or_saveexec_b32 s26, s26
	v_mov_b32_e32 v20, s25
	s_xor_b32 exec_lo, exec_lo, s26
	s_cbranch_execnz .LBB4_3083
.LBB4_3059:                             ;   in Loop: Header=BB4_3045 Depth=2
	s_or_b32 exec_lo, exec_lo, s26
	s_and_saveexec_b32 s25, s11
	s_cbranch_execz .LBB4_3061
.LBB4_3060:                             ;   in Loop: Header=BB4_3045 Depth=2
	v_lshrrev_b16 v23, 3, v19
	s_delay_alu instid0(VALU_DEP_1) | instskip(NEXT) | instid1(VALU_DEP_1)
	v_and_b32_e32 v23, 15, v23
	v_cmp_eq_u32_e32 vcc_lo, 0, v23
	v_and_b32_e32 v20, 7, v19
	s_delay_alu instid0(VALU_DEP_1) | instskip(NEXT) | instid1(VALU_DEP_1)
	v_clz_i32_u32_e32 v21, v20
	v_min_u32_e32 v21, 32, v21
	s_delay_alu instid0(VALU_DEP_1) | instskip(SKIP_1) | instid1(VALU_DEP_1)
	v_subrev_nc_u32_e32 v22, 28, v21
	v_sub_nc_u32_e32 v21, 29, v21
	v_dual_cndmask_b32 v21, v23, v21 :: v_dual_lshlrev_b32 v22, v22, v19
	v_lshlrev_b32_e32 v19, 24, v19
	s_delay_alu instid0(VALU_DEP_2) | instskip(NEXT) | instid1(VALU_DEP_3)
	v_and_b32_e32 v22, 7, v22
	v_lshl_add_u32 v21, v21, 23, 0x3b800000
	s_delay_alu instid0(VALU_DEP_2) | instskip(NEXT) | instid1(VALU_DEP_1)
	v_dual_cndmask_b32 v20, v20, v22 :: v_dual_and_b32 v19, 0x80000000, v19
	v_lshlrev_b32_e32 v20, 20, v20
	s_delay_alu instid0(VALU_DEP_1)
	v_or3_b32 v20, v19, v21, v20
.LBB4_3061:                             ;   in Loop: Header=BB4_3045 Depth=2
	s_or_b32 exec_lo, exec_lo, s25
	v_and_b32_e32 v18, 0xff, v18
	s_mov_b32 s11, 0
	s_mov_b32 s26, exec_lo
                                        ; implicit-def: $sgpr25
	s_delay_alu instid0(VALU_DEP_1)
	v_cmpx_lt_i16_e32 0x7f, v18
	s_xor_b32 s26, exec_lo, s26
	s_cbranch_execnz .LBB4_3084
; %bb.3062:                             ;   in Loop: Header=BB4_3045 Depth=2
	s_or_saveexec_b32 s26, s26
	v_mov_b32_e32 v19, s25
	s_xor_b32 exec_lo, exec_lo, s26
	s_cbranch_execnz .LBB4_3087
.LBB4_3063:                             ;   in Loop: Header=BB4_3045 Depth=2
	s_or_b32 exec_lo, exec_lo, s26
	s_and_saveexec_b32 s25, s11
.LBB4_3064:                             ;   in Loop: Header=BB4_3045 Depth=2
	v_mov_b32_e32 v19, v16
.LBB4_3065:                             ;   in Loop: Header=BB4_3045 Depth=2
	s_or_b32 exec_lo, exec_lo, s25
	s_delay_alu instid0(VALU_DEP_1) | instskip(SKIP_1) | instid1(VALU_DEP_1)
	v_max_f32_e32 v16, v19, v19
	v_max_f32_e32 v18, v20, v20
	v_min_f32_e32 v20, v18, v16
.LBB4_3066:                             ;   in Loop: Header=BB4_3045 Depth=2
	s_delay_alu instid0(VALU_DEP_1) | instskip(NEXT) | instid1(VALU_DEP_1)
	v_and_b32_e32 v16, 0x7f800000, v20
	v_cmp_ne_u32_e32 vcc_lo, 0x7f800000, v16
	v_mov_b32_e32 v16, 0x80
	s_and_saveexec_b32 s25, vcc_lo
	s_cbranch_execz .LBB4_3044
; %bb.3067:                             ;   in Loop: Header=BB4_3045 Depth=2
	v_mov_b32_e32 v16, 0
	s_mov_b32 s26, exec_lo
	v_cmpx_ne_u32_e32 0, v20
	s_cbranch_execz .LBB4_3043
; %bb.3068:                             ;   in Loop: Header=BB4_3045 Depth=2
	v_bfe_u32 v16, v20, 23, 8
	s_waitcnt vmcnt(0) lgkmcnt(0)
	s_delay_alu instid0(VALU_DEP_1) | instskip(SKIP_1) | instid1(VALU_DEP_2)
	v_sub_nc_u32_e32 v19, 0x78, v16
	v_cmp_gt_u32_e32 vcc_lo, 0x79, v16
	v_dual_cndmask_b32 v19, 0, v19 :: v_dual_and_b32 v18, 0x7fffff, v20
	s_delay_alu instid0(VALU_DEP_1) | instskip(SKIP_2) | instid1(VALU_DEP_4)
	v_or_b32_e32 v21, 0x800000, v18
	v_cmp_eq_u32_e32 vcc_lo, 0, v16
	v_add_nc_u32_e32 v16, 0xffffff89, v16
	v_cndmask_b32_e64 v19, v19, 0x77, vcc_lo
	s_delay_alu instid0(VALU_DEP_4) | instskip(NEXT) | instid1(VALU_DEP_3)
	v_cndmask_b32_e32 v18, v21, v18, vcc_lo
	v_cndmask_b32_e64 v16, v16, 0xffffff8a, vcc_lo
	s_delay_alu instid0(VALU_DEP_3) | instskip(NEXT) | instid1(VALU_DEP_3)
	v_lshl_add_u32 v21, 0x100000, v19, -1
	v_lshrrev_b32_e32 v22, v19, v18
	v_lshlrev_b32_e64 v24, v19, 0x80000
	s_delay_alu instid0(VALU_DEP_4) | instskip(NEXT) | instid1(VALU_DEP_4)
	v_add_nc_u32_e32 v19, v19, v16
	v_and_b32_e32 v18, v21, v18
	s_delay_alu instid0(VALU_DEP_4) | instskip(NEXT) | instid1(VALU_DEP_2)
	v_bfe_u32 v23, v22, 20, 1
	v_cmp_eq_u32_e64 s11, v18, v24
	s_delay_alu instid0(VALU_DEP_2) | instskip(NEXT) | instid1(VALU_DEP_1)
	v_add_nc_u32_e32 v21, -1, v23
	v_cndmask_b32_e64 v18, 0, v21, s11
	v_lshrrev_b32_e32 v21, 23, v22
	s_mov_b32 s11, exec_lo
	s_delay_alu instid0(VALU_DEP_2) | instskip(NEXT) | instid1(VALU_DEP_2)
	v_add_nc_u32_e32 v18, v18, v22
	v_xor_b32_e32 v21, 1, v21
	s_delay_alu instid0(VALU_DEP_2) | instskip(NEXT) | instid1(VALU_DEP_1)
	v_and_b32_e32 v16, 0xfffff, v18
	v_add_nc_u32_e32 v18, v16, v22
                                        ; implicit-def: $vgpr16
	s_delay_alu instid0(VALU_DEP_3)
	v_cmpx_ne_u32_e64 v19, v21
	s_xor_b32 s11, exec_lo, s11
; %bb.3069:                             ;   in Loop: Header=BB4_3045 Depth=2
	s_delay_alu instid0(VALU_DEP_2) | instskip(SKIP_2) | instid1(VALU_DEP_2)
	v_cmp_lt_u32_e32 vcc_lo, 0xffffff, v18
	v_sub_nc_u32_e32 v16, v19, v21
	v_cndmask_b32_e64 v19, 0, 1, vcc_lo
	v_add_co_ci_u32_e32 v16, vcc_lo, 0, v16, vcc_lo
	s_delay_alu instid0(VALU_DEP_2)
	v_lshrrev_b32_e32 v18, v19, v18
; %bb.3070:                             ;   in Loop: Header=BB4_3045 Depth=2
	s_and_not1_saveexec_b32 s11, s11
	s_cbranch_execz .LBB4_3042
; %bb.3071:                             ;   in Loop: Header=BB4_3045 Depth=2
	s_delay_alu instid0(VALU_DEP_1)
	v_bfe_u32 v16, v18, 23, 1
	s_branch .LBB4_3042
.LBB4_3072:                             ;   in Loop: Header=BB4_3045 Depth=2
	s_mov_b32 s11, -1
	s_mov_b32 s27, exec_lo
                                        ; implicit-def: $sgpr25
	v_cmpx_eq_u16_e32 0x80, v21
; %bb.3073:                             ;   in Loop: Header=BB4_3045 Depth=2
	s_mov_b32 s25, 0x7f800001
	s_xor_b32 s11, exec_lo, -1
; %bb.3074:                             ;   in Loop: Header=BB4_3045 Depth=2
	s_or_b32 exec_lo, exec_lo, s27
	s_delay_alu instid0(SALU_CYCLE_1)
	s_and_b32 s11, s11, exec_lo
                                        ; implicit-def: $vgpr21
	s_or_saveexec_b32 s26, s26
	v_mov_b32_e32 v20, s25
	s_xor_b32 exec_lo, exec_lo, s26
	s_cbranch_execz .LBB4_3048
.LBB4_3075:                             ;   in Loop: Header=BB4_3045 Depth=2
	v_cmp_ne_u16_e32 vcc_lo, 0, v21
	v_mov_b32_e32 v20, 0
	s_and_not1_b32 s11, s11, exec_lo
	s_and_b32 s25, vcc_lo, exec_lo
	s_delay_alu instid0(SALU_CYCLE_1)
	s_or_b32 s11, s11, s25
	s_or_b32 exec_lo, exec_lo, s26
	s_and_saveexec_b32 s25, s11
	s_cbranch_execnz .LBB4_3049
	s_branch .LBB4_3050
.LBB4_3076:                             ;   in Loop: Header=BB4_3045 Depth=2
	s_mov_b32 s11, -1
	s_mov_b32 s27, exec_lo
                                        ; implicit-def: $sgpr25
	v_cmpx_eq_u16_e32 0x80, v21
; %bb.3077:                             ;   in Loop: Header=BB4_3045 Depth=2
	s_mov_b32 s25, 0x7f800001
	s_xor_b32 s11, exec_lo, -1
; %bb.3078:                             ;   in Loop: Header=BB4_3045 Depth=2
	s_or_b32 exec_lo, exec_lo, s27
	s_delay_alu instid0(SALU_CYCLE_1)
	s_and_b32 s11, s11, exec_lo
                                        ; implicit-def: $vgpr21
	s_or_saveexec_b32 s26, s26
	v_mov_b32_e32 v22, s25
	s_xor_b32 exec_lo, exec_lo, s26
	s_cbranch_execz .LBB4_3052
.LBB4_3079:                             ;   in Loop: Header=BB4_3045 Depth=2
	v_cmp_ne_u16_e32 vcc_lo, 0, v21
	v_mov_b32_e32 v22, 0
	s_and_not1_b32 s11, s11, exec_lo
	s_and_b32 s25, vcc_lo, exec_lo
	s_delay_alu instid0(SALU_CYCLE_1)
	s_or_b32 s11, s11, s25
	s_or_b32 exec_lo, exec_lo, s26
	s_and_saveexec_b32 s25, s11
	s_cbranch_execnz .LBB4_3053
	s_branch .LBB4_3054
.LBB4_3080:                             ;   in Loop: Header=BB4_3045 Depth=2
	s_mov_b32 s11, -1
	s_mov_b32 s27, exec_lo
                                        ; implicit-def: $sgpr25
	v_cmpx_eq_u16_e32 0x80, v21
; %bb.3081:                             ;   in Loop: Header=BB4_3045 Depth=2
	s_mov_b32 s25, 0x7f800001
	s_xor_b32 s11, exec_lo, -1
; %bb.3082:                             ;   in Loop: Header=BB4_3045 Depth=2
	s_or_b32 exec_lo, exec_lo, s27
	s_delay_alu instid0(SALU_CYCLE_1)
	s_and_b32 s11, s11, exec_lo
                                        ; implicit-def: $vgpr21
	s_or_saveexec_b32 s26, s26
	v_mov_b32_e32 v20, s25
	s_xor_b32 exec_lo, exec_lo, s26
	s_cbranch_execz .LBB4_3059
.LBB4_3083:                             ;   in Loop: Header=BB4_3045 Depth=2
	v_cmp_ne_u16_e32 vcc_lo, 0, v21
	v_mov_b32_e32 v20, 0
	s_and_not1_b32 s11, s11, exec_lo
	s_and_b32 s25, vcc_lo, exec_lo
	s_delay_alu instid0(SALU_CYCLE_1)
	s_or_b32 s11, s11, s25
	s_or_b32 exec_lo, exec_lo, s26
	s_and_saveexec_b32 s25, s11
	s_cbranch_execnz .LBB4_3060
	s_branch .LBB4_3061
.LBB4_3084:                             ;   in Loop: Header=BB4_3045 Depth=2
	s_mov_b32 s11, -1
	s_mov_b32 s27, exec_lo
                                        ; implicit-def: $sgpr25
	v_cmpx_eq_u16_e32 0x80, v18
; %bb.3085:                             ;   in Loop: Header=BB4_3045 Depth=2
	s_mov_b32 s25, 0x7f800001
	s_xor_b32 s11, exec_lo, -1
; %bb.3086:                             ;   in Loop: Header=BB4_3045 Depth=2
	s_or_b32 exec_lo, exec_lo, s27
	s_delay_alu instid0(SALU_CYCLE_1)
	s_and_b32 s11, s11, exec_lo
                                        ; implicit-def: $vgpr18
	s_or_saveexec_b32 s26, s26
	v_mov_b32_e32 v19, s25
	s_xor_b32 exec_lo, exec_lo, s26
	s_cbranch_execz .LBB4_3063
.LBB4_3087:                             ;   in Loop: Header=BB4_3045 Depth=2
	v_cmp_ne_u16_e32 vcc_lo, 0, v18
	v_mov_b32_e32 v19, 0
	s_and_not1_b32 s11, s11, exec_lo
	s_and_b32 s25, vcc_lo, exec_lo
	s_delay_alu instid0(SALU_CYCLE_1)
	s_or_b32 s11, s11, s25
	s_or_b32 exec_lo, exec_lo, s26
	s_and_saveexec_b32 s25, s11
	s_cbranch_execnz .LBB4_3064
	s_branch .LBB4_3065
.LBB4_3088:                             ;   in Loop: Header=BB4_53 Depth=1
	s_or_b32 exec_lo, exec_lo, s12
	v_cmp_ne_u32_e64 s11, 0, v52
.LBB4_3089:                             ;   in Loop: Header=BB4_53 Depth=1
	s_and_saveexec_b32 s12, s3
	s_cbranch_execz .LBB4_3111
; %bb.3090:                             ;   in Loop: Header=BB4_53 Depth=1
	s_and_saveexec_b32 s23, s4
	s_delay_alu instid0(SALU_CYCLE_1)
	s_xor_b32 s23, exec_lo, s23
	s_cbranch_execz .LBB4_3108
; %bb.3091:                             ;   in Loop: Header=BB4_53 Depth=1
	s_and_saveexec_b32 s24, s5
	s_cbranch_execz .LBB4_3107
; %bb.3092:                             ;   in Loop: Header=BB4_53 Depth=1
	s_mov_b32 s26, exec_lo
	s_mov_b32 s25, exec_lo
	v_mbcnt_lo_u32_b32 v10, s26, 0
	s_waitcnt vmcnt(0) lgkmcnt(0)
	s_waitcnt_vscnt null, 0x0
	buffer_gl1_inv
	buffer_gl0_inv
	v_cmpx_eq_u32_e32 0, v10
	s_cbranch_execz .LBB4_3094
; %bb.3093:                             ;   in Loop: Header=BB4_53 Depth=1
	s_bcnt1_i32_b32 s26, s26
	s_delay_alu instid0(SALU_CYCLE_1)
	v_mov_b32_e32 v52, s26
	ds_add_u64 v0, v[52:53]
	s_cbranch_execnz .LBB4_6749
.LBB4_3094:                             ;   in Loop: Header=BB4_53 Depth=1
	s_or_b32 exec_lo, exec_lo, s25
	s_cbranch_execnz .LBB4_6727
; %bb.3095:                             ;   in Loop: Header=BB4_53 Depth=1
	ds_load_b64 v[10:11], v0
	v_add_co_u32 v38, vcc_lo, v38, v83
	v_add_co_ci_u32_e32 v39, vcc_lo, 0, v39, vcc_lo
	s_mov_b32 s25, exec_lo
	s_waitcnt lgkmcnt(0)
	s_delay_alu instid0(VALU_DEP_1)
	v_cmpx_lt_u64_e64 v[10:11], v[38:39]
	s_cbranch_execz .LBB4_3106
; %bb.3096:                             ;   in Loop: Header=BB4_53 Depth=1
	s_mov_b32 s26, 0
	s_mov_b32 s29, 0
                                        ; implicit-def: $sgpr27
                                        ; implicit-def: $sgpr28
	s_branch .LBB4_3098
.LBB4_3097:                             ;   in Loop: Header=BB4_3098 Depth=2
	s_or_b32 exec_lo, exec_lo, s30
	s_delay_alu instid0(SALU_CYCLE_1) | instskip(NEXT) | instid1(SALU_CYCLE_1)
	s_and_b32 vcc_lo, exec_lo, vcc_lo
	s_or_b32 s26, vcc_lo, s26
	s_and_not1_b32 s27, s27, exec_lo
	s_and_b32 vcc_lo, s28, exec_lo
	s_delay_alu instid0(SALU_CYCLE_1)
	s_or_b32 s27, s27, vcc_lo
	s_and_not1_b32 exec_lo, exec_lo, s26
	s_cbranch_execz .LBB4_3104
.LBB4_3098:                             ;   Parent Loop BB4_53 Depth=1
                                        ; =>  This Inner Loop Header: Depth=2
	s_add_i32 s29, s29, 1
                                        ; implicit-def: $sgpr30
	s_delay_alu instid0(SALU_CYCLE_1) | instskip(SKIP_1) | instid1(SALU_CYCLE_1)
	s_cmpk_lg_i32 s29, 0x2710
	s_cselect_b32 vcc_hi, -1, 0
	s_and_b32 vcc_lo, exec_lo, vcc_hi
	s_cbranch_vccz .LBB4_3102
.LBB4_3099:                             ;   in Loop: Header=BB4_3098 Depth=2
	s_and_not1_b32 s28, s28, exec_lo
	s_and_b32 s30, s30, exec_lo
	s_mov_b32 vcc_lo, -1
	s_or_b32 s28, s28, s30
	s_and_saveexec_b32 s30, vcc_hi
	s_cbranch_execz .LBB4_3097
; %bb.3100:                             ;   in Loop: Header=BB4_3098 Depth=2
	s_sleep 1
	s_cbranch_execnz .LBB4_6765
; %bb.3101:                             ;   in Loop: Header=BB4_3098 Depth=2
	ds_load_b64 v[10:11], v0
	s_and_not1_b32 s28, s28, exec_lo
	s_waitcnt lgkmcnt(0)
	v_cmp_ge_u64_e32 vcc_lo, v[10:11], v[38:39]
	s_or_not1_b32 vcc_lo, vcc_lo, exec_lo
	s_branch .LBB4_3097
.LBB4_3102:                             ;   in Loop: Header=BB4_3098 Depth=2
	s_cbranch_execnz .LBB4_6769
; %bb.3103:                             ;   in Loop: Header=BB4_3098 Depth=2
	ds_load_b64 v[10:11], v0
	s_mov_b32 s29, 0
	s_mov_b32 s30, -1
	s_waitcnt lgkmcnt(0)
	flat_load_b32 v10, v[10:11] glc
	s_waitcnt vmcnt(0) lgkmcnt(0)
	buffer_gl1_inv
	buffer_gl0_inv
	v_cmp_eq_u32_e32 vcc_lo, 0, v10
	s_and_not1_b32 vcc_hi, vcc_hi, exec_lo
	s_and_b32 vcc_lo, vcc_lo, exec_lo
	s_delay_alu instid0(SALU_CYCLE_1)
	s_or_b32 vcc_hi, vcc_hi, vcc_lo
	s_branch .LBB4_3099
.LBB4_3104:                             ;   in Loop: Header=BB4_53 Depth=1
	s_or_b32 exec_lo, exec_lo, s26
	s_and_saveexec_b32 s26, s27
	s_delay_alu instid0(SALU_CYCLE_1)
	s_xor_b32 s26, exec_lo, s26
	s_cbranch_execz .LBB4_3106
; %bb.3105:                             ;   in Loop: Header=BB4_53 Depth=1
	ds_store_b32 v0, v103
	s_cbranch_execnz .LBB4_6793
.LBB4_3106:                             ;   in Loop: Header=BB4_53 Depth=1
	s_or_b32 exec_lo, exec_lo, s25
	;;#ASMSTART
	s_wakeup
	;;#ASMEND
.LBB4_3107:                             ;   in Loop: Header=BB4_53 Depth=1
	s_or_b32 exec_lo, exec_lo, s24
.LBB4_3108:                             ;   in Loop: Header=BB4_53 Depth=1
	s_and_not1_saveexec_b32 s23, s23
	s_cbranch_execz .LBB4_3110
; %bb.3109:                             ;   in Loop: Header=BB4_53 Depth=1
	s_waitcnt vmcnt(0) lgkmcnt(0)
	s_waitcnt_vscnt null, 0x0
	buffer_gl1_inv
	buffer_gl0_inv
	s_barrier
.LBB4_3110:                             ;   in Loop: Header=BB4_53 Depth=1
	s_or_b32 exec_lo, exec_lo, s23
.LBB4_3111:                             ;   in Loop: Header=BB4_53 Depth=1
	s_delay_alu instid0(SALU_CYCLE_1) | instskip(SKIP_1) | instid1(VALU_DEP_1)
	s_or_b32 exec_lo, exec_lo, s12
	v_and_b32_e32 v10, 16, v30
	v_cmp_ne_u32_e32 vcc_lo, 0, v10
	s_and_b32 s12, vcc_lo, s11
	s_delay_alu instid0(SALU_CYCLE_1)
	s_and_saveexec_b32 s11, s12
	s_cbranch_execz .LBB4_3113
; %bb.3112:                             ;   in Loop: Header=BB4_53 Depth=1
	s_waitcnt vmcnt(0) lgkmcnt(0)
	s_waitcnt_vscnt null, 0x0
	buffer_gl1_inv
	buffer_gl0_inv
.LBB4_3113:                             ;   in Loop: Header=BB4_53 Depth=1
	s_or_b32 exec_lo, exec_lo, s11
	v_cmp_ne_u32_e32 vcc_lo, 0, v10
	s_xor_b32 s11, s10, -1
	s_delay_alu instid0(SALU_CYCLE_1) | instskip(NEXT) | instid1(SALU_CYCLE_1)
	s_and_b32 s12, vcc_lo, s11
	s_and_saveexec_b32 s11, s12
	s_cbranch_execz .LBB4_3115
; %bb.3114:                             ;   in Loop: Header=BB4_53 Depth=1
	s_waitcnt vmcnt(0) lgkmcnt(0)
	s_waitcnt_vscnt null, 0x0
	flat_store_b32 v[50:51], v103
.LBB4_3115:                             ;   in Loop: Header=BB4_53 Depth=1
	s_or_b32 exec_lo, exec_lo, s11
	v_and_b32_e32 v10, 48, v30
	s_mov_b32 s11, exec_lo
	s_delay_alu instid0(VALU_DEP_1)
	v_cmpx_ne_u32_e32 0, v10
	s_cbranch_execz .LBB4_3117
; %bb.3116:                             ;   in Loop: Header=BB4_53 Depth=1
	v_add_co_u32 v8, vcc_lo, v8, 1
	v_add_co_ci_u32_e32 v9, vcc_lo, 0, v9, vcc_lo
	s_waitcnt vmcnt(0) lgkmcnt(0)
	s_waitcnt_vscnt null, 0x0
	flat_store_b64 v[32:33], v[8:9]
.LBB4_3117:                             ;   in Loop: Header=BB4_53 Depth=1
	s_or_b32 exec_lo, exec_lo, s11
	v_mov_b32_e32 v12, v65
.LBB4_3118:                             ;   in Loop: Header=BB4_53 Depth=1
	s_or_b32 exec_lo, exec_lo, s22
	s_and_saveexec_b32 s12, s21
	s_cbranch_execz .LBB4_3178
; %bb.3119:                             ;   in Loop: Header=BB4_53 Depth=1
	v_and_b32_e32 v10, 12, v30
	s_mov_b32 s21, -1
	s_mov_b32 s11, exec_lo
	s_delay_alu instid0(VALU_DEP_1)
	v_cmpx_ne_u32_e32 0, v10
	s_cbranch_execz .LBB4_3133
; %bb.3120:                             ;   in Loop: Header=BB4_53 Depth=1
	v_and_b32_e32 v13, 8, v30
	s_delay_alu instid0(VALU_DEP_1) | instskip(SKIP_4) | instid1(VALU_DEP_1)
	v_add_co_u32 v14, vcc_lo, v36, v13
	v_add_co_ci_u32_e32 v15, vcc_lo, 0, v37, vcc_lo
	s_waitcnt lgkmcnt(0)
	v_add_co_u32 v10, vcc_lo, v8, 1
	v_add_co_ci_u32_e32 v11, vcc_lo, 0, v9, vcc_lo
	v_cmp_lt_u64_e32 vcc_lo, v[14:15], v[10:11]
	v_mov_b32_e32 v14, 1
	s_and_saveexec_b32 s21, vcc_lo
	s_cbranch_execz .LBB4_3132
; %bb.3121:                             ;   in Loop: Header=BB4_53 Depth=1
	v_mov_b32_e32 v14, 0
	s_mov_b32 s22, 0
                                        ; implicit-def: $sgpr23
	s_branch .LBB4_3125
.LBB4_3122:                             ;   in Loop: Header=BB4_3125 Depth=2
	s_or_b32 exec_lo, exec_lo, s27
	v_mov_b32_e32 v15, 0
	s_or_not1_b32 s26, s26, exec_lo
.LBB4_3123:                             ;   in Loop: Header=BB4_3125 Depth=2
	s_or_b32 exec_lo, exec_lo, s25
	s_delay_alu instid0(VALU_DEP_1) | instskip(SKIP_2) | instid1(SALU_CYCLE_1)
	v_mov_b32_e32 v14, v15
	s_and_not1_b32 s23, s23, exec_lo
	s_and_b32 s25, s26, exec_lo
	s_or_b32 s23, s23, s25
.LBB4_3124:                             ;   in Loop: Header=BB4_3125 Depth=2
	s_or_b32 exec_lo, exec_lo, s24
	s_waitcnt vmcnt(0) lgkmcnt(0)
	v_add_co_u32 v15, vcc_lo, v36, v13
	v_add_co_ci_u32_e32 v16, vcc_lo, 0, v37, vcc_lo
	s_xor_b32 s24, s23, -1
	s_delay_alu instid0(VALU_DEP_1) | instskip(SKIP_1) | instid1(SALU_CYCLE_1)
	v_cmp_ge_u64_e32 vcc_lo, v[15:16], v[10:11]
	s_or_b32 s24, s24, vcc_lo
	s_and_b32 s24, exec_lo, s24
	s_delay_alu instid0(SALU_CYCLE_1) | instskip(NEXT) | instid1(SALU_CYCLE_1)
	s_or_b32 s22, s24, s22
	s_and_not1_b32 exec_lo, exec_lo, s22
	s_cbranch_execz .LBB4_3131
.LBB4_3125:                             ;   Parent Loop BB4_53 Depth=1
                                        ; =>  This Inner Loop Header: Depth=2
	s_sleep 1
	flat_load_b64 v[36:37], v[32:33] glc
	v_and_b32_e32 v15, 64, v30
	s_and_not1_b32 s23, s23, exec_lo
	s_mov_b32 s24, exec_lo
	s_delay_alu instid0(VALU_DEP_1)
	v_cmpx_eq_u32_e32 0, v15
	s_cbranch_execz .LBB4_3124
; %bb.3126:                             ;   in Loop: Header=BB4_3125 Depth=2
	v_add_nc_u32_e32 v15, 1, v14
	s_mov_b32 s26, -1
	s_mov_b32 s25, exec_lo
	v_cmpx_lt_i32_e32 0x270e, v14
	s_cbranch_execz .LBB4_3123
; %bb.3127:                             ;   in Loop: Header=BB4_3125 Depth=2
	s_cbranch_execnz .LBB4_6613
; %bb.3128:                             ;   in Loop: Header=BB4_3125 Depth=2
	ds_load_b64 v[14:15], v0
	s_mov_b32 s27, exec_lo
	s_waitcnt vmcnt(0) lgkmcnt(0)
	s_waitcnt_vscnt null, 0x0
	flat_load_b32 v14, v[14:15] glc
	s_waitcnt vmcnt(0) lgkmcnt(0)
	buffer_gl1_inv
	buffer_gl0_inv
	v_cmpx_ne_u32_e32 0, v14
	s_cbranch_execz .LBB4_3122
; %bb.3129:                             ;   in Loop: Header=BB4_3125 Depth=2
	ds_store_b32 v0, v14
	s_cbranch_execnz .LBB4_6639
; %bb.3130:                             ;   in Loop: Header=BB4_3125 Depth=2
	v_or_b32_e32 v30, 64, v30
	s_xor_b32 s26, exec_lo, -1
	s_branch .LBB4_3122
.LBB4_3131:                             ;   in Loop: Header=BB4_53 Depth=1
	s_or_b32 exec_lo, exec_lo, s22
	v_and_b32_e32 v14, 12, v30
.LBB4_3132:                             ;   in Loop: Header=BB4_53 Depth=1
	s_or_b32 exec_lo, exec_lo, s21
	s_delay_alu instid0(VALU_DEP_1)
	v_cmp_eq_u32_e32 vcc_lo, 0, v14
	;;#ASMSTART
	s_wakeup
	;;#ASMEND
	s_or_not1_b32 s21, vcc_lo, exec_lo
.LBB4_3133:                             ;   in Loop: Header=BB4_53 Depth=1
	s_or_b32 exec_lo, exec_lo, s11
	v_sub_nc_u32_e32 v10, v64, v12
	s_xor_b32 s11, s21, -1
	s_delay_alu instid0(VALU_DEP_1)
	v_min_i32_e32 v10, v65, v10
	s_and_saveexec_b32 s21, s11
	s_cbranch_execz .LBB4_3148
; %bb.3134:                             ;   in Loop: Header=BB4_53 Depth=1
	v_and_b32_e32 v11, 0x108, v30
	s_mov_b32 s11, exec_lo
	s_delay_alu instid0(VALU_DEP_1)
	v_cmpx_ne_u32_e32 0x108, v11
	s_xor_b32 s11, exec_lo, s11
                                        ; implicit-def: $vgpr12_vgpr13
	s_cbranch_execz .LBB4_3136
; %bb.3135:                             ;   in Loop: Header=BB4_53 Depth=1
	s_waitcnt lgkmcnt(0)
	v_and_b32_e32 v12, 7, v8
.LBB4_3136:                             ;   in Loop: Header=BB4_53 Depth=1
	s_and_not1_saveexec_b32 s11, s11
	s_cbranch_execz .LBB4_3138
; %bb.3137:                             ;   in Loop: Header=BB4_53 Depth=1
	s_waitcnt lgkmcnt(0)
	v_and_b32_e32 v12, 7, v8
	v_ashrrev_i32_e32 v11, 31, v10
	s_delay_alu instid0(VALU_DEP_2)
	v_mad_u64_u32 v[13:14], null, v12, 24, v[6:7]
	flat_store_b64 v[13:14], v[10:11] offset:8
.LBB4_3138:                             ;   in Loop: Header=BB4_53 Depth=1
	s_or_b32 exec_lo, exec_lo, s11
	v_and_b32_e32 v11, 0x100, v30
	s_mov_b32 s11, -1
	s_mov_b32 s22, exec_lo
                                        ; implicit-def: $vgpr13_vgpr14
	s_delay_alu instid0(VALU_DEP_1)
	v_cmpx_ne_u32_e32 0, v11
	s_cbranch_execnz .LBB4_3141
; %bb.3139:                             ;   in Loop: Header=BB4_53 Depth=1
	s_or_b32 exec_lo, exec_lo, s22
	s_and_saveexec_b32 s22, s11
	s_cbranch_execnz .LBB4_3144
.LBB4_3140:                             ;   in Loop: Header=BB4_53 Depth=1
	s_or_b32 exec_lo, exec_lo, s22
	s_cbranch_execnz .LBB4_6605
	s_branch .LBB4_3145
.LBB4_3141:                             ;   in Loop: Header=BB4_53 Depth=1
	v_mad_u64_u32 v[15:16], null, v12, 24, v[6:7]
	s_mov_b32 s23, exec_lo
	s_delay_alu instid0(VALU_DEP_1) | instskip(NEXT) | instid1(VALU_DEP_1)
	v_mov_b32_e32 v11, v16
	v_mad_u64_u32 v[13:14], null, v53, 24, v[11:12]
	s_delay_alu instid0(VALU_DEP_1)
	v_mov_b32_e32 v16, v13
                                        ; implicit-def: $vgpr13_vgpr14
	flat_load_b32 v11, v[15:16]
	s_waitcnt vmcnt(0) lgkmcnt(0)
	v_cmp_ne_u32_e32 vcc_lo, 1, v11
	v_cmpx_eq_u32_e32 1, v11
	s_cbranch_execz .LBB4_3143
; %bb.3142:                             ;   in Loop: Header=BB4_53 Depth=1
	flat_load_b32 v13, v[15:16] offset:4 glc
	s_waitcnt vmcnt(0) lgkmcnt(0)
	v_ashrrev_i32_e32 v14, 31, v13
.LBB4_3143:                             ;   in Loop: Header=BB4_53 Depth=1
	s_or_b32 exec_lo, exec_lo, s23
	s_delay_alu instid0(SALU_CYCLE_1)
	s_or_not1_b32 s11, vcc_lo, exec_lo
	s_or_b32 exec_lo, exec_lo, s22
	s_and_saveexec_b32 s22, s11
	s_cbranch_execz .LBB4_3140
.LBB4_3144:                             ;   in Loop: Header=BB4_53 Depth=1
	v_mul_lo_u32 v11, v53, v81
	v_mul_lo_u32 v15, v12, v82
	v_mad_u64_u32 v[13:14], null, v12, v81, 0
	s_delay_alu instid0(VALU_DEP_1)
	v_add3_u32 v14, v14, v15, v11
	s_or_b32 exec_lo, exec_lo, s22
	s_cbranch_execnz .LBB4_6605
.LBB4_3145:                             ;   in Loop: Header=BB4_53 Depth=1
	s_waitcnt lgkmcnt(0)
	s_delay_alu instid0(VALU_DEP_2)
	v_add_co_u32 v11, vcc_lo, v34, v13
	v_and_b32_e32 v15, 0x2000, v30
	v_add_co_ci_u32_e32 v12, vcc_lo, v35, v14, vcc_lo
	s_mov_b32 s11, exec_lo
	ds_store_b64 v0, v[11:12]
	v_cmpx_ne_u32_e32 0, v15
	s_cbranch_execz .LBB4_3147
; %bb.3146:                             ;   in Loop: Header=BB4_53 Depth=1
	ds_load_b64 v[11:12], v0 offset:584
	s_waitcnt lgkmcnt(0)
	v_add_co_u32 v11, vcc_lo, v11, 1
	v_add_co_ci_u32_e32 v12, vcc_lo, 0, v12, vcc_lo
	ds_store_b64 v0, v[11:12] offset:584
.LBB4_3147:                             ;   in Loop: Header=BB4_53 Depth=1
	s_or_b32 exec_lo, exec_lo, s11
	v_add_co_u32 v8, vcc_lo, v8, 1
	v_add_co_ci_u32_e32 v9, vcc_lo, 0, v9, vcc_lo
.LBB4_3148:                             ;   in Loop: Header=BB4_53 Depth=1
	s_or_b32 exec_lo, exec_lo, s21
	s_and_saveexec_b32 s11, s3
	s_cbranch_execz .LBB4_3170
; %bb.3149:                             ;   in Loop: Header=BB4_53 Depth=1
	s_and_saveexec_b32 s21, s4
	s_delay_alu instid0(SALU_CYCLE_1)
	s_xor_b32 s21, exec_lo, s21
	s_cbranch_execz .LBB4_3167
; %bb.3150:                             ;   in Loop: Header=BB4_53 Depth=1
	s_and_saveexec_b32 s22, s5
	s_cbranch_execz .LBB4_3166
; %bb.3151:                             ;   in Loop: Header=BB4_53 Depth=1
	s_mov_b32 s24, exec_lo
	s_mov_b32 s23, exec_lo
	v_mbcnt_lo_u32_b32 v11, s24, 0
	s_waitcnt vmcnt(0) lgkmcnt(0)
	s_waitcnt_vscnt null, 0x0
	buffer_gl1_inv
	buffer_gl0_inv
	v_cmpx_eq_u32_e32 0, v11
	s_cbranch_execz .LBB4_3153
; %bb.3152:                             ;   in Loop: Header=BB4_53 Depth=1
	s_bcnt1_i32_b32 s24, s24
	s_delay_alu instid0(SALU_CYCLE_1)
	v_mov_b32_e32 v52, s24
	ds_add_u64 v0, v[52:53]
	s_cbranch_execnz .LBB4_6671
.LBB4_3153:                             ;   in Loop: Header=BB4_53 Depth=1
	s_or_b32 exec_lo, exec_lo, s23
	s_cbranch_execnz .LBB4_6655
; %bb.3154:                             ;   in Loop: Header=BB4_53 Depth=1
	ds_load_b64 v[11:12], v0
	v_add_co_u32 v38, vcc_lo, v38, v83
	v_add_co_ci_u32_e32 v39, vcc_lo, 0, v39, vcc_lo
	s_mov_b32 s23, exec_lo
	s_waitcnt lgkmcnt(0)
	s_delay_alu instid0(VALU_DEP_1)
	v_cmpx_lt_u64_e64 v[11:12], v[38:39]
	s_cbranch_execz .LBB4_3165
; %bb.3155:                             ;   in Loop: Header=BB4_53 Depth=1
	s_mov_b32 s24, 0
	s_mov_b32 s27, 0
                                        ; implicit-def: $sgpr25
                                        ; implicit-def: $sgpr26
	s_branch .LBB4_3157
.LBB4_3156:                             ;   in Loop: Header=BB4_3157 Depth=2
	s_or_b32 exec_lo, exec_lo, vcc_hi
	s_delay_alu instid0(SALU_CYCLE_1) | instskip(NEXT) | instid1(SALU_CYCLE_1)
	s_and_b32 s28, exec_lo, s29
	s_or_b32 s24, s28, s24
	s_and_not1_b32 s25, s25, exec_lo
	s_and_b32 s28, s26, exec_lo
	s_delay_alu instid0(SALU_CYCLE_1)
	s_or_b32 s25, s25, s28
	s_and_not1_b32 exec_lo, exec_lo, s24
	s_cbranch_execz .LBB4_3163
.LBB4_3157:                             ;   Parent Loop BB4_53 Depth=1
                                        ; =>  This Inner Loop Header: Depth=2
	s_add_i32 s27, s27, 1
                                        ; implicit-def: $sgpr29
	s_delay_alu instid0(SALU_CYCLE_1) | instskip(SKIP_1) | instid1(SALU_CYCLE_1)
	s_cmpk_lg_i32 s27, 0x2710
	s_cselect_b32 s28, -1, 0
	s_and_b32 vcc_lo, exec_lo, s28
	s_cbranch_vccz .LBB4_3161
.LBB4_3158:                             ;   in Loop: Header=BB4_3157 Depth=2
	s_and_not1_b32 s26, s26, exec_lo
	s_and_b32 vcc_lo, s29, exec_lo
	s_mov_b32 s29, -1
	s_or_b32 s26, s26, vcc_lo
	s_and_saveexec_b32 vcc_hi, s28
	s_cbranch_execz .LBB4_3156
; %bb.3159:                             ;   in Loop: Header=BB4_3157 Depth=2
	s_sleep 1
	s_cbranch_execnz .LBB4_6707
; %bb.3160:                             ;   in Loop: Header=BB4_3157 Depth=2
	ds_load_b64 v[11:12], v0
	s_and_not1_b32 s26, s26, exec_lo
	s_waitcnt lgkmcnt(0)
	v_cmp_ge_u64_e32 vcc_lo, v[11:12], v[38:39]
	s_or_not1_b32 s29, vcc_lo, exec_lo
	s_branch .LBB4_3156
.LBB4_3161:                             ;   in Loop: Header=BB4_3157 Depth=2
	s_cbranch_execnz .LBB4_6723
; %bb.3162:                             ;   in Loop: Header=BB4_3157 Depth=2
	ds_load_b64 v[11:12], v0
	s_and_not1_b32 s28, s28, exec_lo
	s_mov_b32 s27, 0
	s_mov_b32 s29, -1
	s_waitcnt lgkmcnt(0)
	flat_load_b32 v11, v[11:12] glc
	s_waitcnt vmcnt(0) lgkmcnt(0)
	buffer_gl1_inv
	buffer_gl0_inv
	v_cmp_eq_u32_e32 vcc_lo, 0, v11
	s_and_b32 vcc_lo, vcc_lo, exec_lo
	s_delay_alu instid0(SALU_CYCLE_1)
	s_or_b32 s28, s28, vcc_lo
	s_branch .LBB4_3158
.LBB4_3163:                             ;   in Loop: Header=BB4_53 Depth=1
	s_or_b32 exec_lo, exec_lo, s24
	s_and_saveexec_b32 s24, s25
	s_delay_alu instid0(SALU_CYCLE_1)
	s_xor_b32 s24, exec_lo, s24
	s_cbranch_execz .LBB4_3165
; %bb.3164:                             ;   in Loop: Header=BB4_53 Depth=1
	ds_store_b32 v0, v103
	s_cbranch_execnz .LBB4_6783
.LBB4_3165:                             ;   in Loop: Header=BB4_53 Depth=1
	s_or_b32 exec_lo, exec_lo, s23
	;;#ASMSTART
	s_wakeup
	;;#ASMEND
.LBB4_3166:                             ;   in Loop: Header=BB4_53 Depth=1
	s_or_b32 exec_lo, exec_lo, s22
.LBB4_3167:                             ;   in Loop: Header=BB4_53 Depth=1
	s_and_not1_saveexec_b32 s21, s21
	s_cbranch_execz .LBB4_3169
; %bb.3168:                             ;   in Loop: Header=BB4_53 Depth=1
	s_waitcnt vmcnt(0) lgkmcnt(0)
	s_waitcnt_vscnt null, 0x0
	buffer_gl1_inv
	buffer_gl0_inv
	s_barrier
.LBB4_3169:                             ;   in Loop: Header=BB4_53 Depth=1
	s_or_b32 exec_lo, exec_lo, s21
.LBB4_3170:                             ;   in Loop: Header=BB4_53 Depth=1
	s_delay_alu instid0(SALU_CYCLE_1)
	s_or_b32 exec_lo, exec_lo, s11
	s_cbranch_execnz .LBB4_6594
; %bb.3171:                             ;   in Loop: Header=BB4_53 Depth=1
	ds_load_b32 v11, v0
	v_cmp_lt_i32_e32 vcc_lo, 0, v10
	s_waitcnt lgkmcnt(0)
	v_readfirstlane_b32 s11, v11
	v_and_b32_e32 v11, 16, v30
	s_delay_alu instid0(VALU_DEP_2) | instskip(NEXT) | instid1(VALU_DEP_1)
	s_cmp_eq_u32 s11, 0
	v_cmp_ne_u32_e64 s11, 0, v11
	s_cselect_b32 s21, -1, 0
	s_delay_alu instid0(SALU_CYCLE_1)
	s_and_b32 s21, vcc_lo, s21
	s_delay_alu instid0(VALU_DEP_1) | instid1(SALU_CYCLE_1)
	s_and_b32 s21, s11, s21
	s_delay_alu instid0(SALU_CYCLE_1)
	s_and_saveexec_b32 s11, s21
	s_cbranch_execz .LBB4_3173
; %bb.3172:                             ;   in Loop: Header=BB4_53 Depth=1
	s_waitcnt vmcnt(0)
	s_waitcnt_vscnt null, 0x0
	buffer_gl1_inv
	buffer_gl0_inv
.LBB4_3173:                             ;   in Loop: Header=BB4_53 Depth=1
	s_or_b32 exec_lo, exec_lo, s11
	v_cmp_ne_u32_e32 vcc_lo, 0, v11
	s_xor_b32 s11, s10, -1
	s_delay_alu instid0(SALU_CYCLE_1) | instskip(NEXT) | instid1(SALU_CYCLE_1)
	s_and_b32 s21, vcc_lo, s11
	s_and_saveexec_b32 s11, s21
	s_cbranch_execz .LBB4_3175
; %bb.3174:                             ;   in Loop: Header=BB4_53 Depth=1
	s_waitcnt vmcnt(0)
	s_waitcnt_vscnt null, 0x0
	flat_store_b32 v[50:51], v103
.LBB4_3175:                             ;   in Loop: Header=BB4_53 Depth=1
	s_or_b32 exec_lo, exec_lo, s11
	v_and_b32_e32 v10, 48, v30
	s_mov_b32 s11, exec_lo
	s_delay_alu instid0(VALU_DEP_1)
	v_cmpx_ne_u32_e32 0, v10
	s_cbranch_execz .LBB4_3177
; %bb.3176:                             ;   in Loop: Header=BB4_53 Depth=1
	v_add_co_u32 v8, vcc_lo, v8, 1
	v_add_co_ci_u32_e32 v9, vcc_lo, 0, v9, vcc_lo
	s_waitcnt vmcnt(0) lgkmcnt(0)
	s_waitcnt_vscnt null, 0x0
	flat_store_b64 v[32:33], v[8:9]
.LBB4_3177:                             ;   in Loop: Header=BB4_53 Depth=1
	s_or_b32 exec_lo, exec_lo, s11
.LBB4_3178:                             ;   in Loop: Header=BB4_53 Depth=1
	s_delay_alu instid0(SALU_CYCLE_1) | instskip(SKIP_2) | instid1(VALU_DEP_1)
	s_or_b32 exec_lo, exec_lo, s12
	v_add_co_u32 v54, vcc_lo, v54, v48
	v_add_co_ci_u32_e32 v55, vcc_lo, 0, v55, vcc_lo
	v_cmp_ge_u64_e32 vcc_lo, v[54:55], v[4:5]
	s_or_b32 s18, vcc_lo, s18
	s_delay_alu instid0(SALU_CYCLE_1)
	s_and_not1_b32 exec_lo, exec_lo, s18
	s_cbranch_execnz .LBB4_53
; %bb.3179:
	s_or_b32 exec_lo, exec_lo, s18
.LBB4_3180:
	s_delay_alu instid0(SALU_CYCLE_1)
	s_or_b32 exec_lo, exec_lo, s17
                                        ; implicit-def: $vgpr26_vgpr27
                                        ; implicit-def: $vgpr4_vgpr5
                                        ; implicit-def: $vgpr81
                                        ; implicit-def: $vgpr36_vgpr37
                                        ; implicit-def: $vgpr34_vgpr35
                                        ; implicit-def: $vgpr32_vgpr33
                                        ; implicit-def: $vgpr0
                                        ; implicit-def: $vgpr54
                                        ; implicit-def: $vgpr48_vgpr49
.LBB4_3181:
	s_and_not1_saveexec_b32 s11, s16
	s_cbranch_execz .LBB4_6301
; %bb.3182:
	v_mov_b32_e32 v38, 0
	v_mov_b32_e32 v39, 0
	s_and_saveexec_b32 s12, s1
	s_cbranch_execz .LBB4_6300
; %bb.3183:
	v_cmp_ge_i32_e64 s1, v0, v1
	s_cbranch_execnz .LBB4_6550
; %bb.3184:
	v_ashrrev_i32_e32 v10, 31, v0
	v_lshrrev_b32_e32 v70, 5, v1
	v_dual_mov_b32 v52, 0 :: v_dual_and_b32 v11, 31, v31
	s_ashr_i32 s4, s14, 31
	s_delay_alu instid0(VALU_DEP_3)
	v_lshrrev_b32_e32 v10, 27, v10
	s_lshr_b32 s4, s4, 24
	v_dual_mov_b32 v100, 1 :: v_dual_and_b32 v71, 0xffffffe0, v1
	s_add_i32 s10, s14, s4
	s_waitcnt lgkmcnt(2)
	v_dual_mov_b32 v51, 0 :: v_dual_add_nc_u32 v10, v0, v10
	v_cmp_eq_u32_e64 s4, 0, v11
	v_cmp_eq_u32_e32 vcc_lo, 32, v1
	v_cmp_ne_u32_e64 s2, 32, v1
	s_delay_alu instid0(VALU_DEP_4) | instskip(SKIP_3) | instid1(VALU_DEP_4)
	v_dual_mov_b32 v53, 0 :: v_dual_and_b32 v12, 0xffffffe0, v10
	v_ashrrev_i32_e32 v82, 5, v10
	v_dual_mov_b32 v38, v52 :: v_dual_lshlrev_b32 v83, 9, v70
	v_lshl_add_u32 v10, v70, 10, 0xfffffc00
	v_sub_nc_u32_e32 v84, v0, v12
	s_delay_alu instid0(VALU_DEP_4) | instskip(NEXT) | instid1(VALU_DEP_4)
	v_dual_mov_b32 v39, v53 :: v_dual_lshlrev_b32 v12, 10, v82
	v_add_nc_u32_e32 v13, 0xfffffe00, v83
	s_delay_alu instid0(VALU_DEP_4) | instskip(SKIP_1) | instid1(VALU_DEP_4)
	v_ashrrev_i32_e32 v11, 31, v10
	v_add_co_u32 v86, s5, 0x400, v10
	v_lshl_add_u32 v85, v84, 4, v12
	s_delay_alu instid0(VALU_DEP_4)
	v_ashrrev_i32_e32 v10, 31, v13
	v_add_co_u32 v97, s7, 0x200, v13
	v_add_co_ci_u32_e64 v87, s5, 0, v11, s5
	v_cmp_ne_u32_e64 s3, v80, v1
	v_cmp_le_i32_e64 s5, v84, v54
	v_cmp_gt_i32_e64 s6, 1, v84
	v_ashrrev_i32_e32 v96, 31, v85
	v_add_co_ci_u32_e64 v98, s7, 0, v10, s7
	v_ashrrev_i32_e32 v99, 31, v71
	s_ashr_i32 s17, s10, 8
	s_mov_b32 s16, 0
	s_xor_b32 s18, vcc_lo, -1
.LBB4_3185:                             ; =>This Loop Header: Depth=1
                                        ;     Child Loop BB4_3195 Depth 2
                                        ;     Child Loop BB4_3222 Depth 2
	;; [unrolled: 1-line block ×10, first 2 shown]
	v_sub_co_u32 v10, vcc_lo, v4, v52
	v_sub_co_ci_u32_e32 v11, vcc_lo, v5, v53, vcc_lo
	v_mov_b32_e32 v14, 0
	s_delay_alu instid0(VALU_DEP_2) | instskip(SKIP_2) | instid1(VALU_DEP_2)
	v_cmp_lt_u64_e32 vcc_lo, v[48:49], v[10:11]
	v_cndmask_b32_e32 v54, v10, v48, vcc_lo
	v_cndmask_b32_e64 v55, v11, 0, vcc_lo
	v_add_nc_u32_e32 v10, 15, v54
	s_delay_alu instid0(VALU_DEP_2) | instskip(NEXT) | instid1(VALU_DEP_2)
	v_cmp_eq_u64_e32 vcc_lo, 0, v[54:55]
	v_and_b32_e32 v10, 0x7ffffff0, v10
	s_or_b32 s19, s1, vcc_lo
	s_delay_alu instid0(SALU_CYCLE_1) | instskip(NEXT) | instid1(VALU_DEP_1)
	s_xor_b32 s7, s19, -1
	v_max_i32_e32 v55, s17, v10
	s_and_saveexec_b32 s20, s7
	s_cbranch_execz .LBB4_6245
; %bb.3186:                             ;   in Loop: Header=BB4_3185 Depth=1
	s_and_saveexec_b32 s10, s0
	s_cbranch_execz .LBB4_3189
; %bb.3187:                             ;   in Loop: Header=BB4_3185 Depth=1
	s_cbranch_execnz .LBB4_6584
; %bb.3188:                             ;   in Loop: Header=BB4_3185 Depth=1
	ds_load_2addr_b64 v[10:13], v0 offset1:1
	ds_load_b64 v[14:15], v0
	v_add_co_u32 v16, vcc_lo, v52, v26
	v_add_co_ci_u32_e32 v17, vcc_lo, v53, v27, vcc_lo
	s_waitcnt lgkmcnt(1)
	s_delay_alu instid0(VALU_DEP_2) | instskip(NEXT) | instid1(VALU_DEP_2)
	v_add_co_u32 v10, vcc_lo, v10, v16
	v_add_co_ci_u32_e32 v11, vcc_lo, v11, v17, vcc_lo
	s_waitcnt lgkmcnt(0)
	v_add_co_u32 v18, vcc_lo, v14, v16
	s_waitcnt vmcnt(0)
	v_add_co_ci_u32_e32 v19, vcc_lo, v15, v17, vcc_lo
	v_cmp_ne_u64_e32 vcc_lo, 0, v[14:15]
	v_add_co_u32 v12, s7, v12, v16
	s_delay_alu instid0(VALU_DEP_1) | instskip(NEXT) | instid1(VALU_DEP_4)
	v_add_co_ci_u32_e64 v13, s7, v13, v17, s7
	v_dual_cndmask_b32 v15, 0, v19 :: v_dual_cndmask_b32 v14, 0, v18
	ds_store_b64 v0, v[10:11]
	ds_store_b64 v0, v[12:13]
	;; [unrolled: 1-line block ×3, first 2 shown]
.LBB4_3189:                             ;   in Loop: Header=BB4_3185 Depth=1
	s_or_b32 exec_lo, exec_lo, s10
	v_and_b32_e32 v10, 4, v30
	s_mov_b32 s10, -1
	s_mov_b32 s7, exec_lo
	s_delay_alu instid0(VALU_DEP_1)
	v_cmpx_ne_u32_e32 0, v10
	s_cbranch_execz .LBB4_3203
; %bb.3190:                             ;   in Loop: Header=BB4_3185 Depth=1
	s_waitcnt lgkmcnt(0)
	v_add_co_u32 v10, vcc_lo, v8, 1
	v_add_co_ci_u32_e32 v11, vcc_lo, 0, v9, vcc_lo
	v_mov_b32_e32 v12, 1
	s_mov_b32 s10, exec_lo
	s_delay_alu instid0(VALU_DEP_2)
	v_cmpx_lt_u64_e64 v[36:37], v[10:11]
	s_cbranch_execz .LBB4_3202
; %bb.3191:                             ;   in Loop: Header=BB4_3185 Depth=1
	v_mov_b32_e32 v12, 0
	s_mov_b32 s21, 0
                                        ; implicit-def: $sgpr22
	s_branch .LBB4_3195
.LBB4_3192:                             ;   in Loop: Header=BB4_3195 Depth=2
	s_or_b32 exec_lo, exec_lo, s26
	v_mov_b32_e32 v13, 0
	s_or_not1_b32 s25, s25, exec_lo
.LBB4_3193:                             ;   in Loop: Header=BB4_3195 Depth=2
	s_or_b32 exec_lo, exec_lo, s24
	s_delay_alu instid0(VALU_DEP_1) | instskip(SKIP_2) | instid1(SALU_CYCLE_1)
	v_mov_b32_e32 v12, v13
	s_and_not1_b32 s22, s22, exec_lo
	s_and_b32 s24, s25, exec_lo
	s_or_b32 s22, s22, s24
.LBB4_3194:                             ;   in Loop: Header=BB4_3195 Depth=2
	s_or_b32 exec_lo, exec_lo, s23
	s_waitcnt vmcnt(0) lgkmcnt(0)
	v_cmp_ge_u64_e32 vcc_lo, v[36:37], v[10:11]
	s_xor_b32 s23, s22, -1
	s_delay_alu instid0(SALU_CYCLE_1) | instskip(NEXT) | instid1(SALU_CYCLE_1)
	s_or_b32 s23, s23, vcc_lo
	s_and_b32 s23, exec_lo, s23
	s_delay_alu instid0(SALU_CYCLE_1) | instskip(NEXT) | instid1(SALU_CYCLE_1)
	s_or_b32 s21, s23, s21
	s_and_not1_b32 exec_lo, exec_lo, s21
	s_cbranch_execz .LBB4_3201
.LBB4_3195:                             ;   Parent Loop BB4_3185 Depth=1
                                        ; =>  This Inner Loop Header: Depth=2
	s_sleep 1
	flat_load_b64 v[36:37], v[32:33] glc
	v_and_b32_e32 v13, 64, v30
	s_and_not1_b32 s22, s22, exec_lo
	s_mov_b32 s23, exec_lo
	s_delay_alu instid0(VALU_DEP_1)
	v_cmpx_eq_u32_e32 0, v13
	s_cbranch_execz .LBB4_3194
; %bb.3196:                             ;   in Loop: Header=BB4_3195 Depth=2
	v_add_nc_u32_e32 v13, 1, v12
	s_mov_b32 s25, -1
	s_mov_b32 s24, exec_lo
	v_cmpx_lt_i32_e32 0x270e, v12
	s_cbranch_execz .LBB4_3193
; %bb.3197:                             ;   in Loop: Header=BB4_3195 Depth=2
	s_cbranch_execnz .LBB4_6607
; %bb.3198:                             ;   in Loop: Header=BB4_3195 Depth=2
	ds_load_b64 v[12:13], v0
	s_mov_b32 s26, exec_lo
	s_waitcnt vmcnt(0) lgkmcnt(0)
	s_waitcnt_vscnt null, 0x0
	flat_load_b32 v12, v[12:13] glc
	s_waitcnt vmcnt(0) lgkmcnt(0)
	buffer_gl1_inv
	buffer_gl0_inv
	v_cmpx_ne_u32_e32 0, v12
	s_cbranch_execz .LBB4_3192
; %bb.3199:                             ;   in Loop: Header=BB4_3195 Depth=2
	ds_store_b32 v0, v12
	s_cbranch_execnz .LBB4_6635
; %bb.3200:                             ;   in Loop: Header=BB4_3195 Depth=2
	v_or_b32_e32 v30, 64, v30
	s_xor_b32 s25, exec_lo, -1
	s_branch .LBB4_3192
.LBB4_3201:                             ;   in Loop: Header=BB4_3185 Depth=1
	s_or_b32 exec_lo, exec_lo, s21
	v_and_b32_e32 v12, 4, v30
.LBB4_3202:                             ;   in Loop: Header=BB4_3185 Depth=1
	s_or_b32 exec_lo, exec_lo, s10
	s_delay_alu instid0(VALU_DEP_1)
	v_cmp_eq_u32_e32 vcc_lo, 0, v12
	;;#ASMSTART
	s_wakeup
	;;#ASMEND
	s_or_not1_b32 s10, vcc_lo, exec_lo
.LBB4_3203:                             ;   in Loop: Header=BB4_3185 Depth=1
	s_or_b32 exec_lo, exec_lo, s7
	s_xor_b32 s7, s10, -1
	s_delay_alu instid0(SALU_CYCLE_1)
	s_and_saveexec_b32 s10, s7
	s_cbranch_execz .LBB4_3213
; %bb.3204:                             ;   in Loop: Header=BB4_3185 Depth=1
	v_and_b32_e32 v10, 0x100, v30
	s_waitcnt lgkmcnt(0)
	v_and_b32_e32 v14, 7, v8
	s_mov_b32 s7, -1
	s_delay_alu instid0(VALU_DEP_2)
	v_cmp_ne_u32_e32 vcc_lo, 0, v10
                                        ; implicit-def: $vgpr10_vgpr11
	s_and_saveexec_b32 s21, vcc_lo
	s_cbranch_execz .LBB4_3208
; %bb.3205:                             ;   in Loop: Header=BB4_3185 Depth=1
	v_mad_u64_u32 v[12:13], null, v14, 24, v[6:7]
	flat_load_b32 v10, v[12:13]
	s_waitcnt vmcnt(0) lgkmcnt(0)
	v_cmp_ne_u32_e32 vcc_lo, 1, v10
	v_cmp_eq_u32_e64 s7, 1, v10
                                        ; implicit-def: $vgpr10_vgpr11
	s_delay_alu instid0(VALU_DEP_1)
	s_and_saveexec_b32 s22, s7
	s_cbranch_execz .LBB4_3207
; %bb.3206:                             ;   in Loop: Header=BB4_3185 Depth=1
	flat_load_b32 v10, v[12:13] offset:4 glc
	s_waitcnt vmcnt(0) lgkmcnt(0)
	v_ashrrev_i32_e32 v11, 31, v10
.LBB4_3207:                             ;   in Loop: Header=BB4_3185 Depth=1
	s_or_b32 exec_lo, exec_lo, s22
	s_delay_alu instid0(SALU_CYCLE_1)
	s_or_not1_b32 s7, vcc_lo, exec_lo
.LBB4_3208:                             ;   in Loop: Header=BB4_3185 Depth=1
	s_or_b32 exec_lo, exec_lo, s21
	s_and_saveexec_b32 s21, s7
; %bb.3209:                             ;   in Loop: Header=BB4_3185 Depth=1
	v_mad_i64_i32 v[10:11], null, v14, v81, 0
; %bb.3210:                             ;   in Loop: Header=BB4_3185 Depth=1
	s_or_b32 exec_lo, exec_lo, s21
	s_delay_alu instid0(VALU_DEP_1) | instskip(SKIP_1) | instid1(VALU_DEP_3)
	v_add_co_u32 v10, vcc_lo, v34, v10
	v_and_b32_e32 v12, 0x2000, v30
	v_add_co_ci_u32_e32 v11, vcc_lo, v35, v11, vcc_lo
	s_mov_b32 s7, exec_lo
	ds_store_b64 v0, v[10:11] offset:728
	v_cmpx_ne_u32_e32 0, v12
	s_cbranch_execz .LBB4_3212
; %bb.3211:                             ;   in Loop: Header=BB4_3185 Depth=1
	ds_load_b64 v[10:11], v0 offset:584
	s_waitcnt lgkmcnt(0)
	v_add_co_u32 v10, vcc_lo, v10, 1
	v_add_co_ci_u32_e32 v11, vcc_lo, 0, v11, vcc_lo
	ds_store_b64 v0, v[10:11] offset:584
.LBB4_3212:                             ;   in Loop: Header=BB4_3185 Depth=1
	s_or_b32 exec_lo, exec_lo, s7
	v_add_co_u32 v8, vcc_lo, v8, 1
	v_add_co_ci_u32_e32 v9, vcc_lo, 0, v9, vcc_lo
.LBB4_3213:                             ;   in Loop: Header=BB4_3185 Depth=1
	s_or_b32 exec_lo, exec_lo, s10
	s_and_saveexec_b32 s7, s2
	s_cbranch_execz .LBB4_3235
; %bb.3214:                             ;   in Loop: Header=BB4_3185 Depth=1
	s_and_saveexec_b32 s10, s3
	s_delay_alu instid0(SALU_CYCLE_1)
	s_xor_b32 s10, exec_lo, s10
	s_cbranch_execz .LBB4_3232
; %bb.3215:                             ;   in Loop: Header=BB4_3185 Depth=1
	s_and_saveexec_b32 s21, s4
	s_cbranch_execz .LBB4_3231
; %bb.3216:                             ;   in Loop: Header=BB4_3185 Depth=1
	s_mov_b32 s23, exec_lo
	s_mov_b32 s22, exec_lo
	v_mbcnt_lo_u32_b32 v10, s23, 0
	s_waitcnt vmcnt(0) lgkmcnt(0)
	s_waitcnt_vscnt null, 0x0
	buffer_gl1_inv
	buffer_gl0_inv
	v_cmpx_eq_u32_e32 0, v10
	s_cbranch_execz .LBB4_3218
; %bb.3217:                             ;   in Loop: Header=BB4_3185 Depth=1
	s_bcnt1_i32_b32 s23, s23
	s_delay_alu instid0(SALU_CYCLE_1)
	v_mov_b32_e32 v50, s23
	ds_add_u64 v0, v[50:51]
	s_cbranch_execnz .LBB4_6657
.LBB4_3218:                             ;   in Loop: Header=BB4_3185 Depth=1
	s_or_b32 exec_lo, exec_lo, s22
	s_cbranch_execnz .LBB4_6645
; %bb.3219:                             ;   in Loop: Header=BB4_3185 Depth=1
	ds_load_b64 v[10:11], v0
	v_add_co_u32 v38, vcc_lo, v38, v70
	v_add_co_ci_u32_e32 v39, vcc_lo, 0, v39, vcc_lo
	s_mov_b32 s22, exec_lo
	s_waitcnt lgkmcnt(0)
	s_delay_alu instid0(VALU_DEP_1)
	v_cmpx_lt_u64_e64 v[10:11], v[38:39]
	s_cbranch_execz .LBB4_3230
; %bb.3220:                             ;   in Loop: Header=BB4_3185 Depth=1
	s_mov_b32 s23, 0
	s_mov_b32 s26, 0
                                        ; implicit-def: $sgpr24
                                        ; implicit-def: $sgpr25
	s_branch .LBB4_3222
.LBB4_3221:                             ;   in Loop: Header=BB4_3222 Depth=2
	s_or_b32 exec_lo, exec_lo, s29
	s_delay_alu instid0(SALU_CYCLE_1) | instskip(NEXT) | instid1(SALU_CYCLE_1)
	s_and_b32 s27, exec_lo, s28
	s_or_b32 s23, s27, s23
	s_and_not1_b32 s24, s24, exec_lo
	s_and_b32 s27, s25, exec_lo
	s_delay_alu instid0(SALU_CYCLE_1)
	s_or_b32 s24, s24, s27
	s_and_not1_b32 exec_lo, exec_lo, s23
	s_cbranch_execz .LBB4_3228
.LBB4_3222:                             ;   Parent Loop BB4_3185 Depth=1
                                        ; =>  This Inner Loop Header: Depth=2
	s_add_i32 s26, s26, 1
                                        ; implicit-def: $sgpr28
	s_delay_alu instid0(SALU_CYCLE_1) | instskip(SKIP_1) | instid1(SALU_CYCLE_1)
	s_cmpk_lg_i32 s26, 0x2710
	s_cselect_b32 s27, -1, 0
	s_and_b32 vcc_lo, exec_lo, s27
	s_cbranch_vccz .LBB4_3226
.LBB4_3223:                             ;   in Loop: Header=BB4_3222 Depth=2
	s_and_not1_b32 s25, s25, exec_lo
	s_and_b32 s29, s28, exec_lo
	s_mov_b32 s28, -1
	s_or_b32 s25, s25, s29
	s_and_saveexec_b32 s29, s27
	s_cbranch_execz .LBB4_3221
; %bb.3224:                             ;   in Loop: Header=BB4_3222 Depth=2
	s_sleep 1
	s_cbranch_execnz .LBB4_6689
; %bb.3225:                             ;   in Loop: Header=BB4_3222 Depth=2
	ds_load_b64 v[10:11], v0
	s_and_not1_b32 s25, s25, exec_lo
	s_waitcnt lgkmcnt(0)
	v_cmp_ge_u64_e32 vcc_lo, v[10:11], v[38:39]
	s_or_not1_b32 s28, vcc_lo, exec_lo
	s_branch .LBB4_3221
.LBB4_3226:                             ;   in Loop: Header=BB4_3222 Depth=2
	s_cbranch_execnz .LBB4_6697
; %bb.3227:                             ;   in Loop: Header=BB4_3222 Depth=2
	ds_load_b64 v[10:11], v0
	s_and_not1_b32 s27, s27, exec_lo
	s_mov_b32 s26, 0
	s_mov_b32 s28, -1
	s_waitcnt lgkmcnt(0)
	flat_load_b32 v10, v[10:11] glc
	s_waitcnt vmcnt(0) lgkmcnt(0)
	buffer_gl1_inv
	buffer_gl0_inv
	v_cmp_eq_u32_e32 vcc_lo, 0, v10
	s_and_b32 s29, vcc_lo, exec_lo
	s_delay_alu instid0(SALU_CYCLE_1)
	s_or_b32 s27, s27, s29
	s_branch .LBB4_3223
.LBB4_3228:                             ;   in Loop: Header=BB4_3185 Depth=1
	s_or_b32 exec_lo, exec_lo, s23
	s_and_saveexec_b32 s23, s24
	s_delay_alu instid0(SALU_CYCLE_1)
	s_xor_b32 s23, exec_lo, s23
	s_cbranch_execz .LBB4_3230
; %bb.3229:                             ;   in Loop: Header=BB4_3185 Depth=1
	ds_store_b32 v0, v100
	s_cbranch_execnz .LBB4_6775
.LBB4_3230:                             ;   in Loop: Header=BB4_3185 Depth=1
	s_or_b32 exec_lo, exec_lo, s22
	;;#ASMSTART
	s_wakeup
	;;#ASMEND
.LBB4_3231:                             ;   in Loop: Header=BB4_3185 Depth=1
	s_or_b32 exec_lo, exec_lo, s21
.LBB4_3232:                             ;   in Loop: Header=BB4_3185 Depth=1
	s_and_not1_saveexec_b32 s10, s10
	s_cbranch_execz .LBB4_3234
; %bb.3233:                             ;   in Loop: Header=BB4_3185 Depth=1
	s_waitcnt vmcnt(0) lgkmcnt(0)
	s_waitcnt_vscnt null, 0x0
	buffer_gl1_inv
	buffer_gl0_inv
	s_barrier
.LBB4_3234:                             ;   in Loop: Header=BB4_3185 Depth=1
	s_or_b32 exec_lo, exec_lo, s10
.LBB4_3235:                             ;   in Loop: Header=BB4_3185 Depth=1
	s_delay_alu instid0(SALU_CYCLE_1)
	s_or_b32 exec_lo, exec_lo, s7
	s_cbranch_execnz .LBB4_6578
; %bb.3236:                             ;   in Loop: Header=BB4_3185 Depth=1
	ds_load_b32 v10, v0
	v_and_b32_e32 v11, 0x4000, v30
	s_delay_alu instid0(VALU_DEP_1) | instskip(SKIP_1) | instid1(SALU_CYCLE_1)
	v_cmp_ne_u32_e32 vcc_lo, 0, v11
	s_and_b32 s10, s18, vcc_lo
	s_and_saveexec_b32 s7, s10
	s_cbranch_execz .LBB4_3258
; %bb.3237:                             ;   in Loop: Header=BB4_3185 Depth=1
	s_and_saveexec_b32 s10, s3
	s_delay_alu instid0(SALU_CYCLE_1)
	s_xor_b32 s10, exec_lo, s10
	s_cbranch_execz .LBB4_3255
; %bb.3238:                             ;   in Loop: Header=BB4_3185 Depth=1
	s_and_saveexec_b32 s21, s4
	s_cbranch_execz .LBB4_3254
; %bb.3239:                             ;   in Loop: Header=BB4_3185 Depth=1
	s_mov_b32 s23, exec_lo
	s_mov_b32 s22, exec_lo
	v_mbcnt_lo_u32_b32 v11, s23, 0
	s_waitcnt vmcnt(0) lgkmcnt(0)
	s_waitcnt_vscnt null, 0x0
	buffer_gl1_inv
	buffer_gl0_inv
	v_cmpx_eq_u32_e32 0, v11
	s_cbranch_execz .LBB4_3241
; %bb.3240:                             ;   in Loop: Header=BB4_3185 Depth=1
	s_bcnt1_i32_b32 s23, s23
	s_delay_alu instid0(SALU_CYCLE_1)
	v_mov_b32_e32 v50, s23
	ds_add_u64 v0, v[50:51]
	s_cbranch_execnz .LBB4_6685
.LBB4_3241:                             ;   in Loop: Header=BB4_3185 Depth=1
	s_or_b32 exec_lo, exec_lo, s22
	s_cbranch_execnz .LBB4_6669
; %bb.3242:                             ;   in Loop: Header=BB4_3185 Depth=1
	ds_load_b64 v[11:12], v0
	v_add_co_u32 v38, vcc_lo, v38, v70
	v_add_co_ci_u32_e32 v39, vcc_lo, 0, v39, vcc_lo
	s_mov_b32 s22, exec_lo
	s_waitcnt lgkmcnt(0)
	s_delay_alu instid0(VALU_DEP_1)
	v_cmpx_lt_u64_e64 v[11:12], v[38:39]
	s_cbranch_execz .LBB4_3253
; %bb.3243:                             ;   in Loop: Header=BB4_3185 Depth=1
	s_mov_b32 s23, 0
	s_mov_b32 s26, 0
                                        ; implicit-def: $sgpr24
                                        ; implicit-def: $sgpr25
	s_branch .LBB4_3245
.LBB4_3244:                             ;   in Loop: Header=BB4_3245 Depth=2
	s_or_b32 exec_lo, exec_lo, s29
	s_delay_alu instid0(SALU_CYCLE_1) | instskip(NEXT) | instid1(SALU_CYCLE_1)
	s_and_b32 s27, exec_lo, s28
	s_or_b32 s23, s27, s23
	s_and_not1_b32 s24, s24, exec_lo
	s_and_b32 s27, s25, exec_lo
	s_delay_alu instid0(SALU_CYCLE_1)
	s_or_b32 s24, s24, s27
	s_and_not1_b32 exec_lo, exec_lo, s23
	s_cbranch_execz .LBB4_3251
.LBB4_3245:                             ;   Parent Loop BB4_3185 Depth=1
                                        ; =>  This Inner Loop Header: Depth=2
	s_add_i32 s26, s26, 1
                                        ; implicit-def: $sgpr28
	s_delay_alu instid0(SALU_CYCLE_1) | instskip(SKIP_1) | instid1(SALU_CYCLE_1)
	s_cmpk_lg_i32 s26, 0x2710
	s_cselect_b32 s27, -1, 0
	s_and_b32 vcc_lo, exec_lo, s27
	s_cbranch_vccz .LBB4_3249
.LBB4_3246:                             ;   in Loop: Header=BB4_3245 Depth=2
	s_and_not1_b32 s25, s25, exec_lo
	s_and_b32 s29, s28, exec_lo
	s_mov_b32 s28, -1
	s_or_b32 s25, s25, s29
	s_and_saveexec_b32 s29, s27
	s_cbranch_execz .LBB4_3244
; %bb.3247:                             ;   in Loop: Header=BB4_3245 Depth=2
	s_sleep 1
	s_cbranch_execnz .LBB4_6729
; %bb.3248:                             ;   in Loop: Header=BB4_3245 Depth=2
	ds_load_b64 v[11:12], v0
	s_and_not1_b32 s25, s25, exec_lo
	s_waitcnt lgkmcnt(0)
	v_cmp_ge_u64_e32 vcc_lo, v[11:12], v[38:39]
	s_or_not1_b32 s28, vcc_lo, exec_lo
	s_branch .LBB4_3244
.LBB4_3249:                             ;   in Loop: Header=BB4_3245 Depth=2
	s_cbranch_execnz .LBB4_6743
; %bb.3250:                             ;   in Loop: Header=BB4_3245 Depth=2
	ds_load_b64 v[11:12], v0
	s_and_not1_b32 s27, s27, exec_lo
	s_mov_b32 s26, 0
	s_mov_b32 s28, -1
	s_waitcnt lgkmcnt(0)
	flat_load_b32 v11, v[11:12] glc
	s_waitcnt vmcnt(0) lgkmcnt(0)
	buffer_gl1_inv
	buffer_gl0_inv
	v_cmp_eq_u32_e32 vcc_lo, 0, v11
	s_and_b32 s29, vcc_lo, exec_lo
	s_delay_alu instid0(SALU_CYCLE_1)
	s_or_b32 s27, s27, s29
	s_branch .LBB4_3246
.LBB4_3251:                             ;   in Loop: Header=BB4_3185 Depth=1
	s_or_b32 exec_lo, exec_lo, s23
	s_and_saveexec_b32 s23, s24
	s_delay_alu instid0(SALU_CYCLE_1)
	s_xor_b32 s23, exec_lo, s23
	s_cbranch_execz .LBB4_3253
; %bb.3252:                             ;   in Loop: Header=BB4_3185 Depth=1
	ds_store_b32 v0, v100
	s_cbranch_execnz .LBB4_6785
.LBB4_3253:                             ;   in Loop: Header=BB4_3185 Depth=1
	s_or_b32 exec_lo, exec_lo, s22
	;;#ASMSTART
	s_wakeup
	;;#ASMEND
.LBB4_3254:                             ;   in Loop: Header=BB4_3185 Depth=1
	s_or_b32 exec_lo, exec_lo, s21
.LBB4_3255:                             ;   in Loop: Header=BB4_3185 Depth=1
	s_and_not1_saveexec_b32 s10, s10
	s_cbranch_execz .LBB4_3257
; %bb.3256:                             ;   in Loop: Header=BB4_3185 Depth=1
	s_waitcnt vmcnt(0) lgkmcnt(0)
	s_waitcnt_vscnt null, 0x0
	buffer_gl1_inv
	buffer_gl0_inv
	s_barrier
.LBB4_3257:                             ;   in Loop: Header=BB4_3185 Depth=1
	s_or_b32 exec_lo, exec_lo, s10
.LBB4_3258:                             ;   in Loop: Header=BB4_3185 Depth=1
	s_delay_alu instid0(SALU_CYCLE_1)
	s_or_b32 exec_lo, exec_lo, s7
	s_cbranch_execnz .LBB4_6611
; %bb.3259:                             ;   in Loop: Header=BB4_3185 Depth=1
	ds_load_b64 v[11:12], v0
	v_min_u32_e32 v55, v55, v54
	s_waitcnt lgkmcnt(0)
	v_cmp_eq_u64_e32 vcc_lo, 0, v[11:12]
	s_or_b32 s7, vcc_lo, vcc_lo
	s_delay_alu instid0(SALU_CYCLE_1)
	s_and_b32 vcc_lo, exec_lo, s7
	s_mov_b32 s7, 0
	s_cbranch_vccnz .LBB4_6218
; %bb.3260:                             ;   in Loop: Header=BB4_3185 Depth=1
	s_cbranch_execnz .LBB4_6637
; %bb.3261:                             ;   in Loop: Header=BB4_3185 Depth=1
	ds_load_b64 v[11:12], v0
	s_mov_b32 s7, -1
	s_waitcnt lgkmcnt(0)
	v_readfirstlane_b32 s21, v11
	s_and_saveexec_b32 s10, s5
	s_cbranch_execz .LBB4_3263
; %bb.3262:                             ;   in Loop: Header=BB4_3185 Depth=1
	ds_load_b32 v11, v0 offset:720
	s_waitcnt lgkmcnt(0)
	v_and_b32_e32 v11, 15, v11
	s_delay_alu instid0(VALU_DEP_1)
	v_cmp_eq_u32_e32 vcc_lo, 0, v11
	s_or_not1_b32 s7, vcc_lo, exec_lo
.LBB4_3263:                             ;   in Loop: Header=BB4_3185 Depth=1
	s_or_b32 exec_lo, exec_lo, s10
	s_and_saveexec_b32 s10, s6
	s_cbranch_execz .LBB4_3265
; %bb.3264:                             ;   in Loop: Header=BB4_3185 Depth=1
	ds_load_b32 v11, v0 offset:784
	s_waitcnt lgkmcnt(0)
	v_and_b32_e32 v11, 15, v11
	s_delay_alu instid0(VALU_DEP_1) | instskip(SKIP_3) | instid1(SALU_CYCLE_1)
	v_cmp_eq_u32_e32 vcc_lo, 0, v11
	s_and_b32 s22, s7, vcc_lo
	s_and_not1_b32 s7, s7, exec_lo
	s_and_b32 s22, s22, exec_lo
	s_or_b32 s7, s7, s22
.LBB4_3265:                             ;   in Loop: Header=BB4_3185 Depth=1
	s_or_b32 exec_lo, exec_lo, s10
	v_cmp_eq_u32_e32 vcc_lo, 0, v10
	s_xor_b32 s7, s7, -1
	v_mov_b32_e32 v18, v0
	v_cndmask_b32_e64 v11, 0, 1, s7
	;;#ASMSTART
	;;#ASMEND
	v_cndmask_b32_e32 v50, 0, v55, vcc_lo
	s_delay_alu instid0(VALU_DEP_2)
	v_cmp_ne_u32_e32 vcc_lo, 0, v11
	v_mov_b32_e32 v16, 0
	v_mov_b32_e32 v10, v82
	s_mov_b32 s7, -1
	v_mov_b32_e32 v17, v50
	s_cbranch_vccnz .LBB4_5441
; %bb.3266:                             ;   in Loop: Header=BB4_3185 Depth=1
	v_lshrrev_b32_e32 v10, 10, v50
	s_mov_b32 s10, exec_lo
	s_delay_alu instid0(VALU_DEP_1) | instskip(NEXT) | instid1(VALU_DEP_1)
	v_sub_nc_u32_e32 v101, v10, v82
	v_cmpx_lt_i32_e32 0, v101
	s_cbranch_execz .LBB4_4711
; %bb.3267:                             ;   in Loop: Header=BB4_3185 Depth=1
	s_cbranch_execnz .LBB4_6737
; %bb.3268:                             ;   in Loop: Header=BB4_3185 Depth=1
	ds_load_b128 v[10:13], v0
	ds_load_b64 v[14:15], v0
	s_bitcmp1_b32 s21, 0
	s_mov_b32 s22, 0
	s_cselect_b32 s23, -1, 0
	s_waitcnt lgkmcnt(1)
	v_add_co_u32 v64, vcc_lo, v10, v85
	v_add_co_ci_u32_e32 v65, vcc_lo, v11, v96, vcc_lo
	v_add_co_u32 v66, vcc_lo, v12, v85
	v_add_co_ci_u32_e32 v67, vcc_lo, v13, v96, vcc_lo
	s_waitcnt lgkmcnt(0)
	v_add_co_u32 v68, vcc_lo, v14, v85
	v_add_co_ci_u32_e32 v69, vcc_lo, v15, v96, vcc_lo
	s_branch .LBB4_3272
.LBB4_3269:                             ;   in Loop: Header=BB4_3272 Depth=2
	s_or_b32 exec_lo, exec_lo, s7
	s_delay_alu instid0(VALU_DEP_1) | instskip(NEXT) | instid1(VALU_DEP_2)
	v_lshrrev_b32_e32 v17, 20, v17
	v_min_i32_e32 v135, 15, v13
	v_cmp_gt_i32_e32 vcc_lo, 16, v13
	v_lshrrev_b32_e32 v144, 24, v145
	s_delay_alu instid0(VALU_DEP_3) | instskip(NEXT) | instid1(VALU_DEP_2)
	v_lshlrev_b32_e32 v135, 3, v135
	v_dual_cndmask_b32 v17, 7, v17 :: v_dual_and_b32 v144, 0x80, v144
	s_delay_alu instid0(VALU_DEP_2) | instskip(NEXT) | instid1(VALU_DEP_2)
	v_and_b32_e32 v135, 0xf8, v135
	v_and_b32_e32 v145, 7, v17
	v_or_b32_e32 v13, v13, v17
	s_delay_alu instid0(VALU_DEP_2) | instskip(NEXT) | instid1(VALU_DEP_2)
	v_or3_b32 v135, v144, v135, v145
	v_cmp_ne_u32_e32 vcc_lo, 0, v13
	s_delay_alu instid0(VALU_DEP_2) | instskip(NEXT) | instid1(VALU_DEP_1)
	v_lshlrev_b32_e32 v17, 8, v135
	v_cndmask_b32_e32 v13, 0, v17, vcc_lo
.LBB4_3270:                             ;   in Loop: Header=BB4_3272 Depth=2
	s_or_b32 exec_lo, exec_lo, s25
.LBB4_3271:                             ;   in Loop: Header=BB4_3272 Depth=2
	s_delay_alu instid0(SALU_CYCLE_1)
	s_or_b32 exec_lo, exec_lo, s24
	v_lshlrev_b32_e32 v17, 8, v113
	v_lshlrev_b32_e32 v113, 24, v18
	;; [unrolled: 1-line block ×4, first 2 shown]
	v_or_b32_e32 v19, v19, v114
	v_perm_b32 v17, v17, v22, 0xc0c0500
	v_and_b32_e32 v22, 0xff, v116
	v_and_b32_e32 v112, 0xff, v112
	v_lshlrev_b32_e32 v20, 24, v20
	v_perm_b32 v23, v103, v23, 0xc0c0500
	v_perm_b32 v102, v18, v102, 0xc0c0500
	v_lshlrev_b32_e32 v22, 16, v22
	v_lshlrev_b32_e32 v112, 16, v112
	;; [unrolled: 1-line block ×3, first 2 shown]
	v_lshl_or_b32 v18, v19, 16, v17
	v_or_b32_e32 v21, v21, v118
	v_or3_b32 v19, v20, v22, v23
	v_lshlrev_b32_e32 v20, 8, v129
	v_or3_b32 v17, v113, v112, v102
	v_perm_b32 v22, v103, v24, 0xc0c0500
	v_and_b32_e32 v23, 0xff, v128
	v_and_b32_e32 v24, 0xff, v132
	v_perm_b32 v14, v20, v14, 0xc0c0500
	v_lshlrev_b32_e32 v20, 8, v119
	v_lshlrev_b32_e32 v102, 8, v131
	;; [unrolled: 1-line block ×3, first 2 shown]
	v_or_b32_e32 v11, v11, v130
	v_lshlrev_b32_e32 v10, 24, v10
	v_lshlrev_b32_e32 v23, 16, v23
	v_perm_b32 v25, v20, v25, 0xc0c0500
	v_lshlrev_b32_e32 v12, 24, v12
	v_lshlrev_b32_e32 v24, 16, v24
	v_perm_b32 v15, v102, v15, 0xc0c0500
	v_perm_b32 v16, v103, v16, 0xc0c0500
	v_or_b32_e32 v13, v13, v134
	v_add_co_u32 v64, vcc_lo, v64, v86
	v_lshl_or_b32 v20, v21, 16, v22
	v_sub_nc_u32_e32 v101, v101, v70
	v_lshl_or_b32 v11, v11, 16, v14
	v_or3_b32 v10, v10, v23, v25
	v_or3_b32 v12, v12, v24, v15
	v_lshl_or_b32 v13, v13, 16, v16
	v_add_co_ci_u32_e32 v65, vcc_lo, v65, v87, vcc_lo
	v_add_co_u32 v66, vcc_lo, v66, v86
	v_add_co_ci_u32_e32 v67, vcc_lo, v67, v87, vcc_lo
	s_clause 0x1
	global_store_b128 v[68:69], v[17:20], off glc slc dlc
	global_store_b128 v[68:69], v[10:13], off offset:512 glc slc dlc
	v_cmp_gt_i32_e32 vcc_lo, 1, v101
	v_add_co_u32 v68, s7, v68, v86
	s_delay_alu instid0(VALU_DEP_1) | instskip(SKIP_1) | instid1(SALU_CYCLE_1)
	v_add_co_ci_u32_e64 v69, s7, v69, v87, s7
	s_or_b32 s22, vcc_lo, s22
	s_and_not1_b32 exec_lo, exec_lo, s22
	s_cbranch_execz .LBB4_4710
.LBB4_3272:                             ;   Parent Loop BB4_3185 Depth=1
                                        ; =>  This Inner Loop Header: Depth=2
	s_clause 0x1
	global_load_b128 v[22:25], v[64:65], off slc dlc
	global_load_b128 v[14:17], v[64:65], off offset:512 slc dlc
	s_clause 0x1
	global_load_b128 v[18:21], v[66:67], off slc dlc
	global_load_b128 v[10:13], v[66:67], off offset:512 slc dlc
	s_and_b32 vcc_lo, exec_lo, s23
	s_cbranch_vccz .LBB4_3282
; %bb.3273:                             ;   in Loop: Header=BB4_3272 Depth=2
	s_waitcnt vmcnt(3)
	v_and_b32_e32 v103, 0xff, v22
	s_mov_b32 s7, 0
	s_mov_b32 s25, exec_lo
                                        ; implicit-def: $sgpr24
	s_delay_alu instid0(VALU_DEP_1)
	v_cmpx_lt_i16_e32 0x7f, v103
	s_xor_b32 s25, exec_lo, s25
	s_cbranch_execnz .LBB4_4198
; %bb.3274:                             ;   in Loop: Header=BB4_3272 Depth=2
	s_or_saveexec_b32 s25, s25
	v_mov_b32_e32 v102, s24
	s_xor_b32 exec_lo, exec_lo, s25
	s_cbranch_execnz .LBB4_4201
.LBB4_3275:                             ;   in Loop: Header=BB4_3272 Depth=2
	s_or_b32 exec_lo, exec_lo, s25
	s_and_saveexec_b32 s24, s7
	s_cbranch_execz .LBB4_3277
.LBB4_3276:                             ;   in Loop: Header=BB4_3272 Depth=2
	v_bfe_u32 v113, v22, 3, 4
	v_lshlrev_b32_e32 v114, 24, v22
	s_delay_alu instid0(VALU_DEP_2) | instskip(SKIP_1) | instid1(VALU_DEP_1)
	v_cmp_eq_u32_e32 vcc_lo, 0, v113
	v_and_b32_e32 v102, 7, v22
	v_clz_i32_u32_e32 v103, v102
	s_delay_alu instid0(VALU_DEP_1) | instskip(NEXT) | instid1(VALU_DEP_1)
	v_min_u32_e32 v103, 32, v103
	v_subrev_nc_u32_e32 v112, 28, v103
	v_sub_nc_u32_e32 v103, 29, v103
	s_delay_alu instid0(VALU_DEP_1) | instskip(NEXT) | instid1(VALU_DEP_1)
	v_dual_cndmask_b32 v103, v113, v103 :: v_dual_lshlrev_b32 v112, v112, v22
	v_and_b32_e32 v112, 7, v112
	s_delay_alu instid0(VALU_DEP_2) | instskip(NEXT) | instid1(VALU_DEP_2)
	v_lshl_add_u32 v103, v103, 23, 0x3b800000
	v_cndmask_b32_e32 v102, v102, v112, vcc_lo
	v_and_b32_e32 v112, 0x80000000, v114
	s_delay_alu instid0(VALU_DEP_2) | instskip(NEXT) | instid1(VALU_DEP_1)
	v_lshlrev_b32_e32 v102, 20, v102
	v_or3_b32 v102, v112, v103, v102
.LBB4_3277:                             ;   in Loop: Header=BB4_3272 Depth=2
	s_or_b32 exec_lo, exec_lo, s24
	s_waitcnt vmcnt(1)
	v_and_b32_e32 v112, 0xff, v18
	s_mov_b32 s7, 0
	s_mov_b32 s25, exec_lo
                                        ; implicit-def: $sgpr24
	s_delay_alu instid0(VALU_DEP_1)
	v_cmpx_lt_i16_e32 0x7f, v112
	s_xor_b32 s25, exec_lo, s25
	s_cbranch_execnz .LBB4_4202
; %bb.3278:                             ;   in Loop: Header=BB4_3272 Depth=2
	s_or_saveexec_b32 s25, s25
	v_mov_b32_e32 v103, s24
	s_xor_b32 exec_lo, exec_lo, s25
	s_cbranch_execnz .LBB4_4205
.LBB4_3279:                             ;   in Loop: Header=BB4_3272 Depth=2
	s_or_b32 exec_lo, exec_lo, s25
	s_and_saveexec_b32 s24, s7
	s_cbranch_execz .LBB4_3281
.LBB4_3280:                             ;   in Loop: Header=BB4_3272 Depth=2
	v_bfe_u32 v114, v18, 3, 4
	v_lshlrev_b32_e32 v115, 24, v18
	s_delay_alu instid0(VALU_DEP_2) | instskip(SKIP_1) | instid1(VALU_DEP_1)
	v_cmp_eq_u32_e32 vcc_lo, 0, v114
	v_and_b32_e32 v103, 7, v18
	v_clz_i32_u32_e32 v112, v103
	s_delay_alu instid0(VALU_DEP_1) | instskip(NEXT) | instid1(VALU_DEP_1)
	v_min_u32_e32 v112, 32, v112
	v_subrev_nc_u32_e32 v113, 28, v112
	v_sub_nc_u32_e32 v112, 29, v112
	s_delay_alu instid0(VALU_DEP_1) | instskip(NEXT) | instid1(VALU_DEP_1)
	v_dual_cndmask_b32 v112, v114, v112 :: v_dual_lshlrev_b32 v113, v113, v18
	v_and_b32_e32 v113, 7, v113
	s_delay_alu instid0(VALU_DEP_2) | instskip(NEXT) | instid1(VALU_DEP_2)
	v_lshl_add_u32 v112, v112, 23, 0x3b800000
	v_cndmask_b32_e32 v103, v103, v113, vcc_lo
	v_and_b32_e32 v113, 0x80000000, v115
	s_delay_alu instid0(VALU_DEP_2) | instskip(NEXT) | instid1(VALU_DEP_1)
	v_lshlrev_b32_e32 v103, 20, v103
	v_or3_b32 v103, v113, v112, v103
.LBB4_3281:                             ;   in Loop: Header=BB4_3272 Depth=2
	s_or_b32 exec_lo, exec_lo, s24
	s_delay_alu instid0(VALU_DEP_1) | instskip(SKIP_1) | instid1(VALU_DEP_1)
	v_dual_max_f32 v103, v103, v103 :: v_dual_max_f32 v102, v102, v102
	s_mov_b32 s7, 0
	v_max_f32_e32 v103, v102, v103
	s_branch .LBB4_3283
.LBB4_3282:                             ;   in Loop: Header=BB4_3272 Depth=2
	s_mov_b32 s7, -1
                                        ; implicit-def: $vgpr103
.LBB4_3283:                             ;   in Loop: Header=BB4_3272 Depth=2
	s_delay_alu instid0(SALU_CYCLE_1)
	s_and_b32 vcc_lo, exec_lo, s7
	s_cbranch_vccz .LBB4_3293
; %bb.3284:                             ;   in Loop: Header=BB4_3272 Depth=2
	s_waitcnt vmcnt(3)
	v_and_b32_e32 v103, 0xff, v22
	s_mov_b32 s7, 0
	s_mov_b32 s25, exec_lo
                                        ; implicit-def: $sgpr24
	s_delay_alu instid0(VALU_DEP_1)
	v_cmpx_lt_i16_e32 0x7f, v103
	s_xor_b32 s25, exec_lo, s25
	s_cbranch_execnz .LBB4_4206
; %bb.3285:                             ;   in Loop: Header=BB4_3272 Depth=2
	s_or_saveexec_b32 s25, s25
	v_mov_b32_e32 v102, s24
	s_xor_b32 exec_lo, exec_lo, s25
	s_cbranch_execnz .LBB4_4209
.LBB4_3286:                             ;   in Loop: Header=BB4_3272 Depth=2
	s_or_b32 exec_lo, exec_lo, s25
	s_and_saveexec_b32 s24, s7
	s_cbranch_execz .LBB4_3288
.LBB4_3287:                             ;   in Loop: Header=BB4_3272 Depth=2
	v_bfe_u32 v113, v22, 3, 4
	v_lshlrev_b32_e32 v114, 24, v22
	s_delay_alu instid0(VALU_DEP_2) | instskip(SKIP_1) | instid1(VALU_DEP_1)
	v_cmp_eq_u32_e32 vcc_lo, 0, v113
	v_and_b32_e32 v102, 7, v22
	v_clz_i32_u32_e32 v103, v102
	s_delay_alu instid0(VALU_DEP_1) | instskip(NEXT) | instid1(VALU_DEP_1)
	v_min_u32_e32 v103, 32, v103
	v_subrev_nc_u32_e32 v112, 28, v103
	v_sub_nc_u32_e32 v103, 29, v103
	s_delay_alu instid0(VALU_DEP_1) | instskip(NEXT) | instid1(VALU_DEP_1)
	v_dual_cndmask_b32 v103, v113, v103 :: v_dual_lshlrev_b32 v112, v112, v22
	v_and_b32_e32 v112, 7, v112
	s_delay_alu instid0(VALU_DEP_2) | instskip(NEXT) | instid1(VALU_DEP_2)
	v_lshl_add_u32 v103, v103, 23, 0x3b800000
	v_cndmask_b32_e32 v102, v102, v112, vcc_lo
	v_and_b32_e32 v112, 0x80000000, v114
	s_delay_alu instid0(VALU_DEP_2) | instskip(NEXT) | instid1(VALU_DEP_1)
	v_lshlrev_b32_e32 v102, 20, v102
	v_or3_b32 v102, v112, v103, v102
.LBB4_3288:                             ;   in Loop: Header=BB4_3272 Depth=2
	s_or_b32 exec_lo, exec_lo, s24
	s_waitcnt vmcnt(1)
	v_and_b32_e32 v112, 0xff, v18
	s_mov_b32 s7, 0
	s_mov_b32 s25, exec_lo
                                        ; implicit-def: $sgpr24
	s_delay_alu instid0(VALU_DEP_1)
	v_cmpx_lt_i16_e32 0x7f, v112
	s_xor_b32 s25, exec_lo, s25
	s_cbranch_execnz .LBB4_4210
; %bb.3289:                             ;   in Loop: Header=BB4_3272 Depth=2
	s_or_saveexec_b32 s25, s25
	v_mov_b32_e32 v103, s24
	s_xor_b32 exec_lo, exec_lo, s25
	s_cbranch_execnz .LBB4_4213
.LBB4_3290:                             ;   in Loop: Header=BB4_3272 Depth=2
	s_or_b32 exec_lo, exec_lo, s25
	s_and_saveexec_b32 s24, s7
	s_cbranch_execz .LBB4_3292
.LBB4_3291:                             ;   in Loop: Header=BB4_3272 Depth=2
	v_bfe_u32 v114, v18, 3, 4
	v_lshlrev_b32_e32 v115, 24, v18
	s_delay_alu instid0(VALU_DEP_2) | instskip(SKIP_1) | instid1(VALU_DEP_1)
	v_cmp_eq_u32_e32 vcc_lo, 0, v114
	v_and_b32_e32 v103, 7, v18
	v_clz_i32_u32_e32 v112, v103
	s_delay_alu instid0(VALU_DEP_1) | instskip(NEXT) | instid1(VALU_DEP_1)
	v_min_u32_e32 v112, 32, v112
	v_subrev_nc_u32_e32 v113, 28, v112
	v_sub_nc_u32_e32 v112, 29, v112
	s_delay_alu instid0(VALU_DEP_1) | instskip(NEXT) | instid1(VALU_DEP_1)
	v_dual_cndmask_b32 v112, v114, v112 :: v_dual_lshlrev_b32 v113, v113, v18
	v_and_b32_e32 v113, 7, v113
	s_delay_alu instid0(VALU_DEP_2) | instskip(NEXT) | instid1(VALU_DEP_2)
	v_lshl_add_u32 v112, v112, 23, 0x3b800000
	v_cndmask_b32_e32 v103, v103, v113, vcc_lo
	v_and_b32_e32 v113, 0x80000000, v115
	s_delay_alu instid0(VALU_DEP_2) | instskip(NEXT) | instid1(VALU_DEP_1)
	v_lshlrev_b32_e32 v103, 20, v103
	v_or3_b32 v103, v113, v112, v103
.LBB4_3292:                             ;   in Loop: Header=BB4_3272 Depth=2
	s_or_b32 exec_lo, exec_lo, s24
	s_delay_alu instid0(VALU_DEP_1) | instskip(NEXT) | instid1(VALU_DEP_1)
	v_dual_max_f32 v103, v103, v103 :: v_dual_max_f32 v102, v102, v102
	v_min_f32_e32 v103, v102, v103
.LBB4_3293:                             ;   in Loop: Header=BB4_3272 Depth=2
	s_delay_alu instid0(VALU_DEP_1) | instskip(NEXT) | instid1(VALU_DEP_1)
	v_and_b32_e32 v102, 0x7f800000, v103
	v_cmp_ne_u32_e32 vcc_lo, 0x7f800000, v102
	v_mov_b32_e32 v102, 0x80
	s_and_saveexec_b32 s24, vcc_lo
	s_cbranch_execz .LBB4_3301
; %bb.3294:                             ;   in Loop: Header=BB4_3272 Depth=2
	v_mov_b32_e32 v102, 0
	s_mov_b32 s25, exec_lo
	v_cmpx_ne_u32_e32 0, v103
	s_cbranch_execz .LBB4_3300
; %bb.3295:                             ;   in Loop: Header=BB4_3272 Depth=2
	v_bfe_u32 v102, v103, 23, 8
	s_delay_alu instid0(VALU_DEP_1) | instskip(SKIP_1) | instid1(VALU_DEP_2)
	v_sub_nc_u32_e32 v113, 0x78, v102
	v_cmp_gt_u32_e32 vcc_lo, 0x79, v102
	v_dual_cndmask_b32 v113, 0, v113 :: v_dual_and_b32 v112, 0x7fffff, v103
	s_delay_alu instid0(VALU_DEP_1) | instskip(SKIP_2) | instid1(VALU_DEP_4)
	v_or_b32_e32 v114, 0x800000, v112
	v_cmp_eq_u32_e32 vcc_lo, 0, v102
	v_add_nc_u32_e32 v102, 0xffffff89, v102
	v_cndmask_b32_e64 v113, v113, 0x77, vcc_lo
	s_delay_alu instid0(VALU_DEP_2) | instskip(SKIP_1) | instid1(VALU_DEP_3)
	v_cndmask_b32_e64 v102, v102, 0xffffff8a, vcc_lo
	v_cndmask_b32_e32 v112, v114, v112, vcc_lo
	v_lshl_add_u32 v114, 0x100000, v113, -1
	v_lshlrev_b32_e64 v117, v113, 0x80000
	s_delay_alu instid0(VALU_DEP_3) | instskip(SKIP_1) | instid1(VALU_DEP_4)
	v_lshrrev_b32_e32 v115, v113, v112
	v_add_nc_u32_e32 v113, v113, v102
	v_and_b32_e32 v112, v114, v112
	s_delay_alu instid0(VALU_DEP_3) | instskip(NEXT) | instid1(VALU_DEP_2)
	v_bfe_u32 v116, v115, 20, 1
	v_cmp_eq_u32_e64 s7, v112, v117
	s_delay_alu instid0(VALU_DEP_2) | instskip(NEXT) | instid1(VALU_DEP_1)
	v_add_nc_u32_e32 v114, -1, v116
	v_cndmask_b32_e64 v112, 0, v114, s7
	v_lshrrev_b32_e32 v114, 23, v115
	s_mov_b32 s7, exec_lo
	s_delay_alu instid0(VALU_DEP_2) | instskip(NEXT) | instid1(VALU_DEP_2)
	v_add_nc_u32_e32 v112, v112, v115
	v_xor_b32_e32 v114, 1, v114
	s_delay_alu instid0(VALU_DEP_2) | instskip(NEXT) | instid1(VALU_DEP_1)
	v_and_b32_e32 v102, 0xfffff, v112
	v_add_nc_u32_e32 v112, v102, v115
                                        ; implicit-def: $vgpr102
	s_delay_alu instid0(VALU_DEP_3)
	v_cmpx_ne_u32_e64 v113, v114
	s_xor_b32 s7, exec_lo, s7
; %bb.3296:                             ;   in Loop: Header=BB4_3272 Depth=2
	s_delay_alu instid0(VALU_DEP_2) | instskip(SKIP_2) | instid1(VALU_DEP_2)
	v_cmp_lt_u32_e32 vcc_lo, 0xffffff, v112
	v_sub_nc_u32_e32 v102, v113, v114
	v_cndmask_b32_e64 v113, 0, 1, vcc_lo
	v_add_co_ci_u32_e32 v102, vcc_lo, 0, v102, vcc_lo
	s_delay_alu instid0(VALU_DEP_2)
	v_lshrrev_b32_e32 v112, v113, v112
; %bb.3297:                             ;   in Loop: Header=BB4_3272 Depth=2
	s_and_not1_saveexec_b32 s7, s7
; %bb.3298:                             ;   in Loop: Header=BB4_3272 Depth=2
	s_delay_alu instid0(VALU_DEP_1)
	v_bfe_u32 v102, v112, 23, 1
; %bb.3299:                             ;   in Loop: Header=BB4_3272 Depth=2
	s_or_b32 exec_lo, exec_lo, s7
	v_lshrrev_b32_e32 v112, 20, v112
	s_delay_alu instid0(VALU_DEP_2) | instskip(SKIP_2) | instid1(VALU_DEP_2)
	v_cmp_gt_i32_e32 vcc_lo, 16, v102
	v_lshrrev_b32_e32 v103, 24, v103
	v_min_i32_e32 v113, 15, v102
	v_dual_cndmask_b32 v112, 7, v112 :: v_dual_and_b32 v103, 0x80, v103
	s_delay_alu instid0(VALU_DEP_1) | instskip(SKIP_1) | instid1(VALU_DEP_2)
	v_or_b32_e32 v102, v102, v112
	v_and_b32_e32 v114, 7, v112
	v_cmp_ne_u32_e32 vcc_lo, 0, v102
	v_lshlrev_b32_e32 v113, 3, v113
	s_delay_alu instid0(VALU_DEP_1) | instskip(NEXT) | instid1(VALU_DEP_1)
	v_or3_b32 v103, v113, v103, v114
	v_cndmask_b32_e32 v102, 0, v103, vcc_lo
.LBB4_3300:                             ;   in Loop: Header=BB4_3272 Depth=2
	s_or_b32 exec_lo, exec_lo, s25
.LBB4_3301:                             ;   in Loop: Header=BB4_3272 Depth=2
	s_delay_alu instid0(SALU_CYCLE_1)
	s_or_b32 exec_lo, exec_lo, s24
	s_waitcnt vmcnt(3)
	v_lshrrev_b16 v112, 8, v22
	s_waitcnt vmcnt(1)
	v_lshrrev_b16 v103, 8, v18
	s_and_b32 vcc_lo, exec_lo, s23
	s_cbranch_vccz .LBB4_3311
; %bb.3302:                             ;   in Loop: Header=BB4_3272 Depth=2
	s_mov_b32 s7, 0
	s_mov_b32 s25, exec_lo
                                        ; implicit-def: $sgpr24
	v_cmpx_lt_i16_e32 0x7f, v112
	s_xor_b32 s25, exec_lo, s25
	s_cbranch_execnz .LBB4_4214
; %bb.3303:                             ;   in Loop: Header=BB4_3272 Depth=2
	s_or_saveexec_b32 s25, s25
	v_mov_b32_e32 v113, s24
	s_xor_b32 exec_lo, exec_lo, s25
	s_cbranch_execnz .LBB4_4217
.LBB4_3304:                             ;   in Loop: Header=BB4_3272 Depth=2
	s_or_b32 exec_lo, exec_lo, s25
	s_and_saveexec_b32 s24, s7
	s_cbranch_execz .LBB4_3306
.LBB4_3305:                             ;   in Loop: Header=BB4_3272 Depth=2
	v_and_b32_e32 v113, 0xffff, v112
	s_delay_alu instid0(VALU_DEP_1) | instskip(NEXT) | instid1(VALU_DEP_1)
	v_and_b32_e32 v114, 7, v113
	v_clz_i32_u32_e32 v115, v114
	s_delay_alu instid0(VALU_DEP_1) | instskip(NEXT) | instid1(VALU_DEP_1)
	v_min_u32_e32 v115, 32, v115
	v_subrev_nc_u32_e32 v116, 28, v115
	v_sub_nc_u32_e32 v115, 29, v115
	s_delay_alu instid0(VALU_DEP_2) | instskip(SKIP_1) | instid1(VALU_DEP_2)
	v_lshlrev_b32_e32 v116, v116, v113
	v_bfe_u32 v113, v113, 3, 4
	v_and_b32_e32 v116, 7, v116
	s_delay_alu instid0(VALU_DEP_2) | instskip(SKIP_1) | instid1(VALU_DEP_3)
	v_cmp_eq_u32_e32 vcc_lo, 0, v113
	v_cndmask_b32_e32 v113, v113, v115, vcc_lo
	v_dual_cndmask_b32 v114, v114, v116 :: v_dual_lshlrev_b32 v117, 16, v22
	s_delay_alu instid0(VALU_DEP_2) | instskip(NEXT) | instid1(VALU_DEP_2)
	v_lshl_add_u32 v113, v113, 23, 0x3b800000
	v_and_b32_e32 v115, 0x80000000, v117
	s_delay_alu instid0(VALU_DEP_3) | instskip(NEXT) | instid1(VALU_DEP_1)
	v_lshlrev_b32_e32 v114, 20, v114
	v_or3_b32 v113, v115, v113, v114
.LBB4_3306:                             ;   in Loop: Header=BB4_3272 Depth=2
	s_or_b32 exec_lo, exec_lo, s24
	s_mov_b32 s7, 0
	s_mov_b32 s25, exec_lo
                                        ; implicit-def: $sgpr24
	v_cmpx_lt_i16_e32 0x7f, v103
	s_xor_b32 s25, exec_lo, s25
	s_cbranch_execnz .LBB4_4218
; %bb.3307:                             ;   in Loop: Header=BB4_3272 Depth=2
	s_or_saveexec_b32 s25, s25
	v_mov_b32_e32 v114, s24
	s_xor_b32 exec_lo, exec_lo, s25
	s_cbranch_execnz .LBB4_4221
.LBB4_3308:                             ;   in Loop: Header=BB4_3272 Depth=2
	s_or_b32 exec_lo, exec_lo, s25
	s_and_saveexec_b32 s24, s7
	s_cbranch_execz .LBB4_3310
.LBB4_3309:                             ;   in Loop: Header=BB4_3272 Depth=2
	v_and_b32_e32 v114, 0xffff, v103
	v_lshlrev_b32_e32 v118, 16, v18
	s_delay_alu instid0(VALU_DEP_2) | instskip(NEXT) | instid1(VALU_DEP_1)
	v_and_b32_e32 v115, 7, v114
	v_clz_i32_u32_e32 v116, v115
	s_delay_alu instid0(VALU_DEP_1) | instskip(NEXT) | instid1(VALU_DEP_1)
	v_min_u32_e32 v116, 32, v116
	v_subrev_nc_u32_e32 v117, 28, v116
	v_sub_nc_u32_e32 v116, 29, v116
	s_delay_alu instid0(VALU_DEP_2) | instskip(SKIP_1) | instid1(VALU_DEP_2)
	v_lshlrev_b32_e32 v117, v117, v114
	v_bfe_u32 v114, v114, 3, 4
	v_and_b32_e32 v117, 7, v117
	s_delay_alu instid0(VALU_DEP_2) | instskip(NEXT) | instid1(VALU_DEP_2)
	v_cmp_eq_u32_e32 vcc_lo, 0, v114
	v_dual_cndmask_b32 v114, v114, v116 :: v_dual_cndmask_b32 v115, v115, v117
	v_and_b32_e32 v116, 0x80000000, v118
	s_delay_alu instid0(VALU_DEP_2) | instskip(NEXT) | instid1(VALU_DEP_3)
	v_lshl_add_u32 v114, v114, 23, 0x3b800000
	v_lshlrev_b32_e32 v115, 20, v115
	s_delay_alu instid0(VALU_DEP_1)
	v_or3_b32 v114, v116, v114, v115
.LBB4_3310:                             ;   in Loop: Header=BB4_3272 Depth=2
	s_or_b32 exec_lo, exec_lo, s24
	s_delay_alu instid0(VALU_DEP_1) | instskip(SKIP_1) | instid1(VALU_DEP_1)
	v_dual_max_f32 v114, v114, v114 :: v_dual_max_f32 v113, v113, v113
	s_mov_b32 s7, 0
	v_max_f32_e32 v113, v113, v114
	s_branch .LBB4_3312
.LBB4_3311:                             ;   in Loop: Header=BB4_3272 Depth=2
	s_mov_b32 s7, -1
                                        ; implicit-def: $vgpr113
.LBB4_3312:                             ;   in Loop: Header=BB4_3272 Depth=2
	s_delay_alu instid0(SALU_CYCLE_1)
	s_and_b32 vcc_lo, exec_lo, s7
	s_cbranch_vccz .LBB4_3322
; %bb.3313:                             ;   in Loop: Header=BB4_3272 Depth=2
	s_mov_b32 s7, 0
	s_mov_b32 s25, exec_lo
                                        ; implicit-def: $sgpr24
	v_cmpx_lt_i16_e32 0x7f, v112
	s_xor_b32 s25, exec_lo, s25
	s_cbranch_execnz .LBB4_4222
; %bb.3314:                             ;   in Loop: Header=BB4_3272 Depth=2
	s_or_saveexec_b32 s25, s25
	v_mov_b32_e32 v113, s24
	s_xor_b32 exec_lo, exec_lo, s25
	s_cbranch_execnz .LBB4_4225
.LBB4_3315:                             ;   in Loop: Header=BB4_3272 Depth=2
	s_or_b32 exec_lo, exec_lo, s25
	s_and_saveexec_b32 s24, s7
	s_cbranch_execz .LBB4_3317
.LBB4_3316:                             ;   in Loop: Header=BB4_3272 Depth=2
	v_and_b32_e32 v112, 0xffff, v112
	v_lshlrev_b32_e32 v116, 16, v22
	s_delay_alu instid0(VALU_DEP_2) | instskip(NEXT) | instid1(VALU_DEP_1)
	v_and_b32_e32 v113, 7, v112
	v_clz_i32_u32_e32 v114, v113
	s_delay_alu instid0(VALU_DEP_1) | instskip(NEXT) | instid1(VALU_DEP_1)
	v_min_u32_e32 v114, 32, v114
	v_subrev_nc_u32_e32 v115, 28, v114
	v_sub_nc_u32_e32 v114, 29, v114
	s_delay_alu instid0(VALU_DEP_2) | instskip(SKIP_1) | instid1(VALU_DEP_2)
	v_lshlrev_b32_e32 v115, v115, v112
	v_bfe_u32 v112, v112, 3, 4
	v_and_b32_e32 v115, 7, v115
	s_delay_alu instid0(VALU_DEP_2) | instskip(NEXT) | instid1(VALU_DEP_2)
	v_cmp_eq_u32_e32 vcc_lo, 0, v112
	v_dual_cndmask_b32 v112, v112, v114 :: v_dual_cndmask_b32 v113, v113, v115
	v_and_b32_e32 v114, 0x80000000, v116
	s_delay_alu instid0(VALU_DEP_2) | instskip(NEXT) | instid1(VALU_DEP_3)
	v_lshl_add_u32 v112, v112, 23, 0x3b800000
	v_lshlrev_b32_e32 v113, 20, v113
	s_delay_alu instid0(VALU_DEP_1)
	v_or3_b32 v113, v114, v112, v113
.LBB4_3317:                             ;   in Loop: Header=BB4_3272 Depth=2
	s_or_b32 exec_lo, exec_lo, s24
	s_mov_b32 s7, 0
	s_mov_b32 s25, exec_lo
                                        ; implicit-def: $sgpr24
	v_cmpx_lt_i16_e32 0x7f, v103
	s_xor_b32 s25, exec_lo, s25
	s_cbranch_execnz .LBB4_4226
; %bb.3318:                             ;   in Loop: Header=BB4_3272 Depth=2
	s_or_saveexec_b32 s25, s25
	v_mov_b32_e32 v112, s24
	s_xor_b32 exec_lo, exec_lo, s25
	s_cbranch_execnz .LBB4_4229
.LBB4_3319:                             ;   in Loop: Header=BB4_3272 Depth=2
	s_or_b32 exec_lo, exec_lo, s25
	s_and_saveexec_b32 s24, s7
	s_cbranch_execz .LBB4_3321
.LBB4_3320:                             ;   in Loop: Header=BB4_3272 Depth=2
	v_and_b32_e32 v103, 0xffff, v103
	v_lshlrev_b32_e32 v116, 16, v18
	s_delay_alu instid0(VALU_DEP_2) | instskip(NEXT) | instid1(VALU_DEP_1)
	v_and_b32_e32 v112, 7, v103
	v_clz_i32_u32_e32 v114, v112
	s_delay_alu instid0(VALU_DEP_1) | instskip(NEXT) | instid1(VALU_DEP_1)
	v_min_u32_e32 v114, 32, v114
	v_subrev_nc_u32_e32 v115, 28, v114
	v_sub_nc_u32_e32 v114, 29, v114
	s_delay_alu instid0(VALU_DEP_2) | instskip(SKIP_1) | instid1(VALU_DEP_2)
	v_lshlrev_b32_e32 v115, v115, v103
	v_bfe_u32 v103, v103, 3, 4
	v_and_b32_e32 v115, 7, v115
	s_delay_alu instid0(VALU_DEP_2) | instskip(NEXT) | instid1(VALU_DEP_2)
	v_cmp_eq_u32_e32 vcc_lo, 0, v103
	v_dual_cndmask_b32 v103, v103, v114 :: v_dual_cndmask_b32 v112, v112, v115
	v_and_b32_e32 v114, 0x80000000, v116
	s_delay_alu instid0(VALU_DEP_2) | instskip(NEXT) | instid1(VALU_DEP_3)
	v_lshl_add_u32 v103, v103, 23, 0x3b800000
	v_lshlrev_b32_e32 v112, 20, v112
	s_delay_alu instid0(VALU_DEP_1)
	v_or3_b32 v112, v114, v103, v112
.LBB4_3321:                             ;   in Loop: Header=BB4_3272 Depth=2
	s_or_b32 exec_lo, exec_lo, s24
	s_delay_alu instid0(VALU_DEP_1) | instskip(NEXT) | instid1(VALU_DEP_1)
	v_dual_max_f32 v103, v112, v112 :: v_dual_max_f32 v112, v113, v113
	v_min_f32_e32 v113, v112, v103
.LBB4_3322:                             ;   in Loop: Header=BB4_3272 Depth=2
	s_delay_alu instid0(VALU_DEP_1) | instskip(NEXT) | instid1(VALU_DEP_1)
	v_and_b32_e32 v103, 0x7f800000, v113
	v_cmp_ne_u32_e32 vcc_lo, 0x7f800000, v103
	v_mov_b32_e32 v103, 0x80
	s_and_saveexec_b32 s24, vcc_lo
	s_cbranch_execz .LBB4_3330
; %bb.3323:                             ;   in Loop: Header=BB4_3272 Depth=2
	v_mov_b32_e32 v103, 0
	s_mov_b32 s25, exec_lo
	v_cmpx_ne_u32_e32 0, v113
	s_cbranch_execz .LBB4_3329
; %bb.3324:                             ;   in Loop: Header=BB4_3272 Depth=2
	v_bfe_u32 v103, v113, 23, 8
	v_and_b32_e32 v112, 0x7fffff, v113
	s_delay_alu instid0(VALU_DEP_2) | instskip(SKIP_1) | instid1(VALU_DEP_3)
	v_sub_nc_u32_e32 v114, 0x78, v103
	v_cmp_gt_u32_e32 vcc_lo, 0x79, v103
	v_or_b32_e32 v115, 0x800000, v112
	s_delay_alu instid0(VALU_DEP_3) | instskip(SKIP_2) | instid1(VALU_DEP_3)
	v_cndmask_b32_e32 v114, 0, v114, vcc_lo
	v_cmp_eq_u32_e32 vcc_lo, 0, v103
	v_add_nc_u32_e32 v103, 0xffffff89, v103
	v_cndmask_b32_e64 v114, v114, 0x77, vcc_lo
	v_cndmask_b32_e32 v112, v115, v112, vcc_lo
	s_delay_alu instid0(VALU_DEP_3) | instskip(NEXT) | instid1(VALU_DEP_3)
	v_cndmask_b32_e64 v103, v103, 0xffffff8a, vcc_lo
	v_lshl_add_u32 v115, 0x100000, v114, -1
	s_delay_alu instid0(VALU_DEP_3) | instskip(SKIP_1) | instid1(VALU_DEP_4)
	v_lshrrev_b32_e32 v116, v114, v112
	v_lshlrev_b32_e64 v118, v114, 0x80000
	v_add_nc_u32_e32 v114, v114, v103
	s_delay_alu instid0(VALU_DEP_4) | instskip(NEXT) | instid1(VALU_DEP_4)
	v_and_b32_e32 v112, v115, v112
	v_bfe_u32 v117, v116, 20, 1
	s_delay_alu instid0(VALU_DEP_2) | instskip(NEXT) | instid1(VALU_DEP_2)
	v_cmp_eq_u32_e64 s7, v112, v118
	v_add_nc_u32_e32 v115, -1, v117
	s_delay_alu instid0(VALU_DEP_1) | instskip(SKIP_2) | instid1(VALU_DEP_2)
	v_cndmask_b32_e64 v112, 0, v115, s7
	v_lshrrev_b32_e32 v115, 23, v116
	s_mov_b32 s7, exec_lo
	v_add_nc_u32_e32 v112, v112, v116
	s_delay_alu instid0(VALU_DEP_2) | instskip(NEXT) | instid1(VALU_DEP_2)
	v_xor_b32_e32 v115, 1, v115
	v_and_b32_e32 v103, 0xfffff, v112
	s_delay_alu instid0(VALU_DEP_1) | instskip(NEXT) | instid1(VALU_DEP_3)
	v_add_nc_u32_e32 v112, v103, v116
                                        ; implicit-def: $vgpr103
	v_cmpx_ne_u32_e64 v114, v115
	s_xor_b32 s7, exec_lo, s7
; %bb.3325:                             ;   in Loop: Header=BB4_3272 Depth=2
	s_delay_alu instid0(VALU_DEP_2) | instskip(SKIP_2) | instid1(VALU_DEP_2)
	v_cmp_lt_u32_e32 vcc_lo, 0xffffff, v112
	v_sub_nc_u32_e32 v103, v114, v115
	v_cndmask_b32_e64 v114, 0, 1, vcc_lo
	v_add_co_ci_u32_e32 v103, vcc_lo, 0, v103, vcc_lo
	s_delay_alu instid0(VALU_DEP_2)
	v_lshrrev_b32_e32 v112, v114, v112
; %bb.3326:                             ;   in Loop: Header=BB4_3272 Depth=2
	s_and_not1_saveexec_b32 s7, s7
; %bb.3327:                             ;   in Loop: Header=BB4_3272 Depth=2
	s_delay_alu instid0(VALU_DEP_1)
	v_bfe_u32 v103, v112, 23, 1
; %bb.3328:                             ;   in Loop: Header=BB4_3272 Depth=2
	s_or_b32 exec_lo, exec_lo, s7
	v_lshrrev_b32_e32 v112, 20, v112
	s_delay_alu instid0(VALU_DEP_2) | instskip(SKIP_2) | instid1(VALU_DEP_2)
	v_cmp_gt_i32_e32 vcc_lo, 16, v103
	v_lshrrev_b32_e32 v113, 24, v113
	v_min_i32_e32 v114, 15, v103
	v_dual_cndmask_b32 v112, 7, v112 :: v_dual_and_b32 v113, 0x80, v113
	s_delay_alu instid0(VALU_DEP_1) | instskip(SKIP_1) | instid1(VALU_DEP_2)
	v_or_b32_e32 v103, v103, v112
	v_and_b32_e32 v115, 7, v112
	v_cmp_ne_u32_e32 vcc_lo, 0, v103
	v_lshlrev_b32_e32 v114, 3, v114
	s_delay_alu instid0(VALU_DEP_1) | instskip(NEXT) | instid1(VALU_DEP_1)
	v_or3_b32 v112, v114, v113, v115
	v_cndmask_b32_e32 v103, 0, v112, vcc_lo
.LBB4_3329:                             ;   in Loop: Header=BB4_3272 Depth=2
	s_or_b32 exec_lo, exec_lo, s25
.LBB4_3330:                             ;   in Loop: Header=BB4_3272 Depth=2
	s_delay_alu instid0(SALU_CYCLE_1)
	s_or_b32 exec_lo, exec_lo, s24
	v_lshrrev_b32_e32 v113, 16, v22
	v_lshrrev_b32_e32 v112, 16, v18
	s_and_b32 vcc_lo, exec_lo, s23
	s_cbranch_vccz .LBB4_3340
; %bb.3331:                             ;   in Loop: Header=BB4_3272 Depth=2
	s_delay_alu instid0(VALU_DEP_2) | instskip(SKIP_2) | instid1(VALU_DEP_1)
	v_and_b32_e32 v115, 0xff, v113
	s_mov_b32 s7, 0
	s_mov_b32 s25, exec_lo
                                        ; implicit-def: $sgpr24
	v_cmpx_lt_i16_e32 0x7f, v115
	s_xor_b32 s25, exec_lo, s25
	s_cbranch_execnz .LBB4_4230
; %bb.3332:                             ;   in Loop: Header=BB4_3272 Depth=2
	s_or_saveexec_b32 s25, s25
	v_mov_b32_e32 v114, s24
	s_xor_b32 exec_lo, exec_lo, s25
	s_cbranch_execnz .LBB4_4233
.LBB4_3333:                             ;   in Loop: Header=BB4_3272 Depth=2
	s_or_b32 exec_lo, exec_lo, s25
	s_and_saveexec_b32 s24, s7
	s_cbranch_execz .LBB4_3335
.LBB4_3334:                             ;   in Loop: Header=BB4_3272 Depth=2
	v_bfe_u32 v114, v22, 16, 3
	v_bfe_u32 v117, v22, 19, 4
	v_lshlrev_b32_e32 v118, 24, v113
	s_delay_alu instid0(VALU_DEP_3) | instskip(NEXT) | instid1(VALU_DEP_3)
	v_clz_i32_u32_e32 v115, v114
	v_cmp_eq_u32_e32 vcc_lo, 0, v117
	s_delay_alu instid0(VALU_DEP_2) | instskip(NEXT) | instid1(VALU_DEP_1)
	v_min_u32_e32 v115, 32, v115
	v_subrev_nc_u32_e32 v116, 28, v115
	v_sub_nc_u32_e32 v115, 29, v115
	s_delay_alu instid0(VALU_DEP_1) | instskip(NEXT) | instid1(VALU_DEP_1)
	v_dual_cndmask_b32 v115, v117, v115 :: v_dual_lshlrev_b32 v116, v116, v113
	v_and_b32_e32 v116, 7, v116
	s_delay_alu instid0(VALU_DEP_2) | instskip(NEXT) | instid1(VALU_DEP_2)
	v_lshl_add_u32 v115, v115, 23, 0x3b800000
	v_cndmask_b32_e32 v114, v114, v116, vcc_lo
	v_and_b32_e32 v116, 0x80000000, v118
	s_delay_alu instid0(VALU_DEP_2) | instskip(NEXT) | instid1(VALU_DEP_1)
	v_lshlrev_b32_e32 v114, 20, v114
	v_or3_b32 v114, v116, v115, v114
.LBB4_3335:                             ;   in Loop: Header=BB4_3272 Depth=2
	s_or_b32 exec_lo, exec_lo, s24
	v_and_b32_e32 v116, 0xff, v112
	s_mov_b32 s7, 0
	s_mov_b32 s25, exec_lo
                                        ; implicit-def: $sgpr24
	s_delay_alu instid0(VALU_DEP_1)
	v_cmpx_lt_i16_e32 0x7f, v116
	s_xor_b32 s25, exec_lo, s25
	s_cbranch_execnz .LBB4_4234
; %bb.3336:                             ;   in Loop: Header=BB4_3272 Depth=2
	s_or_saveexec_b32 s25, s25
	v_mov_b32_e32 v115, s24
	s_xor_b32 exec_lo, exec_lo, s25
	s_cbranch_execnz .LBB4_4237
.LBB4_3337:                             ;   in Loop: Header=BB4_3272 Depth=2
	s_or_b32 exec_lo, exec_lo, s25
	s_and_saveexec_b32 s24, s7
	s_cbranch_execz .LBB4_3339
.LBB4_3338:                             ;   in Loop: Header=BB4_3272 Depth=2
	v_bfe_u32 v115, v18, 16, 3
	v_bfe_u32 v118, v18, 19, 4
	v_lshlrev_b32_e32 v119, 24, v112
	s_delay_alu instid0(VALU_DEP_3) | instskip(NEXT) | instid1(VALU_DEP_3)
	v_clz_i32_u32_e32 v116, v115
	v_cmp_eq_u32_e32 vcc_lo, 0, v118
	s_delay_alu instid0(VALU_DEP_2) | instskip(NEXT) | instid1(VALU_DEP_1)
	v_min_u32_e32 v116, 32, v116
	v_subrev_nc_u32_e32 v117, 28, v116
	v_sub_nc_u32_e32 v116, 29, v116
	s_delay_alu instid0(VALU_DEP_2) | instskip(NEXT) | instid1(VALU_DEP_1)
	v_lshlrev_b32_e32 v117, v117, v112
	v_dual_cndmask_b32 v116, v118, v116 :: v_dual_and_b32 v117, 7, v117
	s_delay_alu instid0(VALU_DEP_1) | instskip(NEXT) | instid1(VALU_DEP_2)
	v_lshl_add_u32 v116, v116, 23, 0x3b800000
	v_cndmask_b32_e32 v115, v115, v117, vcc_lo
	v_and_b32_e32 v117, 0x80000000, v119
	s_delay_alu instid0(VALU_DEP_2) | instskip(NEXT) | instid1(VALU_DEP_1)
	v_lshlrev_b32_e32 v115, 20, v115
	v_or3_b32 v115, v117, v116, v115
.LBB4_3339:                             ;   in Loop: Header=BB4_3272 Depth=2
	s_or_b32 exec_lo, exec_lo, s24
	s_delay_alu instid0(VALU_DEP_1) | instskip(SKIP_1) | instid1(VALU_DEP_1)
	v_dual_max_f32 v115, v115, v115 :: v_dual_max_f32 v114, v114, v114
	s_mov_b32 s7, 0
	v_max_f32_e32 v114, v114, v115
	s_branch .LBB4_3341
.LBB4_3340:                             ;   in Loop: Header=BB4_3272 Depth=2
	s_mov_b32 s7, -1
                                        ; implicit-def: $vgpr114
.LBB4_3341:                             ;   in Loop: Header=BB4_3272 Depth=2
	s_delay_alu instid0(SALU_CYCLE_1)
	s_and_b32 vcc_lo, exec_lo, s7
	s_cbranch_vccz .LBB4_3351
; %bb.3342:                             ;   in Loop: Header=BB4_3272 Depth=2
	v_and_b32_e32 v115, 0xff, v113
	s_mov_b32 s7, 0
	s_mov_b32 s25, exec_lo
                                        ; implicit-def: $sgpr24
	s_delay_alu instid0(VALU_DEP_1)
	v_cmpx_lt_i16_e32 0x7f, v115
	s_xor_b32 s25, exec_lo, s25
	s_cbranch_execnz .LBB4_4238
; %bb.3343:                             ;   in Loop: Header=BB4_3272 Depth=2
	s_or_saveexec_b32 s25, s25
	v_mov_b32_e32 v114, s24
	s_xor_b32 exec_lo, exec_lo, s25
	s_cbranch_execnz .LBB4_4241
.LBB4_3344:                             ;   in Loop: Header=BB4_3272 Depth=2
	s_or_b32 exec_lo, exec_lo, s25
	s_and_saveexec_b32 s24, s7
	s_cbranch_execz .LBB4_3346
.LBB4_3345:                             ;   in Loop: Header=BB4_3272 Depth=2
	v_bfe_u32 v114, v22, 16, 3
	v_bfe_u32 v117, v22, 19, 4
	s_delay_alu instid0(VALU_DEP_2) | instskip(NEXT) | instid1(VALU_DEP_2)
	v_clz_i32_u32_e32 v115, v114
	v_cmp_eq_u32_e32 vcc_lo, 0, v117
	s_delay_alu instid0(VALU_DEP_2) | instskip(NEXT) | instid1(VALU_DEP_1)
	v_min_u32_e32 v115, 32, v115
	v_subrev_nc_u32_e32 v116, 28, v115
	v_sub_nc_u32_e32 v115, 29, v115
	s_delay_alu instid0(VALU_DEP_1) | instskip(NEXT) | instid1(VALU_DEP_1)
	v_dual_cndmask_b32 v115, v117, v115 :: v_dual_lshlrev_b32 v116, v116, v113
	v_and_b32_e32 v116, 7, v116
	v_lshlrev_b32_e32 v113, 24, v113
	s_delay_alu instid0(VALU_DEP_3) | instskip(NEXT) | instid1(VALU_DEP_2)
	v_lshl_add_u32 v115, v115, 23, 0x3b800000
	v_dual_cndmask_b32 v114, v114, v116 :: v_dual_and_b32 v113, 0x80000000, v113
	s_delay_alu instid0(VALU_DEP_1) | instskip(NEXT) | instid1(VALU_DEP_1)
	v_lshlrev_b32_e32 v114, 20, v114
	v_or3_b32 v114, v113, v115, v114
.LBB4_3346:                             ;   in Loop: Header=BB4_3272 Depth=2
	s_or_b32 exec_lo, exec_lo, s24
	v_and_b32_e32 v115, 0xff, v112
	s_mov_b32 s7, 0
	s_mov_b32 s25, exec_lo
                                        ; implicit-def: $sgpr24
	s_delay_alu instid0(VALU_DEP_1)
	v_cmpx_lt_i16_e32 0x7f, v115
	s_xor_b32 s25, exec_lo, s25
	s_cbranch_execnz .LBB4_4242
; %bb.3347:                             ;   in Loop: Header=BB4_3272 Depth=2
	s_or_saveexec_b32 s25, s25
	v_mov_b32_e32 v113, s24
	s_xor_b32 exec_lo, exec_lo, s25
	s_cbranch_execnz .LBB4_4245
.LBB4_3348:                             ;   in Loop: Header=BB4_3272 Depth=2
	s_or_b32 exec_lo, exec_lo, s25
	s_and_saveexec_b32 s24, s7
	s_cbranch_execz .LBB4_3350
.LBB4_3349:                             ;   in Loop: Header=BB4_3272 Depth=2
	v_bfe_u32 v113, v18, 16, 3
	v_bfe_u32 v117, v18, 19, 4
	s_delay_alu instid0(VALU_DEP_2) | instskip(NEXT) | instid1(VALU_DEP_2)
	v_clz_i32_u32_e32 v115, v113
	v_cmp_eq_u32_e32 vcc_lo, 0, v117
	s_delay_alu instid0(VALU_DEP_2) | instskip(NEXT) | instid1(VALU_DEP_1)
	v_min_u32_e32 v115, 32, v115
	v_subrev_nc_u32_e32 v116, 28, v115
	v_sub_nc_u32_e32 v115, 29, v115
	s_delay_alu instid0(VALU_DEP_1) | instskip(SKIP_1) | instid1(VALU_DEP_2)
	v_dual_cndmask_b32 v115, v117, v115 :: v_dual_lshlrev_b32 v116, v116, v112
	v_lshlrev_b32_e32 v112, 24, v112
	v_and_b32_e32 v116, 7, v116
	s_delay_alu instid0(VALU_DEP_3) | instskip(NEXT) | instid1(VALU_DEP_3)
	v_lshl_add_u32 v115, v115, 23, 0x3b800000
	v_and_b32_e32 v112, 0x80000000, v112
	s_delay_alu instid0(VALU_DEP_3) | instskip(NEXT) | instid1(VALU_DEP_1)
	v_cndmask_b32_e32 v113, v113, v116, vcc_lo
	v_lshlrev_b32_e32 v113, 20, v113
	s_delay_alu instid0(VALU_DEP_1)
	v_or3_b32 v113, v112, v115, v113
.LBB4_3350:                             ;   in Loop: Header=BB4_3272 Depth=2
	s_or_b32 exec_lo, exec_lo, s24
	s_delay_alu instid0(VALU_DEP_1) | instskip(NEXT) | instid1(VALU_DEP_1)
	v_dual_max_f32 v112, v113, v113 :: v_dual_max_f32 v113, v114, v114
	v_min_f32_e32 v114, v113, v112
.LBB4_3351:                             ;   in Loop: Header=BB4_3272 Depth=2
	s_delay_alu instid0(VALU_DEP_1) | instskip(NEXT) | instid1(VALU_DEP_1)
	v_and_b32_e32 v112, 0x7f800000, v114
	v_cmp_ne_u32_e32 vcc_lo, 0x7f800000, v112
	v_mov_b32_e32 v112, 0x80
	s_and_saveexec_b32 s24, vcc_lo
	s_cbranch_execz .LBB4_3359
; %bb.3352:                             ;   in Loop: Header=BB4_3272 Depth=2
	v_mov_b32_e32 v112, 0
	s_mov_b32 s25, exec_lo
	v_cmpx_ne_u32_e32 0, v114
	s_cbranch_execz .LBB4_3358
; %bb.3353:                             ;   in Loop: Header=BB4_3272 Depth=2
	v_bfe_u32 v112, v114, 23, 8
	v_and_b32_e32 v113, 0x7fffff, v114
	s_delay_alu instid0(VALU_DEP_2) | instskip(SKIP_1) | instid1(VALU_DEP_3)
	v_sub_nc_u32_e32 v115, 0x78, v112
	v_cmp_gt_u32_e32 vcc_lo, 0x79, v112
	v_or_b32_e32 v116, 0x800000, v113
	s_delay_alu instid0(VALU_DEP_3) | instskip(SKIP_2) | instid1(VALU_DEP_3)
	v_cndmask_b32_e32 v115, 0, v115, vcc_lo
	v_cmp_eq_u32_e32 vcc_lo, 0, v112
	v_add_nc_u32_e32 v112, 0xffffff89, v112
	v_cndmask_b32_e64 v115, v115, 0x77, vcc_lo
	v_cndmask_b32_e32 v113, v116, v113, vcc_lo
	s_delay_alu instid0(VALU_DEP_3) | instskip(NEXT) | instid1(VALU_DEP_3)
	v_cndmask_b32_e64 v112, v112, 0xffffff8a, vcc_lo
	v_lshl_add_u32 v116, 0x100000, v115, -1
	s_delay_alu instid0(VALU_DEP_3) | instskip(SKIP_1) | instid1(VALU_DEP_4)
	v_lshrrev_b32_e32 v117, v115, v113
	v_lshlrev_b32_e64 v119, v115, 0x80000
	v_add_nc_u32_e32 v115, v115, v112
	s_delay_alu instid0(VALU_DEP_4) | instskip(NEXT) | instid1(VALU_DEP_4)
	v_and_b32_e32 v113, v116, v113
	v_bfe_u32 v118, v117, 20, 1
	s_delay_alu instid0(VALU_DEP_2) | instskip(NEXT) | instid1(VALU_DEP_2)
	v_cmp_eq_u32_e64 s7, v113, v119
	v_add_nc_u32_e32 v116, -1, v118
	s_delay_alu instid0(VALU_DEP_1) | instskip(SKIP_2) | instid1(VALU_DEP_2)
	v_cndmask_b32_e64 v113, 0, v116, s7
	v_lshrrev_b32_e32 v116, 23, v117
	s_mov_b32 s7, exec_lo
	v_add_nc_u32_e32 v113, v113, v117
	s_delay_alu instid0(VALU_DEP_2) | instskip(NEXT) | instid1(VALU_DEP_2)
	v_xor_b32_e32 v116, 1, v116
	v_and_b32_e32 v112, 0xfffff, v113
	s_delay_alu instid0(VALU_DEP_1) | instskip(NEXT) | instid1(VALU_DEP_3)
	v_add_nc_u32_e32 v113, v112, v117
                                        ; implicit-def: $vgpr112
	v_cmpx_ne_u32_e64 v115, v116
	s_xor_b32 s7, exec_lo, s7
; %bb.3354:                             ;   in Loop: Header=BB4_3272 Depth=2
	s_delay_alu instid0(VALU_DEP_2) | instskip(SKIP_2) | instid1(VALU_DEP_2)
	v_cmp_lt_u32_e32 vcc_lo, 0xffffff, v113
	v_sub_nc_u32_e32 v112, v115, v116
	v_cndmask_b32_e64 v115, 0, 1, vcc_lo
	v_add_co_ci_u32_e32 v112, vcc_lo, 0, v112, vcc_lo
	s_delay_alu instid0(VALU_DEP_2)
	v_lshrrev_b32_e32 v113, v115, v113
; %bb.3355:                             ;   in Loop: Header=BB4_3272 Depth=2
	s_and_not1_saveexec_b32 s7, s7
; %bb.3356:                             ;   in Loop: Header=BB4_3272 Depth=2
	s_delay_alu instid0(VALU_DEP_1)
	v_bfe_u32 v112, v113, 23, 1
; %bb.3357:                             ;   in Loop: Header=BB4_3272 Depth=2
	s_or_b32 exec_lo, exec_lo, s7
	v_lshrrev_b32_e32 v113, 20, v113
	s_delay_alu instid0(VALU_DEP_2) | instskip(SKIP_2) | instid1(VALU_DEP_2)
	v_cmp_gt_i32_e32 vcc_lo, 16, v112
	v_lshrrev_b32_e32 v114, 24, v114
	v_min_i32_e32 v115, 15, v112
	v_dual_cndmask_b32 v113, 7, v113 :: v_dual_and_b32 v114, 0x80, v114
	s_delay_alu instid0(VALU_DEP_1) | instskip(SKIP_1) | instid1(VALU_DEP_2)
	v_or_b32_e32 v112, v112, v113
	v_and_b32_e32 v116, 7, v113
	v_cmp_ne_u32_e32 vcc_lo, 0, v112
	v_lshlrev_b32_e32 v115, 3, v115
	s_delay_alu instid0(VALU_DEP_1) | instskip(NEXT) | instid1(VALU_DEP_1)
	v_or3_b32 v113, v115, v114, v116
	v_cndmask_b32_e32 v112, 0, v113, vcc_lo
.LBB4_3358:                             ;   in Loop: Header=BB4_3272 Depth=2
	s_or_b32 exec_lo, exec_lo, s25
.LBB4_3359:                             ;   in Loop: Header=BB4_3272 Depth=2
	s_delay_alu instid0(SALU_CYCLE_1)
	s_or_b32 exec_lo, exec_lo, s24
	v_lshrrev_b32_e32 v114, 24, v22
	v_lshrrev_b32_e32 v113, 24, v18
	s_and_b32 vcc_lo, exec_lo, s23
	s_cbranch_vccz .LBB4_3369
; %bb.3360:                             ;   in Loop: Header=BB4_3272 Depth=2
	s_mov_b32 s7, 0
	s_mov_b32 s25, exec_lo
                                        ; implicit-def: $sgpr24
	v_cmpx_lt_i16_e32 0x7f, v114
	s_xor_b32 s25, exec_lo, s25
	s_cbranch_execnz .LBB4_4246
; %bb.3361:                             ;   in Loop: Header=BB4_3272 Depth=2
	s_or_saveexec_b32 s25, s25
	v_mov_b32_e32 v115, s24
	s_xor_b32 exec_lo, exec_lo, s25
	s_cbranch_execnz .LBB4_4249
.LBB4_3362:                             ;   in Loop: Header=BB4_3272 Depth=2
	s_or_b32 exec_lo, exec_lo, s25
	s_and_saveexec_b32 s24, s7
	s_cbranch_execz .LBB4_3364
.LBB4_3363:                             ;   in Loop: Header=BB4_3272 Depth=2
	v_bfe_u32 v115, v22, 24, 3
	v_bfe_u32 v118, v22, 27, 4
	s_delay_alu instid0(VALU_DEP_2) | instskip(NEXT) | instid1(VALU_DEP_2)
	v_clz_i32_u32_e32 v116, v115
	v_cmp_eq_u32_e32 vcc_lo, 0, v118
	s_delay_alu instid0(VALU_DEP_2) | instskip(NEXT) | instid1(VALU_DEP_1)
	v_min_u32_e32 v116, 32, v116
	v_subrev_nc_u32_e32 v117, 28, v116
	v_sub_nc_u32_e32 v116, 29, v116
	s_delay_alu instid0(VALU_DEP_1) | instskip(NEXT) | instid1(VALU_DEP_1)
	v_dual_cndmask_b32 v116, v118, v116 :: v_dual_lshlrev_b32 v117, v117, v114
	v_and_b32_e32 v117, 7, v117
	s_delay_alu instid0(VALU_DEP_2) | instskip(NEXT) | instid1(VALU_DEP_2)
	v_lshl_add_u32 v116, v116, 23, 0x3b800000
	v_cndmask_b32_e32 v115, v115, v117, vcc_lo
	v_and_b32_e32 v117, 0x80000000, v22
	s_delay_alu instid0(VALU_DEP_2) | instskip(NEXT) | instid1(VALU_DEP_1)
	v_lshlrev_b32_e32 v115, 20, v115
	v_or3_b32 v115, v117, v116, v115
.LBB4_3364:                             ;   in Loop: Header=BB4_3272 Depth=2
	s_or_b32 exec_lo, exec_lo, s24
	s_mov_b32 s7, 0
	s_mov_b32 s25, exec_lo
                                        ; implicit-def: $sgpr24
	v_cmpx_lt_i16_e32 0x7f, v113
	s_xor_b32 s25, exec_lo, s25
	s_cbranch_execnz .LBB4_4250
; %bb.3365:                             ;   in Loop: Header=BB4_3272 Depth=2
	s_or_saveexec_b32 s25, s25
	v_mov_b32_e32 v116, s24
	s_xor_b32 exec_lo, exec_lo, s25
	s_cbranch_execnz .LBB4_4253
.LBB4_3366:                             ;   in Loop: Header=BB4_3272 Depth=2
	s_or_b32 exec_lo, exec_lo, s25
	s_and_saveexec_b32 s24, s7
	s_cbranch_execz .LBB4_3368
.LBB4_3367:                             ;   in Loop: Header=BB4_3272 Depth=2
	v_bfe_u32 v116, v18, 24, 3
	v_bfe_u32 v119, v18, 27, 4
	s_delay_alu instid0(VALU_DEP_2) | instskip(NEXT) | instid1(VALU_DEP_2)
	v_clz_i32_u32_e32 v117, v116
	v_cmp_eq_u32_e32 vcc_lo, 0, v119
	s_delay_alu instid0(VALU_DEP_2) | instskip(NEXT) | instid1(VALU_DEP_1)
	v_min_u32_e32 v117, 32, v117
	v_subrev_nc_u32_e32 v118, 28, v117
	v_sub_nc_u32_e32 v117, 29, v117
	s_delay_alu instid0(VALU_DEP_2) | instskip(NEXT) | instid1(VALU_DEP_1)
	v_lshlrev_b32_e32 v118, v118, v113
	v_dual_cndmask_b32 v117, v119, v117 :: v_dual_and_b32 v118, 7, v118
	s_delay_alu instid0(VALU_DEP_1) | instskip(NEXT) | instid1(VALU_DEP_2)
	v_lshl_add_u32 v117, v117, 23, 0x3b800000
	v_cndmask_b32_e32 v116, v116, v118, vcc_lo
	v_and_b32_e32 v118, 0x80000000, v18
	s_delay_alu instid0(VALU_DEP_2) | instskip(NEXT) | instid1(VALU_DEP_1)
	v_lshlrev_b32_e32 v116, 20, v116
	v_or3_b32 v116, v118, v117, v116
.LBB4_3368:                             ;   in Loop: Header=BB4_3272 Depth=2
	s_or_b32 exec_lo, exec_lo, s24
	s_delay_alu instid0(VALU_DEP_1) | instskip(SKIP_1) | instid1(VALU_DEP_1)
	v_dual_max_f32 v116, v116, v116 :: v_dual_max_f32 v115, v115, v115
	s_mov_b32 s7, 0
	v_max_f32_e32 v115, v115, v116
	s_branch .LBB4_3370
.LBB4_3369:                             ;   in Loop: Header=BB4_3272 Depth=2
	s_mov_b32 s7, -1
                                        ; implicit-def: $vgpr115
.LBB4_3370:                             ;   in Loop: Header=BB4_3272 Depth=2
	s_delay_alu instid0(SALU_CYCLE_1)
	s_and_b32 vcc_lo, exec_lo, s7
	s_cbranch_vccz .LBB4_3380
; %bb.3371:                             ;   in Loop: Header=BB4_3272 Depth=2
	s_mov_b32 s7, 0
	s_mov_b32 s25, exec_lo
                                        ; implicit-def: $sgpr24
	v_cmpx_lt_i16_e32 0x7f, v114
	s_xor_b32 s25, exec_lo, s25
	s_cbranch_execnz .LBB4_4254
; %bb.3372:                             ;   in Loop: Header=BB4_3272 Depth=2
	s_or_saveexec_b32 s25, s25
	v_mov_b32_e32 v115, s24
	s_xor_b32 exec_lo, exec_lo, s25
	s_cbranch_execnz .LBB4_4257
.LBB4_3373:                             ;   in Loop: Header=BB4_3272 Depth=2
	s_or_b32 exec_lo, exec_lo, s25
	s_and_saveexec_b32 s24, s7
	s_cbranch_execz .LBB4_3375
.LBB4_3374:                             ;   in Loop: Header=BB4_3272 Depth=2
	v_bfe_u32 v115, v22, 24, 3
	s_delay_alu instid0(VALU_DEP_1) | instskip(NEXT) | instid1(VALU_DEP_1)
	v_clz_i32_u32_e32 v116, v115
	v_min_u32_e32 v116, 32, v116
	s_delay_alu instid0(VALU_DEP_1) | instskip(SKIP_1) | instid1(VALU_DEP_2)
	v_subrev_nc_u32_e32 v117, 28, v116
	v_sub_nc_u32_e32 v116, 29, v116
	v_lshlrev_b32_e32 v114, v117, v114
	v_bfe_u32 v117, v22, 27, 4
	v_and_b32_e32 v22, 0x80000000, v22
	s_delay_alu instid0(VALU_DEP_3) | instskip(NEXT) | instid1(VALU_DEP_3)
	v_and_b32_e32 v114, 7, v114
	v_cmp_eq_u32_e32 vcc_lo, 0, v117
	v_cndmask_b32_e32 v116, v117, v116, vcc_lo
	s_delay_alu instid0(VALU_DEP_3) | instskip(NEXT) | instid1(VALU_DEP_2)
	v_cndmask_b32_e32 v114, v115, v114, vcc_lo
	v_lshl_add_u32 v115, v116, 23, 0x3b800000
	s_delay_alu instid0(VALU_DEP_2) | instskip(NEXT) | instid1(VALU_DEP_1)
	v_lshlrev_b32_e32 v114, 20, v114
	v_or3_b32 v115, v22, v115, v114
.LBB4_3375:                             ;   in Loop: Header=BB4_3272 Depth=2
	s_or_b32 exec_lo, exec_lo, s24
	s_mov_b32 s7, 0
	s_mov_b32 s25, exec_lo
                                        ; implicit-def: $sgpr24
	v_cmpx_lt_i16_e32 0x7f, v113
	s_xor_b32 s25, exec_lo, s25
	s_cbranch_execnz .LBB4_4258
; %bb.3376:                             ;   in Loop: Header=BB4_3272 Depth=2
	s_or_saveexec_b32 s25, s25
	v_mov_b32_e32 v22, s24
	s_xor_b32 exec_lo, exec_lo, s25
	s_cbranch_execnz .LBB4_4261
.LBB4_3377:                             ;   in Loop: Header=BB4_3272 Depth=2
	s_or_b32 exec_lo, exec_lo, s25
	s_and_saveexec_b32 s24, s7
	s_cbranch_execz .LBB4_3379
.LBB4_3378:                             ;   in Loop: Header=BB4_3272 Depth=2
	v_bfe_u32 v22, v18, 24, 3
	s_delay_alu instid0(VALU_DEP_1) | instskip(NEXT) | instid1(VALU_DEP_1)
	v_clz_i32_u32_e32 v114, v22
	v_min_u32_e32 v114, 32, v114
	s_delay_alu instid0(VALU_DEP_1) | instskip(SKIP_1) | instid1(VALU_DEP_2)
	v_subrev_nc_u32_e32 v116, 28, v114
	v_sub_nc_u32_e32 v114, 29, v114
	v_lshlrev_b32_e32 v113, v116, v113
	v_bfe_u32 v116, v18, 27, 4
	v_and_b32_e32 v18, 0x80000000, v18
	s_delay_alu instid0(VALU_DEP_2) | instskip(NEXT) | instid1(VALU_DEP_4)
	v_cmp_eq_u32_e32 vcc_lo, 0, v116
	v_dual_cndmask_b32 v114, v116, v114 :: v_dual_and_b32 v113, 7, v113
	s_delay_alu instid0(VALU_DEP_1) | instskip(NEXT) | instid1(VALU_DEP_2)
	v_cndmask_b32_e32 v22, v22, v113, vcc_lo
	v_lshl_add_u32 v113, v114, 23, 0x3b800000
	s_delay_alu instid0(VALU_DEP_2) | instskip(NEXT) | instid1(VALU_DEP_1)
	v_lshlrev_b32_e32 v22, 20, v22
	v_or3_b32 v22, v18, v113, v22
.LBB4_3379:                             ;   in Loop: Header=BB4_3272 Depth=2
	s_or_b32 exec_lo, exec_lo, s24
	s_delay_alu instid0(VALU_DEP_1) | instskip(SKIP_1) | instid1(VALU_DEP_1)
	v_max_f32_e32 v18, v22, v22
	v_max_f32_e32 v22, v115, v115
	v_min_f32_e32 v115, v22, v18
.LBB4_3380:                             ;   in Loop: Header=BB4_3272 Depth=2
	s_delay_alu instid0(VALU_DEP_1) | instskip(NEXT) | instid1(VALU_DEP_1)
	v_and_b32_e32 v18, 0x7f800000, v115
	v_cmp_ne_u32_e32 vcc_lo, 0x7f800000, v18
	v_mov_b32_e32 v18, 0x80
	s_and_saveexec_b32 s24, vcc_lo
	s_cbranch_execz .LBB4_3388
; %bb.3381:                             ;   in Loop: Header=BB4_3272 Depth=2
	v_mov_b32_e32 v18, 0
	s_mov_b32 s25, exec_lo
	v_cmpx_ne_u32_e32 0, v115
	s_cbranch_execz .LBB4_3387
; %bb.3382:                             ;   in Loop: Header=BB4_3272 Depth=2
	v_bfe_u32 v18, v115, 23, 8
	s_delay_alu instid0(VALU_DEP_1) | instskip(SKIP_1) | instid1(VALU_DEP_2)
	v_sub_nc_u32_e32 v113, 0x78, v18
	v_cmp_gt_u32_e32 vcc_lo, 0x79, v18
	v_dual_cndmask_b32 v113, 0, v113 :: v_dual_and_b32 v22, 0x7fffff, v115
	s_delay_alu instid0(VALU_DEP_1) | instskip(SKIP_2) | instid1(VALU_DEP_4)
	v_or_b32_e32 v114, 0x800000, v22
	v_cmp_eq_u32_e32 vcc_lo, 0, v18
	v_add_nc_u32_e32 v18, 0xffffff89, v18
	v_cndmask_b32_e64 v113, v113, 0x77, vcc_lo
	s_delay_alu instid0(VALU_DEP_4) | instskip(NEXT) | instid1(VALU_DEP_3)
	v_cndmask_b32_e32 v22, v114, v22, vcc_lo
	v_cndmask_b32_e64 v18, v18, 0xffffff8a, vcc_lo
	s_delay_alu instid0(VALU_DEP_3) | instskip(NEXT) | instid1(VALU_DEP_3)
	v_lshl_add_u32 v114, 0x100000, v113, -1
	v_lshrrev_b32_e32 v116, v113, v22
	v_lshlrev_b32_e64 v118, v113, 0x80000
	s_delay_alu instid0(VALU_DEP_4) | instskip(NEXT) | instid1(VALU_DEP_4)
	v_add_nc_u32_e32 v113, v113, v18
	v_and_b32_e32 v22, v114, v22
	s_delay_alu instid0(VALU_DEP_4) | instskip(NEXT) | instid1(VALU_DEP_2)
	v_bfe_u32 v117, v116, 20, 1
	v_cmp_eq_u32_e64 s7, v22, v118
	s_delay_alu instid0(VALU_DEP_2) | instskip(NEXT) | instid1(VALU_DEP_1)
	v_add_nc_u32_e32 v114, -1, v117
	v_cndmask_b32_e64 v22, 0, v114, s7
	v_lshrrev_b32_e32 v114, 23, v116
	s_mov_b32 s7, exec_lo
	s_delay_alu instid0(VALU_DEP_2) | instskip(NEXT) | instid1(VALU_DEP_2)
	v_add_nc_u32_e32 v22, v22, v116
	v_xor_b32_e32 v114, 1, v114
	s_delay_alu instid0(VALU_DEP_2) | instskip(NEXT) | instid1(VALU_DEP_1)
	v_and_b32_e32 v18, 0xfffff, v22
	v_add_nc_u32_e32 v22, v18, v116
                                        ; implicit-def: $vgpr18
	s_delay_alu instid0(VALU_DEP_3)
	v_cmpx_ne_u32_e64 v113, v114
	s_xor_b32 s7, exec_lo, s7
; %bb.3383:                             ;   in Loop: Header=BB4_3272 Depth=2
	s_delay_alu instid0(VALU_DEP_2) | instskip(SKIP_2) | instid1(VALU_DEP_2)
	v_cmp_lt_u32_e32 vcc_lo, 0xffffff, v22
	v_sub_nc_u32_e32 v18, v113, v114
	v_cndmask_b32_e64 v113, 0, 1, vcc_lo
	v_add_co_ci_u32_e32 v18, vcc_lo, 0, v18, vcc_lo
	s_delay_alu instid0(VALU_DEP_2)
	v_lshrrev_b32_e32 v22, v113, v22
; %bb.3384:                             ;   in Loop: Header=BB4_3272 Depth=2
	s_and_not1_saveexec_b32 s7, s7
; %bb.3385:                             ;   in Loop: Header=BB4_3272 Depth=2
	s_delay_alu instid0(VALU_DEP_1)
	v_bfe_u32 v18, v22, 23, 1
; %bb.3386:                             ;   in Loop: Header=BB4_3272 Depth=2
	s_or_b32 exec_lo, exec_lo, s7
	v_lshrrev_b32_e32 v22, 20, v22
	s_delay_alu instid0(VALU_DEP_2) | instskip(SKIP_2) | instid1(VALU_DEP_2)
	v_cmp_gt_i32_e32 vcc_lo, 16, v18
	v_lshrrev_b32_e32 v113, 24, v115
	v_min_i32_e32 v114, 15, v18
	v_dual_cndmask_b32 v22, 7, v22 :: v_dual_and_b32 v113, 0x80, v113
	s_delay_alu instid0(VALU_DEP_2) | instskip(NEXT) | instid1(VALU_DEP_2)
	v_lshlrev_b32_e32 v114, 3, v114
	v_and_b32_e32 v115, 7, v22
	v_or_b32_e32 v18, v18, v22
	s_delay_alu instid0(VALU_DEP_2) | instskip(NEXT) | instid1(VALU_DEP_2)
	v_or3_b32 v22, v114, v113, v115
	v_cmp_ne_u32_e32 vcc_lo, 0, v18
	s_delay_alu instid0(VALU_DEP_2)
	v_cndmask_b32_e32 v18, 0, v22, vcc_lo
.LBB4_3387:                             ;   in Loop: Header=BB4_3272 Depth=2
	s_or_b32 exec_lo, exec_lo, s25
.LBB4_3388:                             ;   in Loop: Header=BB4_3272 Depth=2
	s_delay_alu instid0(SALU_CYCLE_1) | instskip(NEXT) | instid1(SALU_CYCLE_1)
	s_or_b32 exec_lo, exec_lo, s24
	s_and_b32 vcc_lo, exec_lo, s23
	s_cbranch_vccz .LBB4_3398
; %bb.3389:                             ;   in Loop: Header=BB4_3272 Depth=2
	v_and_b32_e32 v113, 0xff, v23
	s_mov_b32 s7, 0
	s_mov_b32 s25, exec_lo
                                        ; implicit-def: $sgpr24
	s_delay_alu instid0(VALU_DEP_1)
	v_cmpx_lt_i16_e32 0x7f, v113
	s_xor_b32 s25, exec_lo, s25
	s_cbranch_execnz .LBB4_4262
; %bb.3390:                             ;   in Loop: Header=BB4_3272 Depth=2
	s_or_saveexec_b32 s25, s25
	v_mov_b32_e32 v22, s24
	s_xor_b32 exec_lo, exec_lo, s25
	s_cbranch_execnz .LBB4_4265
.LBB4_3391:                             ;   in Loop: Header=BB4_3272 Depth=2
	s_or_b32 exec_lo, exec_lo, s25
	s_and_saveexec_b32 s24, s7
	s_cbranch_execz .LBB4_3393
.LBB4_3392:                             ;   in Loop: Header=BB4_3272 Depth=2
	v_bfe_u32 v115, v23, 3, 4
	v_lshlrev_b32_e32 v116, 24, v23
	s_delay_alu instid0(VALU_DEP_2) | instskip(SKIP_1) | instid1(VALU_DEP_1)
	v_cmp_eq_u32_e32 vcc_lo, 0, v115
	v_and_b32_e32 v22, 7, v23
	v_clz_i32_u32_e32 v113, v22
	s_delay_alu instid0(VALU_DEP_1) | instskip(NEXT) | instid1(VALU_DEP_1)
	v_min_u32_e32 v113, 32, v113
	v_subrev_nc_u32_e32 v114, 28, v113
	v_sub_nc_u32_e32 v113, 29, v113
	s_delay_alu instid0(VALU_DEP_1) | instskip(NEXT) | instid1(VALU_DEP_1)
	v_dual_cndmask_b32 v113, v115, v113 :: v_dual_lshlrev_b32 v114, v114, v23
	v_and_b32_e32 v114, 7, v114
	s_delay_alu instid0(VALU_DEP_2) | instskip(NEXT) | instid1(VALU_DEP_2)
	v_lshl_add_u32 v113, v113, 23, 0x3b800000
	v_cndmask_b32_e32 v22, v22, v114, vcc_lo
	v_and_b32_e32 v114, 0x80000000, v116
	s_delay_alu instid0(VALU_DEP_2) | instskip(NEXT) | instid1(VALU_DEP_1)
	v_lshlrev_b32_e32 v22, 20, v22
	v_or3_b32 v22, v114, v113, v22
.LBB4_3393:                             ;   in Loop: Header=BB4_3272 Depth=2
	s_or_b32 exec_lo, exec_lo, s24
	v_and_b32_e32 v114, 0xff, v19
	s_mov_b32 s7, 0
	s_mov_b32 s25, exec_lo
                                        ; implicit-def: $sgpr24
	s_delay_alu instid0(VALU_DEP_1)
	v_cmpx_lt_i16_e32 0x7f, v114
	s_xor_b32 s25, exec_lo, s25
	s_cbranch_execnz .LBB4_4266
; %bb.3394:                             ;   in Loop: Header=BB4_3272 Depth=2
	s_or_saveexec_b32 s25, s25
	v_mov_b32_e32 v113, s24
	s_xor_b32 exec_lo, exec_lo, s25
	s_cbranch_execnz .LBB4_4269
.LBB4_3395:                             ;   in Loop: Header=BB4_3272 Depth=2
	s_or_b32 exec_lo, exec_lo, s25
	s_and_saveexec_b32 s24, s7
	s_cbranch_execz .LBB4_3397
.LBB4_3396:                             ;   in Loop: Header=BB4_3272 Depth=2
	v_bfe_u32 v116, v19, 3, 4
	v_lshlrev_b32_e32 v117, 24, v19
	s_delay_alu instid0(VALU_DEP_2) | instskip(SKIP_1) | instid1(VALU_DEP_1)
	v_cmp_eq_u32_e32 vcc_lo, 0, v116
	v_and_b32_e32 v113, 7, v19
	v_clz_i32_u32_e32 v114, v113
	s_delay_alu instid0(VALU_DEP_1) | instskip(NEXT) | instid1(VALU_DEP_1)
	v_min_u32_e32 v114, 32, v114
	v_subrev_nc_u32_e32 v115, 28, v114
	v_sub_nc_u32_e32 v114, 29, v114
	s_delay_alu instid0(VALU_DEP_1) | instskip(NEXT) | instid1(VALU_DEP_1)
	v_dual_cndmask_b32 v114, v116, v114 :: v_dual_lshlrev_b32 v115, v115, v19
	v_and_b32_e32 v115, 7, v115
	s_delay_alu instid0(VALU_DEP_2) | instskip(NEXT) | instid1(VALU_DEP_2)
	v_lshl_add_u32 v114, v114, 23, 0x3b800000
	v_cndmask_b32_e32 v113, v113, v115, vcc_lo
	v_and_b32_e32 v115, 0x80000000, v117
	s_delay_alu instid0(VALU_DEP_2) | instskip(NEXT) | instid1(VALU_DEP_1)
	v_lshlrev_b32_e32 v113, 20, v113
	v_or3_b32 v113, v115, v114, v113
.LBB4_3397:                             ;   in Loop: Header=BB4_3272 Depth=2
	s_or_b32 exec_lo, exec_lo, s24
	s_delay_alu instid0(VALU_DEP_1) | instskip(SKIP_1) | instid1(VALU_DEP_1)
	v_dual_max_f32 v113, v113, v113 :: v_dual_max_f32 v22, v22, v22
	s_mov_b32 s7, 0
	v_max_f32_e32 v113, v22, v113
	s_branch .LBB4_3399
.LBB4_3398:                             ;   in Loop: Header=BB4_3272 Depth=2
	s_mov_b32 s7, -1
                                        ; implicit-def: $vgpr113
.LBB4_3399:                             ;   in Loop: Header=BB4_3272 Depth=2
	s_delay_alu instid0(SALU_CYCLE_1)
	s_and_b32 vcc_lo, exec_lo, s7
	s_cbranch_vccz .LBB4_3409
; %bb.3400:                             ;   in Loop: Header=BB4_3272 Depth=2
	v_and_b32_e32 v113, 0xff, v23
	s_mov_b32 s7, 0
	s_mov_b32 s25, exec_lo
                                        ; implicit-def: $sgpr24
	s_delay_alu instid0(VALU_DEP_1)
	v_cmpx_lt_i16_e32 0x7f, v113
	s_xor_b32 s25, exec_lo, s25
	s_cbranch_execnz .LBB4_4270
; %bb.3401:                             ;   in Loop: Header=BB4_3272 Depth=2
	s_or_saveexec_b32 s25, s25
	v_mov_b32_e32 v22, s24
	s_xor_b32 exec_lo, exec_lo, s25
	s_cbranch_execnz .LBB4_4273
.LBB4_3402:                             ;   in Loop: Header=BB4_3272 Depth=2
	s_or_b32 exec_lo, exec_lo, s25
	s_and_saveexec_b32 s24, s7
	s_cbranch_execz .LBB4_3404
.LBB4_3403:                             ;   in Loop: Header=BB4_3272 Depth=2
	v_bfe_u32 v115, v23, 3, 4
	v_lshlrev_b32_e32 v116, 24, v23
	s_delay_alu instid0(VALU_DEP_2) | instskip(SKIP_1) | instid1(VALU_DEP_1)
	v_cmp_eq_u32_e32 vcc_lo, 0, v115
	v_and_b32_e32 v22, 7, v23
	v_clz_i32_u32_e32 v113, v22
	s_delay_alu instid0(VALU_DEP_1) | instskip(NEXT) | instid1(VALU_DEP_1)
	v_min_u32_e32 v113, 32, v113
	v_subrev_nc_u32_e32 v114, 28, v113
	v_sub_nc_u32_e32 v113, 29, v113
	s_delay_alu instid0(VALU_DEP_1) | instskip(NEXT) | instid1(VALU_DEP_1)
	v_dual_cndmask_b32 v113, v115, v113 :: v_dual_lshlrev_b32 v114, v114, v23
	v_and_b32_e32 v114, 7, v114
	s_delay_alu instid0(VALU_DEP_2) | instskip(NEXT) | instid1(VALU_DEP_2)
	v_lshl_add_u32 v113, v113, 23, 0x3b800000
	v_cndmask_b32_e32 v22, v22, v114, vcc_lo
	v_and_b32_e32 v114, 0x80000000, v116
	s_delay_alu instid0(VALU_DEP_2) | instskip(NEXT) | instid1(VALU_DEP_1)
	v_lshlrev_b32_e32 v22, 20, v22
	v_or3_b32 v22, v114, v113, v22
.LBB4_3404:                             ;   in Loop: Header=BB4_3272 Depth=2
	s_or_b32 exec_lo, exec_lo, s24
	v_and_b32_e32 v114, 0xff, v19
	s_mov_b32 s7, 0
	s_mov_b32 s25, exec_lo
                                        ; implicit-def: $sgpr24
	s_delay_alu instid0(VALU_DEP_1)
	v_cmpx_lt_i16_e32 0x7f, v114
	s_xor_b32 s25, exec_lo, s25
	s_cbranch_execnz .LBB4_4274
; %bb.3405:                             ;   in Loop: Header=BB4_3272 Depth=2
	s_or_saveexec_b32 s25, s25
	v_mov_b32_e32 v113, s24
	s_xor_b32 exec_lo, exec_lo, s25
	s_cbranch_execnz .LBB4_4277
.LBB4_3406:                             ;   in Loop: Header=BB4_3272 Depth=2
	s_or_b32 exec_lo, exec_lo, s25
	s_and_saveexec_b32 s24, s7
	s_cbranch_execz .LBB4_3408
.LBB4_3407:                             ;   in Loop: Header=BB4_3272 Depth=2
	v_bfe_u32 v116, v19, 3, 4
	v_lshlrev_b32_e32 v117, 24, v19
	s_delay_alu instid0(VALU_DEP_2) | instskip(SKIP_1) | instid1(VALU_DEP_1)
	v_cmp_eq_u32_e32 vcc_lo, 0, v116
	v_and_b32_e32 v113, 7, v19
	v_clz_i32_u32_e32 v114, v113
	s_delay_alu instid0(VALU_DEP_1) | instskip(NEXT) | instid1(VALU_DEP_1)
	v_min_u32_e32 v114, 32, v114
	v_subrev_nc_u32_e32 v115, 28, v114
	v_sub_nc_u32_e32 v114, 29, v114
	s_delay_alu instid0(VALU_DEP_1) | instskip(NEXT) | instid1(VALU_DEP_1)
	v_dual_cndmask_b32 v114, v116, v114 :: v_dual_lshlrev_b32 v115, v115, v19
	v_and_b32_e32 v115, 7, v115
	s_delay_alu instid0(VALU_DEP_2) | instskip(NEXT) | instid1(VALU_DEP_2)
	v_lshl_add_u32 v114, v114, 23, 0x3b800000
	v_cndmask_b32_e32 v113, v113, v115, vcc_lo
	v_and_b32_e32 v115, 0x80000000, v117
	s_delay_alu instid0(VALU_DEP_2) | instskip(NEXT) | instid1(VALU_DEP_1)
	v_lshlrev_b32_e32 v113, 20, v113
	v_or3_b32 v113, v115, v114, v113
.LBB4_3408:                             ;   in Loop: Header=BB4_3272 Depth=2
	s_or_b32 exec_lo, exec_lo, s24
	s_delay_alu instid0(VALU_DEP_1) | instskip(NEXT) | instid1(VALU_DEP_1)
	v_dual_max_f32 v113, v113, v113 :: v_dual_max_f32 v22, v22, v22
	v_min_f32_e32 v113, v22, v113
.LBB4_3409:                             ;   in Loop: Header=BB4_3272 Depth=2
	s_delay_alu instid0(VALU_DEP_1) | instskip(NEXT) | instid1(VALU_DEP_1)
	v_and_b32_e32 v22, 0x7f800000, v113
	v_cmp_ne_u32_e32 vcc_lo, 0x7f800000, v22
	v_mov_b32_e32 v22, 0x80
	s_and_saveexec_b32 s24, vcc_lo
	s_cbranch_execz .LBB4_3417
; %bb.3410:                             ;   in Loop: Header=BB4_3272 Depth=2
	v_mov_b32_e32 v22, 0
	s_mov_b32 s25, exec_lo
	v_cmpx_ne_u32_e32 0, v113
	s_cbranch_execz .LBB4_3416
; %bb.3411:                             ;   in Loop: Header=BB4_3272 Depth=2
	v_bfe_u32 v22, v113, 23, 8
	s_delay_alu instid0(VALU_DEP_1) | instskip(SKIP_1) | instid1(VALU_DEP_2)
	v_sub_nc_u32_e32 v115, 0x78, v22
	v_cmp_gt_u32_e32 vcc_lo, 0x79, v22
	v_dual_cndmask_b32 v115, 0, v115 :: v_dual_and_b32 v114, 0x7fffff, v113
	s_delay_alu instid0(VALU_DEP_1) | instskip(SKIP_2) | instid1(VALU_DEP_4)
	v_or_b32_e32 v116, 0x800000, v114
	v_cmp_eq_u32_e32 vcc_lo, 0, v22
	v_add_nc_u32_e32 v22, 0xffffff89, v22
	v_cndmask_b32_e64 v115, v115, 0x77, vcc_lo
	s_delay_alu instid0(VALU_DEP_4) | instskip(NEXT) | instid1(VALU_DEP_3)
	v_cndmask_b32_e32 v114, v116, v114, vcc_lo
	v_cndmask_b32_e64 v22, v22, 0xffffff8a, vcc_lo
	s_delay_alu instid0(VALU_DEP_3) | instskip(NEXT) | instid1(VALU_DEP_3)
	v_lshl_add_u32 v116, 0x100000, v115, -1
	v_lshrrev_b32_e32 v117, v115, v114
	v_lshlrev_b32_e64 v119, v115, 0x80000
	s_delay_alu instid0(VALU_DEP_4) | instskip(NEXT) | instid1(VALU_DEP_4)
	v_add_nc_u32_e32 v115, v115, v22
	v_and_b32_e32 v114, v116, v114
	s_delay_alu instid0(VALU_DEP_4) | instskip(NEXT) | instid1(VALU_DEP_2)
	v_bfe_u32 v118, v117, 20, 1
	v_cmp_eq_u32_e64 s7, v114, v119
	s_delay_alu instid0(VALU_DEP_2) | instskip(NEXT) | instid1(VALU_DEP_1)
	v_add_nc_u32_e32 v116, -1, v118
	v_cndmask_b32_e64 v114, 0, v116, s7
	v_lshrrev_b32_e32 v116, 23, v117
	s_mov_b32 s7, exec_lo
	s_delay_alu instid0(VALU_DEP_2) | instskip(NEXT) | instid1(VALU_DEP_2)
	v_add_nc_u32_e32 v114, v114, v117
	v_xor_b32_e32 v116, 1, v116
	s_delay_alu instid0(VALU_DEP_2) | instskip(NEXT) | instid1(VALU_DEP_1)
	v_and_b32_e32 v22, 0xfffff, v114
	v_add_nc_u32_e32 v114, v22, v117
                                        ; implicit-def: $vgpr22
	s_delay_alu instid0(VALU_DEP_3)
	v_cmpx_ne_u32_e64 v115, v116
	s_xor_b32 s7, exec_lo, s7
; %bb.3412:                             ;   in Loop: Header=BB4_3272 Depth=2
	s_delay_alu instid0(VALU_DEP_2) | instskip(SKIP_2) | instid1(VALU_DEP_2)
	v_cmp_lt_u32_e32 vcc_lo, 0xffffff, v114
	v_sub_nc_u32_e32 v22, v115, v116
	v_cndmask_b32_e64 v115, 0, 1, vcc_lo
	v_add_co_ci_u32_e32 v22, vcc_lo, 0, v22, vcc_lo
	s_delay_alu instid0(VALU_DEP_2)
	v_lshrrev_b32_e32 v114, v115, v114
; %bb.3413:                             ;   in Loop: Header=BB4_3272 Depth=2
	s_and_not1_saveexec_b32 s7, s7
; %bb.3414:                             ;   in Loop: Header=BB4_3272 Depth=2
	s_delay_alu instid0(VALU_DEP_1)
	v_bfe_u32 v22, v114, 23, 1
; %bb.3415:                             ;   in Loop: Header=BB4_3272 Depth=2
	s_or_b32 exec_lo, exec_lo, s7
	v_lshrrev_b32_e32 v114, 20, v114
	s_delay_alu instid0(VALU_DEP_2) | instskip(SKIP_2) | instid1(VALU_DEP_2)
	v_cmp_gt_i32_e32 vcc_lo, 16, v22
	v_lshrrev_b32_e32 v113, 24, v113
	v_min_i32_e32 v115, 15, v22
	v_dual_cndmask_b32 v114, 7, v114 :: v_dual_and_b32 v113, 0x80, v113
	s_delay_alu instid0(VALU_DEP_1) | instskip(SKIP_1) | instid1(VALU_DEP_2)
	v_or_b32_e32 v22, v22, v114
	v_and_b32_e32 v116, 7, v114
	v_cmp_ne_u32_e32 vcc_lo, 0, v22
	v_lshlrev_b32_e32 v115, 3, v115
	s_delay_alu instid0(VALU_DEP_1) | instskip(NEXT) | instid1(VALU_DEP_1)
	v_or3_b32 v113, v115, v113, v116
	v_cndmask_b32_e32 v22, 0, v113, vcc_lo
.LBB4_3416:                             ;   in Loop: Header=BB4_3272 Depth=2
	s_or_b32 exec_lo, exec_lo, s25
.LBB4_3417:                             ;   in Loop: Header=BB4_3272 Depth=2
	s_delay_alu instid0(SALU_CYCLE_1)
	s_or_b32 exec_lo, exec_lo, s24
	v_lshrrev_b16 v114, 8, v23
	v_lshrrev_b16 v113, 8, v19
	s_and_b32 vcc_lo, exec_lo, s23
	s_cbranch_vccz .LBB4_3427
; %bb.3418:                             ;   in Loop: Header=BB4_3272 Depth=2
	s_mov_b32 s7, 0
	s_mov_b32 s25, exec_lo
                                        ; implicit-def: $sgpr24
	v_cmpx_lt_i16_e32 0x7f, v114
	s_xor_b32 s25, exec_lo, s25
	s_cbranch_execnz .LBB4_4278
; %bb.3419:                             ;   in Loop: Header=BB4_3272 Depth=2
	s_or_saveexec_b32 s25, s25
	v_mov_b32_e32 v115, s24
	s_xor_b32 exec_lo, exec_lo, s25
	s_cbranch_execnz .LBB4_4281
.LBB4_3420:                             ;   in Loop: Header=BB4_3272 Depth=2
	s_or_b32 exec_lo, exec_lo, s25
	s_and_saveexec_b32 s24, s7
	s_cbranch_execz .LBB4_3422
.LBB4_3421:                             ;   in Loop: Header=BB4_3272 Depth=2
	v_and_b32_e32 v115, 0xffff, v114
	s_delay_alu instid0(VALU_DEP_1) | instskip(NEXT) | instid1(VALU_DEP_1)
	v_and_b32_e32 v116, 7, v115
	v_clz_i32_u32_e32 v117, v116
	s_delay_alu instid0(VALU_DEP_1) | instskip(NEXT) | instid1(VALU_DEP_1)
	v_min_u32_e32 v117, 32, v117
	v_subrev_nc_u32_e32 v118, 28, v117
	v_sub_nc_u32_e32 v117, 29, v117
	s_delay_alu instid0(VALU_DEP_2) | instskip(SKIP_1) | instid1(VALU_DEP_2)
	v_lshlrev_b32_e32 v118, v118, v115
	v_bfe_u32 v115, v115, 3, 4
	v_and_b32_e32 v118, 7, v118
	s_delay_alu instid0(VALU_DEP_2) | instskip(SKIP_1) | instid1(VALU_DEP_3)
	v_cmp_eq_u32_e32 vcc_lo, 0, v115
	v_cndmask_b32_e32 v115, v115, v117, vcc_lo
	v_dual_cndmask_b32 v116, v116, v118 :: v_dual_lshlrev_b32 v119, 16, v23
	s_delay_alu instid0(VALU_DEP_2) | instskip(NEXT) | instid1(VALU_DEP_2)
	v_lshl_add_u32 v115, v115, 23, 0x3b800000
	v_and_b32_e32 v117, 0x80000000, v119
	s_delay_alu instid0(VALU_DEP_3) | instskip(NEXT) | instid1(VALU_DEP_1)
	v_lshlrev_b32_e32 v116, 20, v116
	v_or3_b32 v115, v117, v115, v116
.LBB4_3422:                             ;   in Loop: Header=BB4_3272 Depth=2
	s_or_b32 exec_lo, exec_lo, s24
	s_mov_b32 s7, 0
	s_mov_b32 s25, exec_lo
                                        ; implicit-def: $sgpr24
	v_cmpx_lt_i16_e32 0x7f, v113
	s_xor_b32 s25, exec_lo, s25
	s_cbranch_execnz .LBB4_4282
; %bb.3423:                             ;   in Loop: Header=BB4_3272 Depth=2
	s_or_saveexec_b32 s25, s25
	v_mov_b32_e32 v116, s24
	s_xor_b32 exec_lo, exec_lo, s25
	s_cbranch_execnz .LBB4_4285
.LBB4_3424:                             ;   in Loop: Header=BB4_3272 Depth=2
	s_or_b32 exec_lo, exec_lo, s25
	s_and_saveexec_b32 s24, s7
	s_cbranch_execz .LBB4_3426
.LBB4_3425:                             ;   in Loop: Header=BB4_3272 Depth=2
	v_and_b32_e32 v116, 0xffff, v113
	v_lshlrev_b32_e32 v128, 16, v19
	s_delay_alu instid0(VALU_DEP_2) | instskip(NEXT) | instid1(VALU_DEP_1)
	v_and_b32_e32 v117, 7, v116
	v_clz_i32_u32_e32 v118, v117
	s_delay_alu instid0(VALU_DEP_1) | instskip(NEXT) | instid1(VALU_DEP_1)
	v_min_u32_e32 v118, 32, v118
	v_subrev_nc_u32_e32 v119, 28, v118
	v_sub_nc_u32_e32 v118, 29, v118
	s_delay_alu instid0(VALU_DEP_2) | instskip(SKIP_1) | instid1(VALU_DEP_2)
	v_lshlrev_b32_e32 v119, v119, v116
	v_bfe_u32 v116, v116, 3, 4
	v_and_b32_e32 v119, 7, v119
	s_delay_alu instid0(VALU_DEP_2) | instskip(NEXT) | instid1(VALU_DEP_2)
	v_cmp_eq_u32_e32 vcc_lo, 0, v116
	v_dual_cndmask_b32 v116, v116, v118 :: v_dual_cndmask_b32 v117, v117, v119
	v_and_b32_e32 v118, 0x80000000, v128
	s_delay_alu instid0(VALU_DEP_2) | instskip(NEXT) | instid1(VALU_DEP_3)
	v_lshl_add_u32 v116, v116, 23, 0x3b800000
	v_lshlrev_b32_e32 v117, 20, v117
	s_delay_alu instid0(VALU_DEP_1)
	v_or3_b32 v116, v118, v116, v117
.LBB4_3426:                             ;   in Loop: Header=BB4_3272 Depth=2
	s_or_b32 exec_lo, exec_lo, s24
	s_delay_alu instid0(VALU_DEP_1) | instskip(SKIP_1) | instid1(VALU_DEP_1)
	v_dual_max_f32 v116, v116, v116 :: v_dual_max_f32 v115, v115, v115
	s_mov_b32 s7, 0
	v_max_f32_e32 v115, v115, v116
	s_branch .LBB4_3428
.LBB4_3427:                             ;   in Loop: Header=BB4_3272 Depth=2
	s_mov_b32 s7, -1
                                        ; implicit-def: $vgpr115
.LBB4_3428:                             ;   in Loop: Header=BB4_3272 Depth=2
	s_delay_alu instid0(SALU_CYCLE_1)
	s_and_b32 vcc_lo, exec_lo, s7
	s_cbranch_vccz .LBB4_3438
; %bb.3429:                             ;   in Loop: Header=BB4_3272 Depth=2
	s_mov_b32 s7, 0
	s_mov_b32 s25, exec_lo
                                        ; implicit-def: $sgpr24
	v_cmpx_lt_i16_e32 0x7f, v114
	s_xor_b32 s25, exec_lo, s25
	s_cbranch_execnz .LBB4_4286
; %bb.3430:                             ;   in Loop: Header=BB4_3272 Depth=2
	s_or_saveexec_b32 s25, s25
	v_mov_b32_e32 v115, s24
	s_xor_b32 exec_lo, exec_lo, s25
	s_cbranch_execnz .LBB4_4289
.LBB4_3431:                             ;   in Loop: Header=BB4_3272 Depth=2
	s_or_b32 exec_lo, exec_lo, s25
	s_and_saveexec_b32 s24, s7
	s_cbranch_execz .LBB4_3433
.LBB4_3432:                             ;   in Loop: Header=BB4_3272 Depth=2
	v_and_b32_e32 v114, 0xffff, v114
	v_lshlrev_b32_e32 v118, 16, v23
	s_delay_alu instid0(VALU_DEP_2) | instskip(NEXT) | instid1(VALU_DEP_1)
	v_and_b32_e32 v115, 7, v114
	v_clz_i32_u32_e32 v116, v115
	s_delay_alu instid0(VALU_DEP_1) | instskip(NEXT) | instid1(VALU_DEP_1)
	v_min_u32_e32 v116, 32, v116
	v_subrev_nc_u32_e32 v117, 28, v116
	v_sub_nc_u32_e32 v116, 29, v116
	s_delay_alu instid0(VALU_DEP_2) | instskip(SKIP_1) | instid1(VALU_DEP_2)
	v_lshlrev_b32_e32 v117, v117, v114
	v_bfe_u32 v114, v114, 3, 4
	v_and_b32_e32 v117, 7, v117
	s_delay_alu instid0(VALU_DEP_2) | instskip(NEXT) | instid1(VALU_DEP_2)
	v_cmp_eq_u32_e32 vcc_lo, 0, v114
	v_dual_cndmask_b32 v114, v114, v116 :: v_dual_cndmask_b32 v115, v115, v117
	v_and_b32_e32 v116, 0x80000000, v118
	s_delay_alu instid0(VALU_DEP_2) | instskip(NEXT) | instid1(VALU_DEP_3)
	v_lshl_add_u32 v114, v114, 23, 0x3b800000
	v_lshlrev_b32_e32 v115, 20, v115
	s_delay_alu instid0(VALU_DEP_1)
	v_or3_b32 v115, v116, v114, v115
.LBB4_3433:                             ;   in Loop: Header=BB4_3272 Depth=2
	s_or_b32 exec_lo, exec_lo, s24
	s_mov_b32 s7, 0
	s_mov_b32 s25, exec_lo
                                        ; implicit-def: $sgpr24
	v_cmpx_lt_i16_e32 0x7f, v113
	s_xor_b32 s25, exec_lo, s25
	s_cbranch_execnz .LBB4_4290
; %bb.3434:                             ;   in Loop: Header=BB4_3272 Depth=2
	s_or_saveexec_b32 s25, s25
	v_mov_b32_e32 v114, s24
	s_xor_b32 exec_lo, exec_lo, s25
	s_cbranch_execnz .LBB4_4293
.LBB4_3435:                             ;   in Loop: Header=BB4_3272 Depth=2
	s_or_b32 exec_lo, exec_lo, s25
	s_and_saveexec_b32 s24, s7
	s_cbranch_execz .LBB4_3437
.LBB4_3436:                             ;   in Loop: Header=BB4_3272 Depth=2
	v_and_b32_e32 v113, 0xffff, v113
	v_lshlrev_b32_e32 v118, 16, v19
	s_delay_alu instid0(VALU_DEP_2) | instskip(NEXT) | instid1(VALU_DEP_1)
	v_and_b32_e32 v114, 7, v113
	v_clz_i32_u32_e32 v116, v114
	s_delay_alu instid0(VALU_DEP_1) | instskip(NEXT) | instid1(VALU_DEP_1)
	v_min_u32_e32 v116, 32, v116
	v_subrev_nc_u32_e32 v117, 28, v116
	v_sub_nc_u32_e32 v116, 29, v116
	s_delay_alu instid0(VALU_DEP_2) | instskip(SKIP_1) | instid1(VALU_DEP_2)
	v_lshlrev_b32_e32 v117, v117, v113
	v_bfe_u32 v113, v113, 3, 4
	v_and_b32_e32 v117, 7, v117
	s_delay_alu instid0(VALU_DEP_2) | instskip(NEXT) | instid1(VALU_DEP_2)
	v_cmp_eq_u32_e32 vcc_lo, 0, v113
	v_dual_cndmask_b32 v113, v113, v116 :: v_dual_cndmask_b32 v114, v114, v117
	v_and_b32_e32 v116, 0x80000000, v118
	s_delay_alu instid0(VALU_DEP_2) | instskip(NEXT) | instid1(VALU_DEP_3)
	v_lshl_add_u32 v113, v113, 23, 0x3b800000
	v_lshlrev_b32_e32 v114, 20, v114
	s_delay_alu instid0(VALU_DEP_1)
	v_or3_b32 v114, v116, v113, v114
.LBB4_3437:                             ;   in Loop: Header=BB4_3272 Depth=2
	s_or_b32 exec_lo, exec_lo, s24
	s_delay_alu instid0(VALU_DEP_1) | instskip(NEXT) | instid1(VALU_DEP_1)
	v_dual_max_f32 v113, v114, v114 :: v_dual_max_f32 v114, v115, v115
	v_min_f32_e32 v115, v114, v113
.LBB4_3438:                             ;   in Loop: Header=BB4_3272 Depth=2
	s_delay_alu instid0(VALU_DEP_1) | instskip(NEXT) | instid1(VALU_DEP_1)
	v_and_b32_e32 v113, 0x7f800000, v115
	v_cmp_ne_u32_e32 vcc_lo, 0x7f800000, v113
	v_mov_b32_e32 v113, 0x80
	s_and_saveexec_b32 s24, vcc_lo
	s_cbranch_execz .LBB4_3446
; %bb.3439:                             ;   in Loop: Header=BB4_3272 Depth=2
	v_mov_b32_e32 v113, 0
	s_mov_b32 s25, exec_lo
	v_cmpx_ne_u32_e32 0, v115
	s_cbranch_execz .LBB4_3445
; %bb.3440:                             ;   in Loop: Header=BB4_3272 Depth=2
	v_bfe_u32 v113, v115, 23, 8
	v_and_b32_e32 v114, 0x7fffff, v115
	s_delay_alu instid0(VALU_DEP_2) | instskip(SKIP_1) | instid1(VALU_DEP_3)
	v_sub_nc_u32_e32 v116, 0x78, v113
	v_cmp_gt_u32_e32 vcc_lo, 0x79, v113
	v_or_b32_e32 v117, 0x800000, v114
	s_delay_alu instid0(VALU_DEP_3) | instskip(SKIP_2) | instid1(VALU_DEP_3)
	v_cndmask_b32_e32 v116, 0, v116, vcc_lo
	v_cmp_eq_u32_e32 vcc_lo, 0, v113
	v_add_nc_u32_e32 v113, 0xffffff89, v113
	v_cndmask_b32_e64 v116, v116, 0x77, vcc_lo
	v_cndmask_b32_e32 v114, v117, v114, vcc_lo
	s_delay_alu instid0(VALU_DEP_3) | instskip(NEXT) | instid1(VALU_DEP_3)
	v_cndmask_b32_e64 v113, v113, 0xffffff8a, vcc_lo
	v_lshl_add_u32 v117, 0x100000, v116, -1
	s_delay_alu instid0(VALU_DEP_3) | instskip(SKIP_1) | instid1(VALU_DEP_4)
	v_lshrrev_b32_e32 v118, v116, v114
	v_lshlrev_b32_e64 v128, v116, 0x80000
	v_add_nc_u32_e32 v116, v116, v113
	s_delay_alu instid0(VALU_DEP_4) | instskip(NEXT) | instid1(VALU_DEP_4)
	v_and_b32_e32 v114, v117, v114
	v_bfe_u32 v119, v118, 20, 1
	s_delay_alu instid0(VALU_DEP_2) | instskip(NEXT) | instid1(VALU_DEP_2)
	v_cmp_eq_u32_e64 s7, v114, v128
	v_add_nc_u32_e32 v117, -1, v119
	s_delay_alu instid0(VALU_DEP_1) | instskip(SKIP_2) | instid1(VALU_DEP_2)
	v_cndmask_b32_e64 v114, 0, v117, s7
	v_lshrrev_b32_e32 v117, 23, v118
	s_mov_b32 s7, exec_lo
	v_add_nc_u32_e32 v114, v114, v118
	s_delay_alu instid0(VALU_DEP_2) | instskip(NEXT) | instid1(VALU_DEP_2)
	v_xor_b32_e32 v117, 1, v117
	v_and_b32_e32 v113, 0xfffff, v114
	s_delay_alu instid0(VALU_DEP_1) | instskip(NEXT) | instid1(VALU_DEP_3)
	v_add_nc_u32_e32 v114, v113, v118
                                        ; implicit-def: $vgpr113
	v_cmpx_ne_u32_e64 v116, v117
	s_xor_b32 s7, exec_lo, s7
; %bb.3441:                             ;   in Loop: Header=BB4_3272 Depth=2
	s_delay_alu instid0(VALU_DEP_2) | instskip(SKIP_2) | instid1(VALU_DEP_2)
	v_cmp_lt_u32_e32 vcc_lo, 0xffffff, v114
	v_sub_nc_u32_e32 v113, v116, v117
	v_cndmask_b32_e64 v116, 0, 1, vcc_lo
	v_add_co_ci_u32_e32 v113, vcc_lo, 0, v113, vcc_lo
	s_delay_alu instid0(VALU_DEP_2)
	v_lshrrev_b32_e32 v114, v116, v114
; %bb.3442:                             ;   in Loop: Header=BB4_3272 Depth=2
	s_and_not1_saveexec_b32 s7, s7
; %bb.3443:                             ;   in Loop: Header=BB4_3272 Depth=2
	s_delay_alu instid0(VALU_DEP_1)
	v_bfe_u32 v113, v114, 23, 1
; %bb.3444:                             ;   in Loop: Header=BB4_3272 Depth=2
	s_or_b32 exec_lo, exec_lo, s7
	v_lshrrev_b32_e32 v114, 20, v114
	s_delay_alu instid0(VALU_DEP_2) | instskip(SKIP_2) | instid1(VALU_DEP_2)
	v_cmp_gt_i32_e32 vcc_lo, 16, v113
	v_lshrrev_b32_e32 v115, 24, v115
	v_min_i32_e32 v116, 15, v113
	v_dual_cndmask_b32 v114, 7, v114 :: v_dual_and_b32 v115, 0x80, v115
	s_delay_alu instid0(VALU_DEP_1) | instskip(SKIP_1) | instid1(VALU_DEP_2)
	v_or_b32_e32 v113, v113, v114
	v_and_b32_e32 v117, 7, v114
	v_cmp_ne_u32_e32 vcc_lo, 0, v113
	v_lshlrev_b32_e32 v116, 3, v116
	s_delay_alu instid0(VALU_DEP_1) | instskip(NEXT) | instid1(VALU_DEP_1)
	v_or3_b32 v114, v116, v115, v117
	v_cndmask_b32_e32 v113, 0, v114, vcc_lo
.LBB4_3445:                             ;   in Loop: Header=BB4_3272 Depth=2
	s_or_b32 exec_lo, exec_lo, s25
.LBB4_3446:                             ;   in Loop: Header=BB4_3272 Depth=2
	s_delay_alu instid0(SALU_CYCLE_1)
	s_or_b32 exec_lo, exec_lo, s24
	v_lshrrev_b32_e32 v115, 16, v23
	v_lshrrev_b32_e32 v114, 16, v19
	s_and_b32 vcc_lo, exec_lo, s23
	s_cbranch_vccz .LBB4_3456
; %bb.3447:                             ;   in Loop: Header=BB4_3272 Depth=2
	s_delay_alu instid0(VALU_DEP_2) | instskip(SKIP_2) | instid1(VALU_DEP_1)
	v_and_b32_e32 v117, 0xff, v115
	s_mov_b32 s7, 0
	s_mov_b32 s25, exec_lo
                                        ; implicit-def: $sgpr24
	v_cmpx_lt_i16_e32 0x7f, v117
	s_xor_b32 s25, exec_lo, s25
	s_cbranch_execnz .LBB4_4294
; %bb.3448:                             ;   in Loop: Header=BB4_3272 Depth=2
	s_or_saveexec_b32 s25, s25
	v_mov_b32_e32 v116, s24
	s_xor_b32 exec_lo, exec_lo, s25
	s_cbranch_execnz .LBB4_4297
.LBB4_3449:                             ;   in Loop: Header=BB4_3272 Depth=2
	s_or_b32 exec_lo, exec_lo, s25
	s_and_saveexec_b32 s24, s7
	s_cbranch_execz .LBB4_3451
.LBB4_3450:                             ;   in Loop: Header=BB4_3272 Depth=2
	v_bfe_u32 v116, v23, 16, 3
	v_bfe_u32 v119, v23, 19, 4
	v_lshlrev_b32_e32 v128, 24, v115
	s_delay_alu instid0(VALU_DEP_3) | instskip(NEXT) | instid1(VALU_DEP_3)
	v_clz_i32_u32_e32 v117, v116
	v_cmp_eq_u32_e32 vcc_lo, 0, v119
	s_delay_alu instid0(VALU_DEP_2) | instskip(NEXT) | instid1(VALU_DEP_1)
	v_min_u32_e32 v117, 32, v117
	v_subrev_nc_u32_e32 v118, 28, v117
	v_sub_nc_u32_e32 v117, 29, v117
	s_delay_alu instid0(VALU_DEP_1) | instskip(NEXT) | instid1(VALU_DEP_1)
	v_dual_cndmask_b32 v117, v119, v117 :: v_dual_lshlrev_b32 v118, v118, v115
	v_and_b32_e32 v118, 7, v118
	s_delay_alu instid0(VALU_DEP_2) | instskip(NEXT) | instid1(VALU_DEP_2)
	v_lshl_add_u32 v117, v117, 23, 0x3b800000
	v_cndmask_b32_e32 v116, v116, v118, vcc_lo
	v_and_b32_e32 v118, 0x80000000, v128
	s_delay_alu instid0(VALU_DEP_2) | instskip(NEXT) | instid1(VALU_DEP_1)
	v_lshlrev_b32_e32 v116, 20, v116
	v_or3_b32 v116, v118, v117, v116
.LBB4_3451:                             ;   in Loop: Header=BB4_3272 Depth=2
	s_or_b32 exec_lo, exec_lo, s24
	v_and_b32_e32 v118, 0xff, v114
	s_mov_b32 s7, 0
	s_mov_b32 s25, exec_lo
                                        ; implicit-def: $sgpr24
	s_delay_alu instid0(VALU_DEP_1)
	v_cmpx_lt_i16_e32 0x7f, v118
	s_xor_b32 s25, exec_lo, s25
	s_cbranch_execnz .LBB4_4298
; %bb.3452:                             ;   in Loop: Header=BB4_3272 Depth=2
	s_or_saveexec_b32 s25, s25
	v_mov_b32_e32 v117, s24
	s_xor_b32 exec_lo, exec_lo, s25
	s_cbranch_execnz .LBB4_4301
.LBB4_3453:                             ;   in Loop: Header=BB4_3272 Depth=2
	s_or_b32 exec_lo, exec_lo, s25
	s_and_saveexec_b32 s24, s7
	s_cbranch_execz .LBB4_3455
.LBB4_3454:                             ;   in Loop: Header=BB4_3272 Depth=2
	v_bfe_u32 v117, v19, 16, 3
	v_bfe_u32 v128, v19, 19, 4
	v_lshlrev_b32_e32 v129, 24, v114
	s_delay_alu instid0(VALU_DEP_3) | instskip(NEXT) | instid1(VALU_DEP_3)
	v_clz_i32_u32_e32 v118, v117
	v_cmp_eq_u32_e32 vcc_lo, 0, v128
	s_delay_alu instid0(VALU_DEP_2) | instskip(NEXT) | instid1(VALU_DEP_1)
	v_min_u32_e32 v118, 32, v118
	v_subrev_nc_u32_e32 v119, 28, v118
	v_sub_nc_u32_e32 v118, 29, v118
	s_delay_alu instid0(VALU_DEP_2) | instskip(NEXT) | instid1(VALU_DEP_1)
	v_lshlrev_b32_e32 v119, v119, v114
	v_dual_cndmask_b32 v118, v128, v118 :: v_dual_and_b32 v119, 7, v119
	s_delay_alu instid0(VALU_DEP_1) | instskip(NEXT) | instid1(VALU_DEP_2)
	v_lshl_add_u32 v118, v118, 23, 0x3b800000
	v_cndmask_b32_e32 v117, v117, v119, vcc_lo
	v_and_b32_e32 v119, 0x80000000, v129
	s_delay_alu instid0(VALU_DEP_2) | instskip(NEXT) | instid1(VALU_DEP_1)
	v_lshlrev_b32_e32 v117, 20, v117
	v_or3_b32 v117, v119, v118, v117
.LBB4_3455:                             ;   in Loop: Header=BB4_3272 Depth=2
	s_or_b32 exec_lo, exec_lo, s24
	s_delay_alu instid0(VALU_DEP_1) | instskip(SKIP_1) | instid1(VALU_DEP_1)
	v_dual_max_f32 v117, v117, v117 :: v_dual_max_f32 v116, v116, v116
	s_mov_b32 s7, 0
	v_max_f32_e32 v116, v116, v117
	s_branch .LBB4_3457
.LBB4_3456:                             ;   in Loop: Header=BB4_3272 Depth=2
	s_mov_b32 s7, -1
                                        ; implicit-def: $vgpr116
.LBB4_3457:                             ;   in Loop: Header=BB4_3272 Depth=2
	s_delay_alu instid0(SALU_CYCLE_1)
	s_and_b32 vcc_lo, exec_lo, s7
	s_cbranch_vccz .LBB4_3467
; %bb.3458:                             ;   in Loop: Header=BB4_3272 Depth=2
	v_and_b32_e32 v117, 0xff, v115
	s_mov_b32 s7, 0
	s_mov_b32 s25, exec_lo
                                        ; implicit-def: $sgpr24
	s_delay_alu instid0(VALU_DEP_1)
	v_cmpx_lt_i16_e32 0x7f, v117
	s_xor_b32 s25, exec_lo, s25
	s_cbranch_execnz .LBB4_4302
; %bb.3459:                             ;   in Loop: Header=BB4_3272 Depth=2
	s_or_saveexec_b32 s25, s25
	v_mov_b32_e32 v116, s24
	s_xor_b32 exec_lo, exec_lo, s25
	s_cbranch_execnz .LBB4_4305
.LBB4_3460:                             ;   in Loop: Header=BB4_3272 Depth=2
	s_or_b32 exec_lo, exec_lo, s25
	s_and_saveexec_b32 s24, s7
	s_cbranch_execz .LBB4_3462
.LBB4_3461:                             ;   in Loop: Header=BB4_3272 Depth=2
	v_bfe_u32 v116, v23, 16, 3
	v_bfe_u32 v119, v23, 19, 4
	s_delay_alu instid0(VALU_DEP_2) | instskip(NEXT) | instid1(VALU_DEP_2)
	v_clz_i32_u32_e32 v117, v116
	v_cmp_eq_u32_e32 vcc_lo, 0, v119
	s_delay_alu instid0(VALU_DEP_2) | instskip(NEXT) | instid1(VALU_DEP_1)
	v_min_u32_e32 v117, 32, v117
	v_subrev_nc_u32_e32 v118, 28, v117
	v_sub_nc_u32_e32 v117, 29, v117
	s_delay_alu instid0(VALU_DEP_1) | instskip(NEXT) | instid1(VALU_DEP_1)
	v_dual_cndmask_b32 v117, v119, v117 :: v_dual_lshlrev_b32 v118, v118, v115
	v_and_b32_e32 v118, 7, v118
	v_lshlrev_b32_e32 v115, 24, v115
	s_delay_alu instid0(VALU_DEP_3) | instskip(NEXT) | instid1(VALU_DEP_2)
	v_lshl_add_u32 v117, v117, 23, 0x3b800000
	v_dual_cndmask_b32 v116, v116, v118 :: v_dual_and_b32 v115, 0x80000000, v115
	s_delay_alu instid0(VALU_DEP_1) | instskip(NEXT) | instid1(VALU_DEP_1)
	v_lshlrev_b32_e32 v116, 20, v116
	v_or3_b32 v116, v115, v117, v116
.LBB4_3462:                             ;   in Loop: Header=BB4_3272 Depth=2
	s_or_b32 exec_lo, exec_lo, s24
	v_and_b32_e32 v117, 0xff, v114
	s_mov_b32 s7, 0
	s_mov_b32 s25, exec_lo
                                        ; implicit-def: $sgpr24
	s_delay_alu instid0(VALU_DEP_1)
	v_cmpx_lt_i16_e32 0x7f, v117
	s_xor_b32 s25, exec_lo, s25
	s_cbranch_execnz .LBB4_4306
; %bb.3463:                             ;   in Loop: Header=BB4_3272 Depth=2
	s_or_saveexec_b32 s25, s25
	v_mov_b32_e32 v115, s24
	s_xor_b32 exec_lo, exec_lo, s25
	s_cbranch_execnz .LBB4_4309
.LBB4_3464:                             ;   in Loop: Header=BB4_3272 Depth=2
	s_or_b32 exec_lo, exec_lo, s25
	s_and_saveexec_b32 s24, s7
	s_cbranch_execz .LBB4_3466
.LBB4_3465:                             ;   in Loop: Header=BB4_3272 Depth=2
	v_bfe_u32 v115, v19, 16, 3
	v_bfe_u32 v119, v19, 19, 4
	s_delay_alu instid0(VALU_DEP_2) | instskip(NEXT) | instid1(VALU_DEP_2)
	v_clz_i32_u32_e32 v117, v115
	v_cmp_eq_u32_e32 vcc_lo, 0, v119
	s_delay_alu instid0(VALU_DEP_2) | instskip(NEXT) | instid1(VALU_DEP_1)
	v_min_u32_e32 v117, 32, v117
	v_subrev_nc_u32_e32 v118, 28, v117
	v_sub_nc_u32_e32 v117, 29, v117
	s_delay_alu instid0(VALU_DEP_1) | instskip(SKIP_1) | instid1(VALU_DEP_2)
	v_dual_cndmask_b32 v117, v119, v117 :: v_dual_lshlrev_b32 v118, v118, v114
	v_lshlrev_b32_e32 v114, 24, v114
	v_and_b32_e32 v118, 7, v118
	s_delay_alu instid0(VALU_DEP_3) | instskip(NEXT) | instid1(VALU_DEP_3)
	v_lshl_add_u32 v117, v117, 23, 0x3b800000
	v_and_b32_e32 v114, 0x80000000, v114
	s_delay_alu instid0(VALU_DEP_3) | instskip(NEXT) | instid1(VALU_DEP_1)
	v_cndmask_b32_e32 v115, v115, v118, vcc_lo
	v_lshlrev_b32_e32 v115, 20, v115
	s_delay_alu instid0(VALU_DEP_1)
	v_or3_b32 v115, v114, v117, v115
.LBB4_3466:                             ;   in Loop: Header=BB4_3272 Depth=2
	s_or_b32 exec_lo, exec_lo, s24
	s_delay_alu instid0(VALU_DEP_1) | instskip(NEXT) | instid1(VALU_DEP_1)
	v_dual_max_f32 v114, v115, v115 :: v_dual_max_f32 v115, v116, v116
	v_min_f32_e32 v116, v115, v114
.LBB4_3467:                             ;   in Loop: Header=BB4_3272 Depth=2
	s_delay_alu instid0(VALU_DEP_1) | instskip(NEXT) | instid1(VALU_DEP_1)
	v_and_b32_e32 v114, 0x7f800000, v116
	v_cmp_ne_u32_e32 vcc_lo, 0x7f800000, v114
	v_mov_b32_e32 v114, 0x80
	s_and_saveexec_b32 s24, vcc_lo
	s_cbranch_execz .LBB4_3475
; %bb.3468:                             ;   in Loop: Header=BB4_3272 Depth=2
	v_mov_b32_e32 v114, 0
	s_mov_b32 s25, exec_lo
	v_cmpx_ne_u32_e32 0, v116
	s_cbranch_execz .LBB4_3474
; %bb.3469:                             ;   in Loop: Header=BB4_3272 Depth=2
	v_bfe_u32 v114, v116, 23, 8
	v_and_b32_e32 v115, 0x7fffff, v116
	s_delay_alu instid0(VALU_DEP_2) | instskip(SKIP_1) | instid1(VALU_DEP_3)
	v_sub_nc_u32_e32 v117, 0x78, v114
	v_cmp_gt_u32_e32 vcc_lo, 0x79, v114
	v_or_b32_e32 v118, 0x800000, v115
	s_delay_alu instid0(VALU_DEP_3) | instskip(SKIP_2) | instid1(VALU_DEP_3)
	v_cndmask_b32_e32 v117, 0, v117, vcc_lo
	v_cmp_eq_u32_e32 vcc_lo, 0, v114
	v_add_nc_u32_e32 v114, 0xffffff89, v114
	v_cndmask_b32_e64 v117, v117, 0x77, vcc_lo
	v_cndmask_b32_e32 v115, v118, v115, vcc_lo
	s_delay_alu instid0(VALU_DEP_3) | instskip(NEXT) | instid1(VALU_DEP_3)
	v_cndmask_b32_e64 v114, v114, 0xffffff8a, vcc_lo
	v_lshl_add_u32 v118, 0x100000, v117, -1
	s_delay_alu instid0(VALU_DEP_3) | instskip(SKIP_1) | instid1(VALU_DEP_4)
	v_lshrrev_b32_e32 v119, v117, v115
	v_lshlrev_b32_e64 v129, v117, 0x80000
	v_add_nc_u32_e32 v117, v117, v114
	s_delay_alu instid0(VALU_DEP_4) | instskip(NEXT) | instid1(VALU_DEP_4)
	v_and_b32_e32 v115, v118, v115
	v_bfe_u32 v128, v119, 20, 1
	s_delay_alu instid0(VALU_DEP_2) | instskip(NEXT) | instid1(VALU_DEP_2)
	v_cmp_eq_u32_e64 s7, v115, v129
	v_add_nc_u32_e32 v118, -1, v128
	s_delay_alu instid0(VALU_DEP_1) | instskip(SKIP_2) | instid1(VALU_DEP_2)
	v_cndmask_b32_e64 v115, 0, v118, s7
	v_lshrrev_b32_e32 v118, 23, v119
	s_mov_b32 s7, exec_lo
	v_add_nc_u32_e32 v115, v115, v119
	s_delay_alu instid0(VALU_DEP_2) | instskip(NEXT) | instid1(VALU_DEP_2)
	v_xor_b32_e32 v118, 1, v118
	v_and_b32_e32 v114, 0xfffff, v115
	s_delay_alu instid0(VALU_DEP_1) | instskip(NEXT) | instid1(VALU_DEP_3)
	v_add_nc_u32_e32 v115, v114, v119
                                        ; implicit-def: $vgpr114
	v_cmpx_ne_u32_e64 v117, v118
	s_xor_b32 s7, exec_lo, s7
; %bb.3470:                             ;   in Loop: Header=BB4_3272 Depth=2
	s_delay_alu instid0(VALU_DEP_2) | instskip(SKIP_2) | instid1(VALU_DEP_2)
	v_cmp_lt_u32_e32 vcc_lo, 0xffffff, v115
	v_sub_nc_u32_e32 v114, v117, v118
	v_cndmask_b32_e64 v117, 0, 1, vcc_lo
	v_add_co_ci_u32_e32 v114, vcc_lo, 0, v114, vcc_lo
	s_delay_alu instid0(VALU_DEP_2)
	v_lshrrev_b32_e32 v115, v117, v115
; %bb.3471:                             ;   in Loop: Header=BB4_3272 Depth=2
	s_and_not1_saveexec_b32 s7, s7
; %bb.3472:                             ;   in Loop: Header=BB4_3272 Depth=2
	s_delay_alu instid0(VALU_DEP_1)
	v_bfe_u32 v114, v115, 23, 1
; %bb.3473:                             ;   in Loop: Header=BB4_3272 Depth=2
	s_or_b32 exec_lo, exec_lo, s7
	v_lshrrev_b32_e32 v115, 20, v115
	s_delay_alu instid0(VALU_DEP_2) | instskip(SKIP_2) | instid1(VALU_DEP_2)
	v_cmp_gt_i32_e32 vcc_lo, 16, v114
	v_lshrrev_b32_e32 v116, 24, v116
	v_min_i32_e32 v117, 15, v114
	v_dual_cndmask_b32 v115, 7, v115 :: v_dual_and_b32 v116, 0x80, v116
	s_delay_alu instid0(VALU_DEP_1) | instskip(SKIP_1) | instid1(VALU_DEP_2)
	v_or_b32_e32 v114, v114, v115
	v_and_b32_e32 v118, 7, v115
	v_cmp_ne_u32_e32 vcc_lo, 0, v114
	v_lshlrev_b32_e32 v117, 3, v117
	s_delay_alu instid0(VALU_DEP_1) | instskip(NEXT) | instid1(VALU_DEP_1)
	v_and_b32_e32 v117, 0xf8, v117
	v_or3_b32 v115, v117, v116, v118
	s_delay_alu instid0(VALU_DEP_1)
	v_cndmask_b32_e32 v114, 0, v115, vcc_lo
.LBB4_3474:                             ;   in Loop: Header=BB4_3272 Depth=2
	s_or_b32 exec_lo, exec_lo, s25
.LBB4_3475:                             ;   in Loop: Header=BB4_3272 Depth=2
	s_delay_alu instid0(SALU_CYCLE_1)
	s_or_b32 exec_lo, exec_lo, s24
	v_lshrrev_b32_e32 v116, 24, v23
	v_lshrrev_b32_e32 v115, 24, v19
	s_and_b32 vcc_lo, exec_lo, s23
	s_cbranch_vccz .LBB4_3485
; %bb.3476:                             ;   in Loop: Header=BB4_3272 Depth=2
	s_mov_b32 s7, 0
	s_mov_b32 s25, exec_lo
                                        ; implicit-def: $sgpr24
	v_cmpx_lt_i16_e32 0x7f, v116
	s_xor_b32 s25, exec_lo, s25
	s_cbranch_execnz .LBB4_4310
; %bb.3477:                             ;   in Loop: Header=BB4_3272 Depth=2
	s_or_saveexec_b32 s25, s25
	v_mov_b32_e32 v117, s24
	s_xor_b32 exec_lo, exec_lo, s25
	s_cbranch_execnz .LBB4_4313
.LBB4_3478:                             ;   in Loop: Header=BB4_3272 Depth=2
	s_or_b32 exec_lo, exec_lo, s25
	s_and_saveexec_b32 s24, s7
	s_cbranch_execz .LBB4_3480
.LBB4_3479:                             ;   in Loop: Header=BB4_3272 Depth=2
	v_bfe_u32 v117, v23, 24, 3
	v_bfe_u32 v128, v23, 27, 4
	s_delay_alu instid0(VALU_DEP_2) | instskip(NEXT) | instid1(VALU_DEP_2)
	v_clz_i32_u32_e32 v118, v117
	v_cmp_eq_u32_e32 vcc_lo, 0, v128
	s_delay_alu instid0(VALU_DEP_2) | instskip(NEXT) | instid1(VALU_DEP_1)
	v_min_u32_e32 v118, 32, v118
	v_subrev_nc_u32_e32 v119, 28, v118
	v_sub_nc_u32_e32 v118, 29, v118
	s_delay_alu instid0(VALU_DEP_1) | instskip(NEXT) | instid1(VALU_DEP_1)
	v_dual_cndmask_b32 v118, v128, v118 :: v_dual_lshlrev_b32 v119, v119, v116
	v_and_b32_e32 v119, 7, v119
	s_delay_alu instid0(VALU_DEP_2) | instskip(NEXT) | instid1(VALU_DEP_2)
	v_lshl_add_u32 v118, v118, 23, 0x3b800000
	v_cndmask_b32_e32 v117, v117, v119, vcc_lo
	v_and_b32_e32 v119, 0x80000000, v23
	s_delay_alu instid0(VALU_DEP_2) | instskip(NEXT) | instid1(VALU_DEP_1)
	v_lshlrev_b32_e32 v117, 20, v117
	v_or3_b32 v117, v119, v118, v117
.LBB4_3480:                             ;   in Loop: Header=BB4_3272 Depth=2
	s_or_b32 exec_lo, exec_lo, s24
	s_mov_b32 s7, 0
	s_mov_b32 s25, exec_lo
                                        ; implicit-def: $sgpr24
	v_cmpx_lt_i16_e32 0x7f, v115
	s_xor_b32 s25, exec_lo, s25
	s_cbranch_execnz .LBB4_4314
; %bb.3481:                             ;   in Loop: Header=BB4_3272 Depth=2
	s_or_saveexec_b32 s25, s25
	v_mov_b32_e32 v118, s24
	s_xor_b32 exec_lo, exec_lo, s25
	s_cbranch_execnz .LBB4_4317
.LBB4_3482:                             ;   in Loop: Header=BB4_3272 Depth=2
	s_or_b32 exec_lo, exec_lo, s25
	s_and_saveexec_b32 s24, s7
	s_cbranch_execz .LBB4_3484
.LBB4_3483:                             ;   in Loop: Header=BB4_3272 Depth=2
	v_bfe_u32 v118, v19, 24, 3
	v_bfe_u32 v129, v19, 27, 4
	s_delay_alu instid0(VALU_DEP_2) | instskip(NEXT) | instid1(VALU_DEP_2)
	v_clz_i32_u32_e32 v119, v118
	v_cmp_eq_u32_e32 vcc_lo, 0, v129
	s_delay_alu instid0(VALU_DEP_2) | instskip(NEXT) | instid1(VALU_DEP_1)
	v_min_u32_e32 v119, 32, v119
	v_subrev_nc_u32_e32 v128, 28, v119
	v_sub_nc_u32_e32 v119, 29, v119
	s_delay_alu instid0(VALU_DEP_2) | instskip(NEXT) | instid1(VALU_DEP_1)
	v_lshlrev_b32_e32 v128, v128, v115
	v_dual_cndmask_b32 v119, v129, v119 :: v_dual_and_b32 v128, 7, v128
	s_delay_alu instid0(VALU_DEP_1) | instskip(NEXT) | instid1(VALU_DEP_2)
	v_lshl_add_u32 v119, v119, 23, 0x3b800000
	v_cndmask_b32_e32 v118, v118, v128, vcc_lo
	v_and_b32_e32 v128, 0x80000000, v19
	s_delay_alu instid0(VALU_DEP_2) | instskip(NEXT) | instid1(VALU_DEP_1)
	v_lshlrev_b32_e32 v118, 20, v118
	v_or3_b32 v118, v128, v119, v118
.LBB4_3484:                             ;   in Loop: Header=BB4_3272 Depth=2
	s_or_b32 exec_lo, exec_lo, s24
	s_delay_alu instid0(VALU_DEP_1) | instskip(SKIP_1) | instid1(VALU_DEP_1)
	v_dual_max_f32 v118, v118, v118 :: v_dual_max_f32 v117, v117, v117
	s_mov_b32 s7, 0
	v_max_f32_e32 v117, v117, v118
	s_branch .LBB4_3486
.LBB4_3485:                             ;   in Loop: Header=BB4_3272 Depth=2
	s_mov_b32 s7, -1
                                        ; implicit-def: $vgpr117
.LBB4_3486:                             ;   in Loop: Header=BB4_3272 Depth=2
	s_delay_alu instid0(SALU_CYCLE_1)
	s_and_b32 vcc_lo, exec_lo, s7
	s_cbranch_vccz .LBB4_3496
; %bb.3487:                             ;   in Loop: Header=BB4_3272 Depth=2
	s_mov_b32 s7, 0
	s_mov_b32 s25, exec_lo
                                        ; implicit-def: $sgpr24
	v_cmpx_lt_i16_e32 0x7f, v116
	s_xor_b32 s25, exec_lo, s25
	s_cbranch_execnz .LBB4_4318
; %bb.3488:                             ;   in Loop: Header=BB4_3272 Depth=2
	s_or_saveexec_b32 s25, s25
	v_mov_b32_e32 v117, s24
	s_xor_b32 exec_lo, exec_lo, s25
	s_cbranch_execnz .LBB4_4321
.LBB4_3489:                             ;   in Loop: Header=BB4_3272 Depth=2
	s_or_b32 exec_lo, exec_lo, s25
	s_and_saveexec_b32 s24, s7
	s_cbranch_execz .LBB4_3491
.LBB4_3490:                             ;   in Loop: Header=BB4_3272 Depth=2
	v_bfe_u32 v117, v23, 24, 3
	s_delay_alu instid0(VALU_DEP_1) | instskip(NEXT) | instid1(VALU_DEP_1)
	v_clz_i32_u32_e32 v118, v117
	v_min_u32_e32 v118, 32, v118
	s_delay_alu instid0(VALU_DEP_1) | instskip(SKIP_1) | instid1(VALU_DEP_2)
	v_subrev_nc_u32_e32 v119, 28, v118
	v_sub_nc_u32_e32 v118, 29, v118
	v_lshlrev_b32_e32 v116, v119, v116
	v_bfe_u32 v119, v23, 27, 4
	v_and_b32_e32 v23, 0x80000000, v23
	s_delay_alu instid0(VALU_DEP_3) | instskip(NEXT) | instid1(VALU_DEP_3)
	v_and_b32_e32 v116, 7, v116
	v_cmp_eq_u32_e32 vcc_lo, 0, v119
	v_cndmask_b32_e32 v118, v119, v118, vcc_lo
	s_delay_alu instid0(VALU_DEP_3) | instskip(NEXT) | instid1(VALU_DEP_2)
	v_cndmask_b32_e32 v116, v117, v116, vcc_lo
	v_lshl_add_u32 v117, v118, 23, 0x3b800000
	s_delay_alu instid0(VALU_DEP_2) | instskip(NEXT) | instid1(VALU_DEP_1)
	v_lshlrev_b32_e32 v116, 20, v116
	v_or3_b32 v117, v23, v117, v116
.LBB4_3491:                             ;   in Loop: Header=BB4_3272 Depth=2
	s_or_b32 exec_lo, exec_lo, s24
	s_mov_b32 s7, 0
	s_mov_b32 s25, exec_lo
                                        ; implicit-def: $sgpr24
	v_cmpx_lt_i16_e32 0x7f, v115
	s_xor_b32 s25, exec_lo, s25
	s_cbranch_execnz .LBB4_4322
; %bb.3492:                             ;   in Loop: Header=BB4_3272 Depth=2
	s_or_saveexec_b32 s25, s25
	v_mov_b32_e32 v23, s24
	s_xor_b32 exec_lo, exec_lo, s25
	s_cbranch_execnz .LBB4_4325
.LBB4_3493:                             ;   in Loop: Header=BB4_3272 Depth=2
	s_or_b32 exec_lo, exec_lo, s25
	s_and_saveexec_b32 s24, s7
	s_cbranch_execz .LBB4_3495
.LBB4_3494:                             ;   in Loop: Header=BB4_3272 Depth=2
	v_bfe_u32 v23, v19, 24, 3
	s_delay_alu instid0(VALU_DEP_1) | instskip(NEXT) | instid1(VALU_DEP_1)
	v_clz_i32_u32_e32 v116, v23
	v_min_u32_e32 v116, 32, v116
	s_delay_alu instid0(VALU_DEP_1) | instskip(SKIP_1) | instid1(VALU_DEP_2)
	v_subrev_nc_u32_e32 v118, 28, v116
	v_sub_nc_u32_e32 v116, 29, v116
	v_lshlrev_b32_e32 v115, v118, v115
	v_bfe_u32 v118, v19, 27, 4
	v_and_b32_e32 v19, 0x80000000, v19
	s_delay_alu instid0(VALU_DEP_2) | instskip(NEXT) | instid1(VALU_DEP_4)
	v_cmp_eq_u32_e32 vcc_lo, 0, v118
	v_dual_cndmask_b32 v116, v118, v116 :: v_dual_and_b32 v115, 7, v115
	s_delay_alu instid0(VALU_DEP_1) | instskip(NEXT) | instid1(VALU_DEP_2)
	v_cndmask_b32_e32 v23, v23, v115, vcc_lo
	v_lshl_add_u32 v115, v116, 23, 0x3b800000
	s_delay_alu instid0(VALU_DEP_2) | instskip(NEXT) | instid1(VALU_DEP_1)
	v_lshlrev_b32_e32 v23, 20, v23
	v_or3_b32 v23, v19, v115, v23
.LBB4_3495:                             ;   in Loop: Header=BB4_3272 Depth=2
	s_or_b32 exec_lo, exec_lo, s24
	s_delay_alu instid0(VALU_DEP_1) | instskip(SKIP_1) | instid1(VALU_DEP_1)
	v_max_f32_e32 v19, v23, v23
	v_max_f32_e32 v23, v117, v117
	v_min_f32_e32 v117, v23, v19
.LBB4_3496:                             ;   in Loop: Header=BB4_3272 Depth=2
	s_delay_alu instid0(VALU_DEP_1) | instskip(NEXT) | instid1(VALU_DEP_1)
	v_and_b32_e32 v19, 0x7f800000, v117
	v_cmp_ne_u32_e32 vcc_lo, 0x7f800000, v19
	v_mov_b32_e32 v19, 0x8000
	s_and_saveexec_b32 s24, vcc_lo
	s_cbranch_execz .LBB4_3504
; %bb.3497:                             ;   in Loop: Header=BB4_3272 Depth=2
	v_mov_b32_e32 v19, 0
	s_mov_b32 s25, exec_lo
	v_cmpx_ne_u32_e32 0, v117
	s_cbranch_execz .LBB4_3503
; %bb.3498:                             ;   in Loop: Header=BB4_3272 Depth=2
	v_bfe_u32 v19, v117, 23, 8
	v_and_b32_e32 v23, 0x7fffff, v117
	s_delay_alu instid0(VALU_DEP_2) | instskip(SKIP_1) | instid1(VALU_DEP_3)
	v_sub_nc_u32_e32 v115, 0x78, v19
	v_cmp_gt_u32_e32 vcc_lo, 0x79, v19
	v_or_b32_e32 v116, 0x800000, v23
	s_delay_alu instid0(VALU_DEP_3) | instskip(SKIP_2) | instid1(VALU_DEP_3)
	v_cndmask_b32_e32 v115, 0, v115, vcc_lo
	v_cmp_eq_u32_e32 vcc_lo, 0, v19
	v_add_nc_u32_e32 v19, 0xffffff89, v19
	v_cndmask_b32_e64 v115, v115, 0x77, vcc_lo
	v_cndmask_b32_e32 v23, v116, v23, vcc_lo
	s_delay_alu instid0(VALU_DEP_3) | instskip(NEXT) | instid1(VALU_DEP_3)
	v_cndmask_b32_e64 v19, v19, 0xffffff8a, vcc_lo
	v_lshl_add_u32 v116, 0x100000, v115, -1
	s_delay_alu instid0(VALU_DEP_3) | instskip(SKIP_1) | instid1(VALU_DEP_4)
	v_lshrrev_b32_e32 v118, v115, v23
	v_lshlrev_b32_e64 v128, v115, 0x80000
	v_add_nc_u32_e32 v115, v115, v19
	s_delay_alu instid0(VALU_DEP_4) | instskip(NEXT) | instid1(VALU_DEP_4)
	v_and_b32_e32 v23, v116, v23
	v_bfe_u32 v119, v118, 20, 1
	s_delay_alu instid0(VALU_DEP_2) | instskip(NEXT) | instid1(VALU_DEP_2)
	v_cmp_eq_u32_e64 s7, v23, v128
	v_add_nc_u32_e32 v116, -1, v119
	s_delay_alu instid0(VALU_DEP_1) | instskip(SKIP_2) | instid1(VALU_DEP_2)
	v_cndmask_b32_e64 v23, 0, v116, s7
	v_lshrrev_b32_e32 v116, 23, v118
	s_mov_b32 s7, exec_lo
	v_add_nc_u32_e32 v23, v23, v118
	s_delay_alu instid0(VALU_DEP_2) | instskip(NEXT) | instid1(VALU_DEP_2)
	v_xor_b32_e32 v116, 1, v116
	v_and_b32_e32 v19, 0xfffff, v23
	s_delay_alu instid0(VALU_DEP_1) | instskip(NEXT) | instid1(VALU_DEP_3)
	v_add_nc_u32_e32 v23, v19, v118
                                        ; implicit-def: $vgpr19
	v_cmpx_ne_u32_e64 v115, v116
	s_xor_b32 s7, exec_lo, s7
; %bb.3499:                             ;   in Loop: Header=BB4_3272 Depth=2
	s_delay_alu instid0(VALU_DEP_2) | instskip(SKIP_2) | instid1(VALU_DEP_2)
	v_cmp_lt_u32_e32 vcc_lo, 0xffffff, v23
	v_sub_nc_u32_e32 v19, v115, v116
	v_cndmask_b32_e64 v115, 0, 1, vcc_lo
	v_add_co_ci_u32_e32 v19, vcc_lo, 0, v19, vcc_lo
	s_delay_alu instid0(VALU_DEP_2)
	v_lshrrev_b32_e32 v23, v115, v23
; %bb.3500:                             ;   in Loop: Header=BB4_3272 Depth=2
	s_and_not1_saveexec_b32 s7, s7
; %bb.3501:                             ;   in Loop: Header=BB4_3272 Depth=2
	s_delay_alu instid0(VALU_DEP_1)
	v_bfe_u32 v19, v23, 23, 1
; %bb.3502:                             ;   in Loop: Header=BB4_3272 Depth=2
	s_or_b32 exec_lo, exec_lo, s7
	v_lshrrev_b32_e32 v23, 20, v23
	s_delay_alu instid0(VALU_DEP_2) | instskip(SKIP_2) | instid1(VALU_DEP_3)
	v_min_i32_e32 v115, 15, v19
	v_cmp_gt_i32_e32 vcc_lo, 16, v19
	v_lshrrev_b32_e32 v116, 24, v117
	v_lshlrev_b32_e32 v115, 3, v115
	s_delay_alu instid0(VALU_DEP_2) | instskip(NEXT) | instid1(VALU_DEP_2)
	v_dual_cndmask_b32 v23, 7, v23 :: v_dual_and_b32 v116, 0x80, v116
	v_and_b32_e32 v115, 0xf8, v115
	s_delay_alu instid0(VALU_DEP_2) | instskip(SKIP_1) | instid1(VALU_DEP_2)
	v_and_b32_e32 v117, 7, v23
	v_or_b32_e32 v19, v19, v23
	v_or3_b32 v115, v116, v115, v117
	s_delay_alu instid0(VALU_DEP_2) | instskip(NEXT) | instid1(VALU_DEP_2)
	v_cmp_ne_u32_e32 vcc_lo, 0, v19
	v_lshlrev_b32_e32 v23, 8, v115
	s_delay_alu instid0(VALU_DEP_1)
	v_cndmask_b32_e32 v19, 0, v23, vcc_lo
.LBB4_3503:                             ;   in Loop: Header=BB4_3272 Depth=2
	s_or_b32 exec_lo, exec_lo, s25
.LBB4_3504:                             ;   in Loop: Header=BB4_3272 Depth=2
	s_delay_alu instid0(SALU_CYCLE_1) | instskip(NEXT) | instid1(SALU_CYCLE_1)
	s_or_b32 exec_lo, exec_lo, s24
	s_and_b32 vcc_lo, exec_lo, s23
	s_cbranch_vccz .LBB4_3514
; %bb.3505:                             ;   in Loop: Header=BB4_3272 Depth=2
	v_and_b32_e32 v115, 0xff, v24
	s_mov_b32 s7, 0
	s_mov_b32 s25, exec_lo
                                        ; implicit-def: $sgpr24
	s_delay_alu instid0(VALU_DEP_1)
	v_cmpx_lt_i16_e32 0x7f, v115
	s_xor_b32 s25, exec_lo, s25
	s_cbranch_execnz .LBB4_4326
; %bb.3506:                             ;   in Loop: Header=BB4_3272 Depth=2
	s_or_saveexec_b32 s25, s25
	v_mov_b32_e32 v23, s24
	s_xor_b32 exec_lo, exec_lo, s25
	s_cbranch_execnz .LBB4_4329
.LBB4_3507:                             ;   in Loop: Header=BB4_3272 Depth=2
	s_or_b32 exec_lo, exec_lo, s25
	s_and_saveexec_b32 s24, s7
	s_cbranch_execz .LBB4_3509
.LBB4_3508:                             ;   in Loop: Header=BB4_3272 Depth=2
	v_and_b32_e32 v23, 7, v24
	v_bfe_u32 v117, v24, 3, 4
	v_lshlrev_b32_e32 v118, 24, v24
	s_delay_alu instid0(VALU_DEP_3) | instskip(NEXT) | instid1(VALU_DEP_3)
	v_clz_i32_u32_e32 v115, v23
	v_cmp_eq_u32_e32 vcc_lo, 0, v117
	s_delay_alu instid0(VALU_DEP_2) | instskip(NEXT) | instid1(VALU_DEP_1)
	v_min_u32_e32 v115, 32, v115
	v_subrev_nc_u32_e32 v116, 28, v115
	v_sub_nc_u32_e32 v115, 29, v115
	s_delay_alu instid0(VALU_DEP_1) | instskip(NEXT) | instid1(VALU_DEP_1)
	v_dual_cndmask_b32 v115, v117, v115 :: v_dual_lshlrev_b32 v116, v116, v24
	v_and_b32_e32 v116, 7, v116
	s_delay_alu instid0(VALU_DEP_2) | instskip(NEXT) | instid1(VALU_DEP_2)
	v_lshl_add_u32 v115, v115, 23, 0x3b800000
	v_dual_cndmask_b32 v23, v23, v116 :: v_dual_and_b32 v116, 0x80000000, v118
	s_delay_alu instid0(VALU_DEP_1) | instskip(NEXT) | instid1(VALU_DEP_1)
	v_lshlrev_b32_e32 v23, 20, v23
	v_or3_b32 v23, v116, v115, v23
.LBB4_3509:                             ;   in Loop: Header=BB4_3272 Depth=2
	s_or_b32 exec_lo, exec_lo, s24
	v_and_b32_e32 v116, 0xff, v20
	s_mov_b32 s7, 0
	s_mov_b32 s25, exec_lo
                                        ; implicit-def: $sgpr24
	s_delay_alu instid0(VALU_DEP_1)
	v_cmpx_lt_i16_e32 0x7f, v116
	s_xor_b32 s25, exec_lo, s25
	s_cbranch_execnz .LBB4_4330
; %bb.3510:                             ;   in Loop: Header=BB4_3272 Depth=2
	s_or_saveexec_b32 s25, s25
	v_mov_b32_e32 v115, s24
	s_xor_b32 exec_lo, exec_lo, s25
	s_cbranch_execnz .LBB4_4333
.LBB4_3511:                             ;   in Loop: Header=BB4_3272 Depth=2
	s_or_b32 exec_lo, exec_lo, s25
	s_and_saveexec_b32 s24, s7
	s_cbranch_execz .LBB4_3513
.LBB4_3512:                             ;   in Loop: Header=BB4_3272 Depth=2
	v_and_b32_e32 v115, 7, v20
	v_bfe_u32 v118, v20, 3, 4
	v_lshlrev_b32_e32 v119, 24, v20
	s_delay_alu instid0(VALU_DEP_3) | instskip(NEXT) | instid1(VALU_DEP_3)
	v_clz_i32_u32_e32 v116, v115
	v_cmp_eq_u32_e32 vcc_lo, 0, v118
	s_delay_alu instid0(VALU_DEP_2) | instskip(NEXT) | instid1(VALU_DEP_1)
	v_min_u32_e32 v116, 32, v116
	v_subrev_nc_u32_e32 v117, 28, v116
	v_sub_nc_u32_e32 v116, 29, v116
	s_delay_alu instid0(VALU_DEP_2) | instskip(NEXT) | instid1(VALU_DEP_1)
	v_lshlrev_b32_e32 v117, v117, v20
	v_dual_cndmask_b32 v116, v118, v116 :: v_dual_and_b32 v117, 7, v117
	s_delay_alu instid0(VALU_DEP_1) | instskip(NEXT) | instid1(VALU_DEP_2)
	v_lshl_add_u32 v116, v116, 23, 0x3b800000
	v_cndmask_b32_e32 v115, v115, v117, vcc_lo
	v_and_b32_e32 v117, 0x80000000, v119
	s_delay_alu instid0(VALU_DEP_2) | instskip(NEXT) | instid1(VALU_DEP_1)
	v_lshlrev_b32_e32 v115, 20, v115
	v_or3_b32 v115, v117, v116, v115
.LBB4_3513:                             ;   in Loop: Header=BB4_3272 Depth=2
	s_or_b32 exec_lo, exec_lo, s24
	s_delay_alu instid0(VALU_DEP_1) | instskip(SKIP_2) | instid1(VALU_DEP_1)
	v_max_f32_e32 v115, v115, v115
	v_max_f32_e32 v23, v23, v23
	s_mov_b32 s7, 0
	v_max_f32_e32 v115, v23, v115
	s_branch .LBB4_3515
.LBB4_3514:                             ;   in Loop: Header=BB4_3272 Depth=2
	s_mov_b32 s7, -1
                                        ; implicit-def: $vgpr115
.LBB4_3515:                             ;   in Loop: Header=BB4_3272 Depth=2
	s_delay_alu instid0(SALU_CYCLE_1)
	s_and_b32 vcc_lo, exec_lo, s7
	s_cbranch_vccz .LBB4_3525
; %bb.3516:                             ;   in Loop: Header=BB4_3272 Depth=2
	v_and_b32_e32 v115, 0xff, v24
	s_mov_b32 s7, 0
	s_mov_b32 s25, exec_lo
                                        ; implicit-def: $sgpr24
	s_delay_alu instid0(VALU_DEP_1)
	v_cmpx_lt_i16_e32 0x7f, v115
	s_xor_b32 s25, exec_lo, s25
	s_cbranch_execnz .LBB4_4334
; %bb.3517:                             ;   in Loop: Header=BB4_3272 Depth=2
	s_or_saveexec_b32 s25, s25
	v_mov_b32_e32 v23, s24
	s_xor_b32 exec_lo, exec_lo, s25
	s_cbranch_execnz .LBB4_4337
.LBB4_3518:                             ;   in Loop: Header=BB4_3272 Depth=2
	s_or_b32 exec_lo, exec_lo, s25
	s_and_saveexec_b32 s24, s7
	s_cbranch_execz .LBB4_3520
.LBB4_3519:                             ;   in Loop: Header=BB4_3272 Depth=2
	v_and_b32_e32 v23, 7, v24
	v_bfe_u32 v117, v24, 3, 4
	v_lshlrev_b32_e32 v118, 24, v24
	s_delay_alu instid0(VALU_DEP_3) | instskip(NEXT) | instid1(VALU_DEP_3)
	v_clz_i32_u32_e32 v115, v23
	v_cmp_eq_u32_e32 vcc_lo, 0, v117
	s_delay_alu instid0(VALU_DEP_2) | instskip(NEXT) | instid1(VALU_DEP_1)
	v_min_u32_e32 v115, 32, v115
	v_subrev_nc_u32_e32 v116, 28, v115
	v_sub_nc_u32_e32 v115, 29, v115
	s_delay_alu instid0(VALU_DEP_1) | instskip(NEXT) | instid1(VALU_DEP_1)
	v_dual_cndmask_b32 v115, v117, v115 :: v_dual_lshlrev_b32 v116, v116, v24
	v_and_b32_e32 v116, 7, v116
	s_delay_alu instid0(VALU_DEP_2) | instskip(NEXT) | instid1(VALU_DEP_2)
	v_lshl_add_u32 v115, v115, 23, 0x3b800000
	v_dual_cndmask_b32 v23, v23, v116 :: v_dual_and_b32 v116, 0x80000000, v118
	s_delay_alu instid0(VALU_DEP_1) | instskip(NEXT) | instid1(VALU_DEP_1)
	v_lshlrev_b32_e32 v23, 20, v23
	v_or3_b32 v23, v116, v115, v23
.LBB4_3520:                             ;   in Loop: Header=BB4_3272 Depth=2
	s_or_b32 exec_lo, exec_lo, s24
	v_and_b32_e32 v116, 0xff, v20
	s_mov_b32 s7, 0
	s_mov_b32 s25, exec_lo
                                        ; implicit-def: $sgpr24
	s_delay_alu instid0(VALU_DEP_1)
	v_cmpx_lt_i16_e32 0x7f, v116
	s_xor_b32 s25, exec_lo, s25
	s_cbranch_execnz .LBB4_4338
; %bb.3521:                             ;   in Loop: Header=BB4_3272 Depth=2
	s_or_saveexec_b32 s25, s25
	v_mov_b32_e32 v115, s24
	s_xor_b32 exec_lo, exec_lo, s25
	s_cbranch_execnz .LBB4_4341
.LBB4_3522:                             ;   in Loop: Header=BB4_3272 Depth=2
	s_or_b32 exec_lo, exec_lo, s25
	s_and_saveexec_b32 s24, s7
	s_cbranch_execz .LBB4_3524
.LBB4_3523:                             ;   in Loop: Header=BB4_3272 Depth=2
	v_and_b32_e32 v115, 7, v20
	v_bfe_u32 v118, v20, 3, 4
	v_lshlrev_b32_e32 v119, 24, v20
	s_delay_alu instid0(VALU_DEP_3) | instskip(NEXT) | instid1(VALU_DEP_3)
	v_clz_i32_u32_e32 v116, v115
	v_cmp_eq_u32_e32 vcc_lo, 0, v118
	s_delay_alu instid0(VALU_DEP_2) | instskip(NEXT) | instid1(VALU_DEP_1)
	v_min_u32_e32 v116, 32, v116
	v_subrev_nc_u32_e32 v117, 28, v116
	v_sub_nc_u32_e32 v116, 29, v116
	s_delay_alu instid0(VALU_DEP_2) | instskip(NEXT) | instid1(VALU_DEP_1)
	v_lshlrev_b32_e32 v117, v117, v20
	v_dual_cndmask_b32 v116, v118, v116 :: v_dual_and_b32 v117, 7, v117
	s_delay_alu instid0(VALU_DEP_1) | instskip(NEXT) | instid1(VALU_DEP_2)
	v_lshl_add_u32 v116, v116, 23, 0x3b800000
	v_cndmask_b32_e32 v115, v115, v117, vcc_lo
	v_and_b32_e32 v117, 0x80000000, v119
	s_delay_alu instid0(VALU_DEP_2) | instskip(NEXT) | instid1(VALU_DEP_1)
	v_lshlrev_b32_e32 v115, 20, v115
	v_or3_b32 v115, v117, v116, v115
.LBB4_3524:                             ;   in Loop: Header=BB4_3272 Depth=2
	s_or_b32 exec_lo, exec_lo, s24
	s_delay_alu instid0(VALU_DEP_1) | instskip(SKIP_1) | instid1(VALU_DEP_1)
	v_max_f32_e32 v115, v115, v115
	v_max_f32_e32 v23, v23, v23
	v_min_f32_e32 v115, v23, v115
.LBB4_3525:                             ;   in Loop: Header=BB4_3272 Depth=2
	s_delay_alu instid0(VALU_DEP_1) | instskip(NEXT) | instid1(VALU_DEP_1)
	v_and_b32_e32 v23, 0x7f800000, v115
	v_cmp_ne_u32_e32 vcc_lo, 0x7f800000, v23
	v_mov_b32_e32 v23, 0x80
	s_and_saveexec_b32 s24, vcc_lo
	s_cbranch_execz .LBB4_3533
; %bb.3526:                             ;   in Loop: Header=BB4_3272 Depth=2
	v_mov_b32_e32 v23, 0
	s_mov_b32 s25, exec_lo
	v_cmpx_ne_u32_e32 0, v115
	s_cbranch_execz .LBB4_3532
; %bb.3527:                             ;   in Loop: Header=BB4_3272 Depth=2
	v_bfe_u32 v23, v115, 23, 8
	s_delay_alu instid0(VALU_DEP_1) | instskip(SKIP_1) | instid1(VALU_DEP_2)
	v_sub_nc_u32_e32 v117, 0x78, v23
	v_cmp_gt_u32_e32 vcc_lo, 0x79, v23
	v_dual_cndmask_b32 v117, 0, v117 :: v_dual_and_b32 v116, 0x7fffff, v115
	s_delay_alu instid0(VALU_DEP_1) | instskip(SKIP_2) | instid1(VALU_DEP_4)
	v_or_b32_e32 v118, 0x800000, v116
	v_cmp_eq_u32_e32 vcc_lo, 0, v23
	v_add_nc_u32_e32 v23, 0xffffff89, v23
	v_cndmask_b32_e64 v117, v117, 0x77, vcc_lo
	s_delay_alu instid0(VALU_DEP_4) | instskip(NEXT) | instid1(VALU_DEP_3)
	v_cndmask_b32_e32 v116, v118, v116, vcc_lo
	v_cndmask_b32_e64 v23, v23, 0xffffff8a, vcc_lo
	s_delay_alu instid0(VALU_DEP_3) | instskip(NEXT) | instid1(VALU_DEP_3)
	v_lshl_add_u32 v118, 0x100000, v117, -1
	v_lshrrev_b32_e32 v119, v117, v116
	v_lshlrev_b32_e64 v129, v117, 0x80000
	s_delay_alu instid0(VALU_DEP_4) | instskip(NEXT) | instid1(VALU_DEP_4)
	v_add_nc_u32_e32 v117, v117, v23
	v_and_b32_e32 v116, v118, v116
	s_delay_alu instid0(VALU_DEP_4) | instskip(NEXT) | instid1(VALU_DEP_2)
	v_bfe_u32 v128, v119, 20, 1
	v_cmp_eq_u32_e64 s7, v116, v129
	s_delay_alu instid0(VALU_DEP_2) | instskip(NEXT) | instid1(VALU_DEP_1)
	v_add_nc_u32_e32 v118, -1, v128
	v_cndmask_b32_e64 v116, 0, v118, s7
	v_lshrrev_b32_e32 v118, 23, v119
	s_mov_b32 s7, exec_lo
	s_delay_alu instid0(VALU_DEP_2) | instskip(NEXT) | instid1(VALU_DEP_2)
	v_add_nc_u32_e32 v116, v116, v119
	v_xor_b32_e32 v118, 1, v118
	s_delay_alu instid0(VALU_DEP_2) | instskip(NEXT) | instid1(VALU_DEP_1)
	v_and_b32_e32 v23, 0xfffff, v116
	v_add_nc_u32_e32 v116, v23, v119
                                        ; implicit-def: $vgpr23
	s_delay_alu instid0(VALU_DEP_3)
	v_cmpx_ne_u32_e64 v117, v118
	s_xor_b32 s7, exec_lo, s7
; %bb.3528:                             ;   in Loop: Header=BB4_3272 Depth=2
	s_delay_alu instid0(VALU_DEP_2) | instskip(SKIP_2) | instid1(VALU_DEP_2)
	v_cmp_lt_u32_e32 vcc_lo, 0xffffff, v116
	v_sub_nc_u32_e32 v23, v117, v118
	v_cndmask_b32_e64 v117, 0, 1, vcc_lo
	v_add_co_ci_u32_e32 v23, vcc_lo, 0, v23, vcc_lo
	s_delay_alu instid0(VALU_DEP_2)
	v_lshrrev_b32_e32 v116, v117, v116
; %bb.3529:                             ;   in Loop: Header=BB4_3272 Depth=2
	s_and_not1_saveexec_b32 s7, s7
; %bb.3530:                             ;   in Loop: Header=BB4_3272 Depth=2
	s_delay_alu instid0(VALU_DEP_1)
	v_bfe_u32 v23, v116, 23, 1
; %bb.3531:                             ;   in Loop: Header=BB4_3272 Depth=2
	s_or_b32 exec_lo, exec_lo, s7
	v_lshrrev_b32_e32 v116, 20, v116
	s_delay_alu instid0(VALU_DEP_2) | instskip(SKIP_2) | instid1(VALU_DEP_2)
	v_cmp_gt_i32_e32 vcc_lo, 16, v23
	v_lshrrev_b32_e32 v115, 24, v115
	v_min_i32_e32 v117, 15, v23
	v_dual_cndmask_b32 v116, 7, v116 :: v_dual_and_b32 v115, 0x80, v115
	s_delay_alu instid0(VALU_DEP_2) | instskip(NEXT) | instid1(VALU_DEP_2)
	v_lshlrev_b32_e32 v117, 3, v117
	v_or_b32_e32 v23, v23, v116
	s_delay_alu instid0(VALU_DEP_1) | instskip(SKIP_1) | instid1(VALU_DEP_1)
	v_cmp_ne_u32_e32 vcc_lo, 0, v23
	v_and_b32_e32 v118, 7, v116
	v_or3_b32 v115, v117, v115, v118
	s_delay_alu instid0(VALU_DEP_1)
	v_cndmask_b32_e32 v23, 0, v115, vcc_lo
.LBB4_3532:                             ;   in Loop: Header=BB4_3272 Depth=2
	s_or_b32 exec_lo, exec_lo, s25
.LBB4_3533:                             ;   in Loop: Header=BB4_3272 Depth=2
	s_delay_alu instid0(SALU_CYCLE_1)
	s_or_b32 exec_lo, exec_lo, s24
	v_lshrrev_b16 v116, 8, v24
	v_lshrrev_b16 v115, 8, v20
	s_and_b32 vcc_lo, exec_lo, s23
	s_cbranch_vccz .LBB4_3543
; %bb.3534:                             ;   in Loop: Header=BB4_3272 Depth=2
	s_mov_b32 s7, 0
	s_mov_b32 s25, exec_lo
                                        ; implicit-def: $sgpr24
	v_cmpx_lt_i16_e32 0x7f, v116
	s_xor_b32 s25, exec_lo, s25
	s_cbranch_execnz .LBB4_4342
; %bb.3535:                             ;   in Loop: Header=BB4_3272 Depth=2
	s_or_saveexec_b32 s25, s25
	v_mov_b32_e32 v117, s24
	s_xor_b32 exec_lo, exec_lo, s25
	s_cbranch_execnz .LBB4_4345
.LBB4_3536:                             ;   in Loop: Header=BB4_3272 Depth=2
	s_or_b32 exec_lo, exec_lo, s25
	s_and_saveexec_b32 s24, s7
	s_cbranch_execz .LBB4_3538
.LBB4_3537:                             ;   in Loop: Header=BB4_3272 Depth=2
	v_and_b32_e32 v117, 0xffff, v116
	v_lshlrev_b32_e32 v129, 16, v24
	s_delay_alu instid0(VALU_DEP_2) | instskip(NEXT) | instid1(VALU_DEP_1)
	v_and_b32_e32 v118, 7, v117
	v_clz_i32_u32_e32 v119, v118
	s_delay_alu instid0(VALU_DEP_1) | instskip(NEXT) | instid1(VALU_DEP_1)
	v_min_u32_e32 v119, 32, v119
	v_subrev_nc_u32_e32 v128, 28, v119
	v_sub_nc_u32_e32 v119, 29, v119
	s_delay_alu instid0(VALU_DEP_2) | instskip(SKIP_1) | instid1(VALU_DEP_2)
	v_lshlrev_b32_e32 v128, v128, v117
	v_bfe_u32 v117, v117, 3, 4
	v_and_b32_e32 v128, 7, v128
	s_delay_alu instid0(VALU_DEP_2) | instskip(NEXT) | instid1(VALU_DEP_2)
	v_cmp_eq_u32_e32 vcc_lo, 0, v117
	v_dual_cndmask_b32 v117, v117, v119 :: v_dual_cndmask_b32 v118, v118, v128
	v_and_b32_e32 v119, 0x80000000, v129
	s_delay_alu instid0(VALU_DEP_2) | instskip(NEXT) | instid1(VALU_DEP_3)
	v_lshl_add_u32 v117, v117, 23, 0x3b800000
	v_lshlrev_b32_e32 v118, 20, v118
	s_delay_alu instid0(VALU_DEP_1)
	v_or3_b32 v117, v119, v117, v118
.LBB4_3538:                             ;   in Loop: Header=BB4_3272 Depth=2
	s_or_b32 exec_lo, exec_lo, s24
	s_mov_b32 s7, 0
	s_mov_b32 s25, exec_lo
                                        ; implicit-def: $sgpr24
	v_cmpx_lt_i16_e32 0x7f, v115
	s_xor_b32 s25, exec_lo, s25
	s_cbranch_execnz .LBB4_4346
; %bb.3539:                             ;   in Loop: Header=BB4_3272 Depth=2
	s_or_saveexec_b32 s25, s25
	v_mov_b32_e32 v118, s24
	s_xor_b32 exec_lo, exec_lo, s25
	s_cbranch_execnz .LBB4_4349
.LBB4_3540:                             ;   in Loop: Header=BB4_3272 Depth=2
	s_or_b32 exec_lo, exec_lo, s25
	s_and_saveexec_b32 s24, s7
	s_cbranch_execz .LBB4_3542
.LBB4_3541:                             ;   in Loop: Header=BB4_3272 Depth=2
	v_and_b32_e32 v118, 0xffff, v115
	v_lshlrev_b32_e32 v130, 16, v20
	s_delay_alu instid0(VALU_DEP_2) | instskip(NEXT) | instid1(VALU_DEP_1)
	v_and_b32_e32 v119, 7, v118
	v_clz_i32_u32_e32 v128, v119
	s_delay_alu instid0(VALU_DEP_1) | instskip(NEXT) | instid1(VALU_DEP_1)
	v_min_u32_e32 v128, 32, v128
	v_subrev_nc_u32_e32 v129, 28, v128
	v_sub_nc_u32_e32 v128, 29, v128
	s_delay_alu instid0(VALU_DEP_2) | instskip(SKIP_1) | instid1(VALU_DEP_2)
	v_lshlrev_b32_e32 v129, v129, v118
	v_bfe_u32 v118, v118, 3, 4
	v_and_b32_e32 v129, 7, v129
	s_delay_alu instid0(VALU_DEP_2) | instskip(NEXT) | instid1(VALU_DEP_2)
	v_cmp_eq_u32_e32 vcc_lo, 0, v118
	v_dual_cndmask_b32 v118, v118, v128 :: v_dual_cndmask_b32 v119, v119, v129
	v_and_b32_e32 v128, 0x80000000, v130
	s_delay_alu instid0(VALU_DEP_2) | instskip(NEXT) | instid1(VALU_DEP_3)
	v_lshl_add_u32 v118, v118, 23, 0x3b800000
	v_lshlrev_b32_e32 v119, 20, v119
	s_delay_alu instid0(VALU_DEP_1)
	v_or3_b32 v118, v128, v118, v119
.LBB4_3542:                             ;   in Loop: Header=BB4_3272 Depth=2
	s_or_b32 exec_lo, exec_lo, s24
	s_delay_alu instid0(VALU_DEP_1) | instskip(SKIP_1) | instid1(VALU_DEP_1)
	v_dual_max_f32 v118, v118, v118 :: v_dual_max_f32 v117, v117, v117
	s_mov_b32 s7, 0
	v_max_f32_e32 v117, v117, v118
	s_branch .LBB4_3544
.LBB4_3543:                             ;   in Loop: Header=BB4_3272 Depth=2
	s_mov_b32 s7, -1
                                        ; implicit-def: $vgpr117
.LBB4_3544:                             ;   in Loop: Header=BB4_3272 Depth=2
	s_delay_alu instid0(SALU_CYCLE_1)
	s_and_b32 vcc_lo, exec_lo, s7
	s_cbranch_vccz .LBB4_3554
; %bb.3545:                             ;   in Loop: Header=BB4_3272 Depth=2
	s_mov_b32 s7, 0
	s_mov_b32 s25, exec_lo
                                        ; implicit-def: $sgpr24
	v_cmpx_lt_i16_e32 0x7f, v116
	s_xor_b32 s25, exec_lo, s25
	s_cbranch_execnz .LBB4_4350
; %bb.3546:                             ;   in Loop: Header=BB4_3272 Depth=2
	s_or_saveexec_b32 s25, s25
	v_mov_b32_e32 v117, s24
	s_xor_b32 exec_lo, exec_lo, s25
	s_cbranch_execnz .LBB4_4353
.LBB4_3547:                             ;   in Loop: Header=BB4_3272 Depth=2
	s_or_b32 exec_lo, exec_lo, s25
	s_and_saveexec_b32 s24, s7
	s_cbranch_execz .LBB4_3549
.LBB4_3548:                             ;   in Loop: Header=BB4_3272 Depth=2
	v_and_b32_e32 v116, 0xffff, v116
	v_lshlrev_b32_e32 v128, 16, v24
	s_delay_alu instid0(VALU_DEP_2) | instskip(NEXT) | instid1(VALU_DEP_1)
	v_and_b32_e32 v117, 7, v116
	v_clz_i32_u32_e32 v118, v117
	s_delay_alu instid0(VALU_DEP_1) | instskip(NEXT) | instid1(VALU_DEP_1)
	v_min_u32_e32 v118, 32, v118
	v_subrev_nc_u32_e32 v119, 28, v118
	v_sub_nc_u32_e32 v118, 29, v118
	s_delay_alu instid0(VALU_DEP_2) | instskip(SKIP_1) | instid1(VALU_DEP_2)
	v_lshlrev_b32_e32 v119, v119, v116
	v_bfe_u32 v116, v116, 3, 4
	v_and_b32_e32 v119, 7, v119
	s_delay_alu instid0(VALU_DEP_2) | instskip(NEXT) | instid1(VALU_DEP_2)
	v_cmp_eq_u32_e32 vcc_lo, 0, v116
	v_dual_cndmask_b32 v116, v116, v118 :: v_dual_cndmask_b32 v117, v117, v119
	v_and_b32_e32 v118, 0x80000000, v128
	s_delay_alu instid0(VALU_DEP_2) | instskip(NEXT) | instid1(VALU_DEP_3)
	v_lshl_add_u32 v116, v116, 23, 0x3b800000
	v_lshlrev_b32_e32 v117, 20, v117
	s_delay_alu instid0(VALU_DEP_1)
	v_or3_b32 v117, v118, v116, v117
.LBB4_3549:                             ;   in Loop: Header=BB4_3272 Depth=2
	s_or_b32 exec_lo, exec_lo, s24
	s_mov_b32 s7, 0
	s_mov_b32 s25, exec_lo
                                        ; implicit-def: $sgpr24
	v_cmpx_lt_i16_e32 0x7f, v115
	s_xor_b32 s25, exec_lo, s25
	s_cbranch_execnz .LBB4_4354
; %bb.3550:                             ;   in Loop: Header=BB4_3272 Depth=2
	s_or_saveexec_b32 s25, s25
	v_mov_b32_e32 v116, s24
	s_xor_b32 exec_lo, exec_lo, s25
	s_cbranch_execnz .LBB4_4357
.LBB4_3551:                             ;   in Loop: Header=BB4_3272 Depth=2
	s_or_b32 exec_lo, exec_lo, s25
	s_and_saveexec_b32 s24, s7
	s_cbranch_execz .LBB4_3553
.LBB4_3552:                             ;   in Loop: Header=BB4_3272 Depth=2
	v_and_b32_e32 v115, 0xffff, v115
	v_lshlrev_b32_e32 v128, 16, v20
	s_delay_alu instid0(VALU_DEP_2) | instskip(NEXT) | instid1(VALU_DEP_1)
	v_and_b32_e32 v116, 7, v115
	v_clz_i32_u32_e32 v118, v116
	s_delay_alu instid0(VALU_DEP_1) | instskip(NEXT) | instid1(VALU_DEP_1)
	v_min_u32_e32 v118, 32, v118
	v_subrev_nc_u32_e32 v119, 28, v118
	v_sub_nc_u32_e32 v118, 29, v118
	s_delay_alu instid0(VALU_DEP_2) | instskip(SKIP_1) | instid1(VALU_DEP_2)
	v_lshlrev_b32_e32 v119, v119, v115
	v_bfe_u32 v115, v115, 3, 4
	v_and_b32_e32 v119, 7, v119
	s_delay_alu instid0(VALU_DEP_2) | instskip(NEXT) | instid1(VALU_DEP_2)
	v_cmp_eq_u32_e32 vcc_lo, 0, v115
	v_dual_cndmask_b32 v115, v115, v118 :: v_dual_cndmask_b32 v116, v116, v119
	v_and_b32_e32 v118, 0x80000000, v128
	s_delay_alu instid0(VALU_DEP_2) | instskip(NEXT) | instid1(VALU_DEP_3)
	v_lshl_add_u32 v115, v115, 23, 0x3b800000
	v_lshlrev_b32_e32 v116, 20, v116
	s_delay_alu instid0(VALU_DEP_1)
	v_or3_b32 v116, v118, v115, v116
.LBB4_3553:                             ;   in Loop: Header=BB4_3272 Depth=2
	s_or_b32 exec_lo, exec_lo, s24
	s_delay_alu instid0(VALU_DEP_1) | instskip(NEXT) | instid1(VALU_DEP_1)
	v_dual_max_f32 v115, v116, v116 :: v_dual_max_f32 v116, v117, v117
	v_min_f32_e32 v117, v116, v115
.LBB4_3554:                             ;   in Loop: Header=BB4_3272 Depth=2
	s_delay_alu instid0(VALU_DEP_1) | instskip(NEXT) | instid1(VALU_DEP_1)
	v_and_b32_e32 v115, 0x7f800000, v117
	v_cmp_ne_u32_e32 vcc_lo, 0x7f800000, v115
	v_mov_b32_e32 v115, 0x80
	s_and_saveexec_b32 s24, vcc_lo
	s_cbranch_execz .LBB4_3562
; %bb.3555:                             ;   in Loop: Header=BB4_3272 Depth=2
	v_mov_b32_e32 v115, 0
	s_mov_b32 s25, exec_lo
	v_cmpx_ne_u32_e32 0, v117
	s_cbranch_execz .LBB4_3561
; %bb.3556:                             ;   in Loop: Header=BB4_3272 Depth=2
	v_bfe_u32 v115, v117, 23, 8
	v_and_b32_e32 v116, 0x7fffff, v117
	s_delay_alu instid0(VALU_DEP_2) | instskip(SKIP_1) | instid1(VALU_DEP_3)
	v_sub_nc_u32_e32 v118, 0x78, v115
	v_cmp_gt_u32_e32 vcc_lo, 0x79, v115
	v_or_b32_e32 v119, 0x800000, v116
	s_delay_alu instid0(VALU_DEP_3) | instskip(SKIP_2) | instid1(VALU_DEP_3)
	v_cndmask_b32_e32 v118, 0, v118, vcc_lo
	v_cmp_eq_u32_e32 vcc_lo, 0, v115
	v_add_nc_u32_e32 v115, 0xffffff89, v115
	v_cndmask_b32_e64 v118, v118, 0x77, vcc_lo
	v_cndmask_b32_e32 v116, v119, v116, vcc_lo
	s_delay_alu instid0(VALU_DEP_3) | instskip(NEXT) | instid1(VALU_DEP_3)
	v_cndmask_b32_e64 v115, v115, 0xffffff8a, vcc_lo
	v_lshl_add_u32 v119, 0x100000, v118, -1
	s_delay_alu instid0(VALU_DEP_3) | instskip(SKIP_1) | instid1(VALU_DEP_4)
	v_lshrrev_b32_e32 v128, v118, v116
	v_lshlrev_b32_e64 v130, v118, 0x80000
	v_add_nc_u32_e32 v118, v118, v115
	s_delay_alu instid0(VALU_DEP_4) | instskip(NEXT) | instid1(VALU_DEP_4)
	v_and_b32_e32 v116, v119, v116
	v_bfe_u32 v129, v128, 20, 1
	s_delay_alu instid0(VALU_DEP_2) | instskip(NEXT) | instid1(VALU_DEP_2)
	v_cmp_eq_u32_e64 s7, v116, v130
	v_add_nc_u32_e32 v119, -1, v129
	s_delay_alu instid0(VALU_DEP_1) | instskip(SKIP_2) | instid1(VALU_DEP_2)
	v_cndmask_b32_e64 v116, 0, v119, s7
	v_lshrrev_b32_e32 v119, 23, v128
	s_mov_b32 s7, exec_lo
	v_add_nc_u32_e32 v116, v116, v128
	s_delay_alu instid0(VALU_DEP_2) | instskip(NEXT) | instid1(VALU_DEP_2)
	v_xor_b32_e32 v119, 1, v119
	v_and_b32_e32 v115, 0xfffff, v116
	s_delay_alu instid0(VALU_DEP_1) | instskip(NEXT) | instid1(VALU_DEP_3)
	v_add_nc_u32_e32 v116, v115, v128
                                        ; implicit-def: $vgpr115
	v_cmpx_ne_u32_e64 v118, v119
	s_xor_b32 s7, exec_lo, s7
; %bb.3557:                             ;   in Loop: Header=BB4_3272 Depth=2
	s_delay_alu instid0(VALU_DEP_2) | instskip(SKIP_2) | instid1(VALU_DEP_2)
	v_cmp_lt_u32_e32 vcc_lo, 0xffffff, v116
	v_sub_nc_u32_e32 v115, v118, v119
	v_cndmask_b32_e64 v118, 0, 1, vcc_lo
	v_add_co_ci_u32_e32 v115, vcc_lo, 0, v115, vcc_lo
	s_delay_alu instid0(VALU_DEP_2)
	v_lshrrev_b32_e32 v116, v118, v116
; %bb.3558:                             ;   in Loop: Header=BB4_3272 Depth=2
	s_and_not1_saveexec_b32 s7, s7
; %bb.3559:                             ;   in Loop: Header=BB4_3272 Depth=2
	s_delay_alu instid0(VALU_DEP_1)
	v_bfe_u32 v115, v116, 23, 1
; %bb.3560:                             ;   in Loop: Header=BB4_3272 Depth=2
	s_or_b32 exec_lo, exec_lo, s7
	v_lshrrev_b32_e32 v116, 20, v116
	s_delay_alu instid0(VALU_DEP_2) | instskip(SKIP_2) | instid1(VALU_DEP_2)
	v_cmp_gt_i32_e32 vcc_lo, 16, v115
	v_lshrrev_b32_e32 v117, 24, v117
	v_min_i32_e32 v118, 15, v115
	v_dual_cndmask_b32 v116, 7, v116 :: v_dual_and_b32 v117, 0x80, v117
	s_delay_alu instid0(VALU_DEP_1) | instskip(SKIP_1) | instid1(VALU_DEP_2)
	v_or_b32_e32 v115, v115, v116
	v_and_b32_e32 v119, 7, v116
	v_cmp_ne_u32_e32 vcc_lo, 0, v115
	v_lshlrev_b32_e32 v118, 3, v118
	s_delay_alu instid0(VALU_DEP_1) | instskip(NEXT) | instid1(VALU_DEP_1)
	v_or3_b32 v116, v118, v117, v119
	v_cndmask_b32_e32 v115, 0, v116, vcc_lo
.LBB4_3561:                             ;   in Loop: Header=BB4_3272 Depth=2
	s_or_b32 exec_lo, exec_lo, s25
.LBB4_3562:                             ;   in Loop: Header=BB4_3272 Depth=2
	s_delay_alu instid0(SALU_CYCLE_1)
	s_or_b32 exec_lo, exec_lo, s24
	v_lshrrev_b32_e32 v117, 16, v24
	v_lshrrev_b32_e32 v116, 16, v20
	s_and_b32 vcc_lo, exec_lo, s23
	s_cbranch_vccz .LBB4_3572
; %bb.3563:                             ;   in Loop: Header=BB4_3272 Depth=2
	s_delay_alu instid0(VALU_DEP_2) | instskip(SKIP_2) | instid1(VALU_DEP_1)
	v_and_b32_e32 v119, 0xff, v117
	s_mov_b32 s7, 0
	s_mov_b32 s25, exec_lo
                                        ; implicit-def: $sgpr24
	v_cmpx_lt_i16_e32 0x7f, v119
	s_xor_b32 s25, exec_lo, s25
	s_cbranch_execnz .LBB4_4358
; %bb.3564:                             ;   in Loop: Header=BB4_3272 Depth=2
	s_or_saveexec_b32 s25, s25
	v_mov_b32_e32 v118, s24
	s_xor_b32 exec_lo, exec_lo, s25
	s_cbranch_execnz .LBB4_4361
.LBB4_3565:                             ;   in Loop: Header=BB4_3272 Depth=2
	s_or_b32 exec_lo, exec_lo, s25
	s_and_saveexec_b32 s24, s7
	s_cbranch_execz .LBB4_3567
.LBB4_3566:                             ;   in Loop: Header=BB4_3272 Depth=2
	v_bfe_u32 v118, v24, 16, 3
	v_bfe_u32 v129, v24, 19, 4
	v_lshlrev_b32_e32 v130, 24, v117
	s_delay_alu instid0(VALU_DEP_3) | instskip(NEXT) | instid1(VALU_DEP_3)
	v_clz_i32_u32_e32 v119, v118
	v_cmp_eq_u32_e32 vcc_lo, 0, v129
	s_delay_alu instid0(VALU_DEP_2) | instskip(NEXT) | instid1(VALU_DEP_1)
	v_min_u32_e32 v119, 32, v119
	v_subrev_nc_u32_e32 v128, 28, v119
	v_sub_nc_u32_e32 v119, 29, v119
	s_delay_alu instid0(VALU_DEP_1) | instskip(NEXT) | instid1(VALU_DEP_1)
	v_dual_cndmask_b32 v119, v129, v119 :: v_dual_lshlrev_b32 v128, v128, v117
	v_and_b32_e32 v128, 7, v128
	s_delay_alu instid0(VALU_DEP_2) | instskip(NEXT) | instid1(VALU_DEP_2)
	v_lshl_add_u32 v119, v119, 23, 0x3b800000
	v_cndmask_b32_e32 v118, v118, v128, vcc_lo
	v_and_b32_e32 v128, 0x80000000, v130
	s_delay_alu instid0(VALU_DEP_2) | instskip(NEXT) | instid1(VALU_DEP_1)
	v_lshlrev_b32_e32 v118, 20, v118
	v_or3_b32 v118, v128, v119, v118
.LBB4_3567:                             ;   in Loop: Header=BB4_3272 Depth=2
	s_or_b32 exec_lo, exec_lo, s24
	v_and_b32_e32 v128, 0xff, v116
	s_mov_b32 s7, 0
	s_mov_b32 s25, exec_lo
                                        ; implicit-def: $sgpr24
	s_delay_alu instid0(VALU_DEP_1)
	v_cmpx_lt_i16_e64 0x7f, v128
	s_xor_b32 s25, exec_lo, s25
	s_cbranch_execnz .LBB4_4362
; %bb.3568:                             ;   in Loop: Header=BB4_3272 Depth=2
	s_or_saveexec_b32 s25, s25
	v_mov_b32_e32 v119, s24
	s_xor_b32 exec_lo, exec_lo, s25
	s_cbranch_execnz .LBB4_4365
.LBB4_3569:                             ;   in Loop: Header=BB4_3272 Depth=2
	s_or_b32 exec_lo, exec_lo, s25
	s_and_saveexec_b32 s24, s7
	s_cbranch_execz .LBB4_3571
.LBB4_3570:                             ;   in Loop: Header=BB4_3272 Depth=2
	v_bfe_u32 v119, v20, 16, 3
	v_bfe_u32 v130, v20, 19, 4
	v_lshlrev_b32_e32 v131, 24, v116
	s_delay_alu instid0(VALU_DEP_3) | instskip(NEXT) | instid1(VALU_DEP_3)
	v_clz_i32_u32_e32 v128, v119
	v_cmp_eq_u32_e32 vcc_lo, 0, v130
	s_delay_alu instid0(VALU_DEP_2) | instskip(NEXT) | instid1(VALU_DEP_1)
	v_min_u32_e32 v128, 32, v128
	v_subrev_nc_u32_e32 v129, 28, v128
	v_sub_nc_u32_e32 v128, 29, v128
	s_delay_alu instid0(VALU_DEP_2) | instskip(NEXT) | instid1(VALU_DEP_1)
	v_lshlrev_b32_e32 v129, v129, v116
	v_dual_cndmask_b32 v128, v130, v128 :: v_dual_and_b32 v129, 7, v129
	s_delay_alu instid0(VALU_DEP_1) | instskip(NEXT) | instid1(VALU_DEP_2)
	v_lshl_add_u32 v128, v128, 23, 0x3b800000
	v_cndmask_b32_e32 v119, v119, v129, vcc_lo
	v_and_b32_e32 v129, 0x80000000, v131
	s_delay_alu instid0(VALU_DEP_2) | instskip(NEXT) | instid1(VALU_DEP_1)
	v_lshlrev_b32_e32 v119, 20, v119
	v_or3_b32 v119, v129, v128, v119
.LBB4_3571:                             ;   in Loop: Header=BB4_3272 Depth=2
	s_or_b32 exec_lo, exec_lo, s24
	s_delay_alu instid0(VALU_DEP_1) | instskip(SKIP_1) | instid1(VALU_DEP_1)
	v_dual_max_f32 v119, v119, v119 :: v_dual_max_f32 v118, v118, v118
	s_mov_b32 s7, 0
	v_max_f32_e32 v118, v118, v119
	s_branch .LBB4_3573
.LBB4_3572:                             ;   in Loop: Header=BB4_3272 Depth=2
	s_mov_b32 s7, -1
                                        ; implicit-def: $vgpr118
.LBB4_3573:                             ;   in Loop: Header=BB4_3272 Depth=2
	s_delay_alu instid0(SALU_CYCLE_1)
	s_and_b32 vcc_lo, exec_lo, s7
	s_cbranch_vccz .LBB4_3583
; %bb.3574:                             ;   in Loop: Header=BB4_3272 Depth=2
	v_and_b32_e32 v119, 0xff, v117
	s_mov_b32 s7, 0
	s_mov_b32 s25, exec_lo
                                        ; implicit-def: $sgpr24
	s_delay_alu instid0(VALU_DEP_1)
	v_cmpx_lt_i16_e32 0x7f, v119
	s_xor_b32 s25, exec_lo, s25
	s_cbranch_execnz .LBB4_4366
; %bb.3575:                             ;   in Loop: Header=BB4_3272 Depth=2
	s_or_saveexec_b32 s25, s25
	v_mov_b32_e32 v118, s24
	s_xor_b32 exec_lo, exec_lo, s25
	s_cbranch_execnz .LBB4_4369
.LBB4_3576:                             ;   in Loop: Header=BB4_3272 Depth=2
	s_or_b32 exec_lo, exec_lo, s25
	s_and_saveexec_b32 s24, s7
	s_cbranch_execz .LBB4_3578
.LBB4_3577:                             ;   in Loop: Header=BB4_3272 Depth=2
	v_bfe_u32 v118, v24, 16, 3
	v_bfe_u32 v129, v24, 19, 4
	s_delay_alu instid0(VALU_DEP_2) | instskip(NEXT) | instid1(VALU_DEP_2)
	v_clz_i32_u32_e32 v119, v118
	v_cmp_eq_u32_e32 vcc_lo, 0, v129
	s_delay_alu instid0(VALU_DEP_2) | instskip(NEXT) | instid1(VALU_DEP_1)
	v_min_u32_e32 v119, 32, v119
	v_subrev_nc_u32_e32 v128, 28, v119
	v_sub_nc_u32_e32 v119, 29, v119
	s_delay_alu instid0(VALU_DEP_1) | instskip(NEXT) | instid1(VALU_DEP_1)
	v_dual_cndmask_b32 v119, v129, v119 :: v_dual_lshlrev_b32 v128, v128, v117
	v_and_b32_e32 v128, 7, v128
	v_lshlrev_b32_e32 v117, 24, v117
	s_delay_alu instid0(VALU_DEP_3) | instskip(NEXT) | instid1(VALU_DEP_2)
	v_lshl_add_u32 v119, v119, 23, 0x3b800000
	v_dual_cndmask_b32 v118, v118, v128 :: v_dual_and_b32 v117, 0x80000000, v117
	s_delay_alu instid0(VALU_DEP_1) | instskip(NEXT) | instid1(VALU_DEP_1)
	v_lshlrev_b32_e32 v118, 20, v118
	v_or3_b32 v118, v117, v119, v118
.LBB4_3578:                             ;   in Loop: Header=BB4_3272 Depth=2
	s_or_b32 exec_lo, exec_lo, s24
	v_and_b32_e32 v119, 0xff, v116
	s_mov_b32 s7, 0
	s_mov_b32 s25, exec_lo
                                        ; implicit-def: $sgpr24
	s_delay_alu instid0(VALU_DEP_1)
	v_cmpx_lt_i16_e32 0x7f, v119
	s_xor_b32 s25, exec_lo, s25
	s_cbranch_execnz .LBB4_4370
; %bb.3579:                             ;   in Loop: Header=BB4_3272 Depth=2
	s_or_saveexec_b32 s25, s25
	v_mov_b32_e32 v117, s24
	s_xor_b32 exec_lo, exec_lo, s25
	s_cbranch_execnz .LBB4_4373
.LBB4_3580:                             ;   in Loop: Header=BB4_3272 Depth=2
	s_or_b32 exec_lo, exec_lo, s25
	s_and_saveexec_b32 s24, s7
	s_cbranch_execz .LBB4_3582
.LBB4_3581:                             ;   in Loop: Header=BB4_3272 Depth=2
	v_bfe_u32 v117, v20, 16, 3
	v_bfe_u32 v129, v20, 19, 4
	s_delay_alu instid0(VALU_DEP_2) | instskip(NEXT) | instid1(VALU_DEP_2)
	v_clz_i32_u32_e32 v119, v117
	v_cmp_eq_u32_e32 vcc_lo, 0, v129
	s_delay_alu instid0(VALU_DEP_2) | instskip(NEXT) | instid1(VALU_DEP_1)
	v_min_u32_e32 v119, 32, v119
	v_subrev_nc_u32_e32 v128, 28, v119
	v_sub_nc_u32_e32 v119, 29, v119
	s_delay_alu instid0(VALU_DEP_1) | instskip(SKIP_1) | instid1(VALU_DEP_2)
	v_dual_cndmask_b32 v119, v129, v119 :: v_dual_lshlrev_b32 v128, v128, v116
	v_lshlrev_b32_e32 v116, 24, v116
	v_and_b32_e32 v128, 7, v128
	s_delay_alu instid0(VALU_DEP_3) | instskip(NEXT) | instid1(VALU_DEP_3)
	v_lshl_add_u32 v119, v119, 23, 0x3b800000
	v_and_b32_e32 v116, 0x80000000, v116
	s_delay_alu instid0(VALU_DEP_3) | instskip(NEXT) | instid1(VALU_DEP_1)
	v_cndmask_b32_e32 v117, v117, v128, vcc_lo
	v_lshlrev_b32_e32 v117, 20, v117
	s_delay_alu instid0(VALU_DEP_1)
	v_or3_b32 v117, v116, v119, v117
.LBB4_3582:                             ;   in Loop: Header=BB4_3272 Depth=2
	s_or_b32 exec_lo, exec_lo, s24
	s_delay_alu instid0(VALU_DEP_1) | instskip(NEXT) | instid1(VALU_DEP_1)
	v_dual_max_f32 v116, v117, v117 :: v_dual_max_f32 v117, v118, v118
	v_min_f32_e32 v118, v117, v116
.LBB4_3583:                             ;   in Loop: Header=BB4_3272 Depth=2
	s_delay_alu instid0(VALU_DEP_1) | instskip(NEXT) | instid1(VALU_DEP_1)
	v_and_b32_e32 v116, 0x7f800000, v118
	v_cmp_ne_u32_e32 vcc_lo, 0x7f800000, v116
	v_mov_b32_e32 v116, 0x80
	s_and_saveexec_b32 s24, vcc_lo
	s_cbranch_execz .LBB4_3591
; %bb.3584:                             ;   in Loop: Header=BB4_3272 Depth=2
	v_mov_b32_e32 v116, 0
	s_mov_b32 s25, exec_lo
	v_cmpx_ne_u32_e32 0, v118
	s_cbranch_execz .LBB4_3590
; %bb.3585:                             ;   in Loop: Header=BB4_3272 Depth=2
	v_bfe_u32 v116, v118, 23, 8
	v_and_b32_e32 v117, 0x7fffff, v118
	s_delay_alu instid0(VALU_DEP_2) | instskip(SKIP_1) | instid1(VALU_DEP_3)
	v_sub_nc_u32_e32 v119, 0x78, v116
	v_cmp_gt_u32_e32 vcc_lo, 0x79, v116
	v_or_b32_e32 v128, 0x800000, v117
	s_delay_alu instid0(VALU_DEP_3) | instskip(SKIP_2) | instid1(VALU_DEP_3)
	v_cndmask_b32_e32 v119, 0, v119, vcc_lo
	v_cmp_eq_u32_e32 vcc_lo, 0, v116
	v_add_nc_u32_e32 v116, 0xffffff89, v116
	v_cndmask_b32_e64 v119, v119, 0x77, vcc_lo
	v_cndmask_b32_e32 v117, v128, v117, vcc_lo
	s_delay_alu instid0(VALU_DEP_3) | instskip(NEXT) | instid1(VALU_DEP_3)
	v_cndmask_b32_e64 v116, v116, 0xffffff8a, vcc_lo
	v_lshl_add_u32 v128, 0x100000, v119, -1
	s_delay_alu instid0(VALU_DEP_3) | instskip(SKIP_1) | instid1(VALU_DEP_4)
	v_lshrrev_b32_e32 v129, v119, v117
	v_lshlrev_b32_e64 v131, v119, 0x80000
	v_add_nc_u32_e32 v119, v119, v116
	s_delay_alu instid0(VALU_DEP_4) | instskip(NEXT) | instid1(VALU_DEP_4)
	v_and_b32_e32 v117, v128, v117
	v_bfe_u32 v130, v129, 20, 1
	s_delay_alu instid0(VALU_DEP_2) | instskip(NEXT) | instid1(VALU_DEP_2)
	v_cmp_eq_u32_e64 s7, v117, v131
	v_add_nc_u32_e32 v128, -1, v130
	s_delay_alu instid0(VALU_DEP_1) | instskip(SKIP_2) | instid1(VALU_DEP_2)
	v_cndmask_b32_e64 v117, 0, v128, s7
	v_lshrrev_b32_e32 v128, 23, v129
	s_mov_b32 s7, exec_lo
	v_add_nc_u32_e32 v117, v117, v129
	s_delay_alu instid0(VALU_DEP_2) | instskip(NEXT) | instid1(VALU_DEP_2)
	v_xor_b32_e32 v128, 1, v128
	v_and_b32_e32 v116, 0xfffff, v117
	s_delay_alu instid0(VALU_DEP_1) | instskip(NEXT) | instid1(VALU_DEP_3)
	v_add_nc_u32_e32 v117, v116, v129
                                        ; implicit-def: $vgpr116
	v_cmpx_ne_u32_e64 v119, v128
	s_xor_b32 s7, exec_lo, s7
; %bb.3586:                             ;   in Loop: Header=BB4_3272 Depth=2
	s_delay_alu instid0(VALU_DEP_2) | instskip(SKIP_2) | instid1(VALU_DEP_2)
	v_cmp_lt_u32_e32 vcc_lo, 0xffffff, v117
	v_sub_nc_u32_e32 v116, v119, v128
	v_cndmask_b32_e64 v119, 0, 1, vcc_lo
	v_add_co_ci_u32_e32 v116, vcc_lo, 0, v116, vcc_lo
	s_delay_alu instid0(VALU_DEP_2)
	v_lshrrev_b32_e32 v117, v119, v117
; %bb.3587:                             ;   in Loop: Header=BB4_3272 Depth=2
	s_and_not1_saveexec_b32 s7, s7
; %bb.3588:                             ;   in Loop: Header=BB4_3272 Depth=2
	s_delay_alu instid0(VALU_DEP_1)
	v_bfe_u32 v116, v117, 23, 1
; %bb.3589:                             ;   in Loop: Header=BB4_3272 Depth=2
	s_or_b32 exec_lo, exec_lo, s7
	v_lshrrev_b32_e32 v117, 20, v117
	s_delay_alu instid0(VALU_DEP_2) | instskip(SKIP_2) | instid1(VALU_DEP_2)
	v_cmp_gt_i32_e32 vcc_lo, 16, v116
	v_lshrrev_b32_e32 v118, 24, v118
	v_min_i32_e32 v119, 15, v116
	v_dual_cndmask_b32 v117, 7, v117 :: v_dual_and_b32 v118, 0x80, v118
	s_delay_alu instid0(VALU_DEP_1) | instskip(SKIP_1) | instid1(VALU_DEP_2)
	v_or_b32_e32 v116, v116, v117
	v_and_b32_e32 v128, 7, v117
	v_cmp_ne_u32_e32 vcc_lo, 0, v116
	v_lshlrev_b32_e32 v119, 3, v119
	s_delay_alu instid0(VALU_DEP_1) | instskip(NEXT) | instid1(VALU_DEP_1)
	v_or3_b32 v117, v119, v118, v128
	v_cndmask_b32_e32 v116, 0, v117, vcc_lo
.LBB4_3590:                             ;   in Loop: Header=BB4_3272 Depth=2
	s_or_b32 exec_lo, exec_lo, s25
.LBB4_3591:                             ;   in Loop: Header=BB4_3272 Depth=2
	s_delay_alu instid0(SALU_CYCLE_1)
	s_or_b32 exec_lo, exec_lo, s24
	v_lshrrev_b32_e32 v118, 24, v24
	v_lshrrev_b32_e32 v117, 24, v20
	s_and_b32 vcc_lo, exec_lo, s23
	s_cbranch_vccz .LBB4_3601
; %bb.3592:                             ;   in Loop: Header=BB4_3272 Depth=2
	s_mov_b32 s7, 0
	s_mov_b32 s25, exec_lo
                                        ; implicit-def: $sgpr24
	v_cmpx_lt_i16_e32 0x7f, v118
	s_xor_b32 s25, exec_lo, s25
	s_cbranch_execnz .LBB4_4374
; %bb.3593:                             ;   in Loop: Header=BB4_3272 Depth=2
	s_or_saveexec_b32 s25, s25
	v_mov_b32_e32 v119, s24
	s_xor_b32 exec_lo, exec_lo, s25
	s_cbranch_execnz .LBB4_4377
.LBB4_3594:                             ;   in Loop: Header=BB4_3272 Depth=2
	s_or_b32 exec_lo, exec_lo, s25
	s_and_saveexec_b32 s24, s7
	s_cbranch_execz .LBB4_3596
.LBB4_3595:                             ;   in Loop: Header=BB4_3272 Depth=2
	v_bfe_u32 v119, v24, 24, 3
	v_bfe_u32 v130, v24, 27, 4
	s_delay_alu instid0(VALU_DEP_2) | instskip(NEXT) | instid1(VALU_DEP_2)
	v_clz_i32_u32_e32 v128, v119
	v_cmp_eq_u32_e32 vcc_lo, 0, v130
	s_delay_alu instid0(VALU_DEP_2) | instskip(NEXT) | instid1(VALU_DEP_1)
	v_min_u32_e32 v128, 32, v128
	v_subrev_nc_u32_e32 v129, 28, v128
	v_sub_nc_u32_e32 v128, 29, v128
	s_delay_alu instid0(VALU_DEP_1) | instskip(NEXT) | instid1(VALU_DEP_1)
	v_dual_cndmask_b32 v128, v130, v128 :: v_dual_lshlrev_b32 v129, v129, v118
	v_and_b32_e32 v129, 7, v129
	s_delay_alu instid0(VALU_DEP_2) | instskip(NEXT) | instid1(VALU_DEP_2)
	v_lshl_add_u32 v128, v128, 23, 0x3b800000
	v_cndmask_b32_e32 v119, v119, v129, vcc_lo
	v_and_b32_e32 v129, 0x80000000, v24
	s_delay_alu instid0(VALU_DEP_2) | instskip(NEXT) | instid1(VALU_DEP_1)
	v_lshlrev_b32_e32 v119, 20, v119
	v_or3_b32 v119, v129, v128, v119
.LBB4_3596:                             ;   in Loop: Header=BB4_3272 Depth=2
	s_or_b32 exec_lo, exec_lo, s24
	s_mov_b32 s7, 0
	s_mov_b32 s25, exec_lo
                                        ; implicit-def: $sgpr24
	v_cmpx_lt_i16_e32 0x7f, v117
	s_xor_b32 s25, exec_lo, s25
	s_cbranch_execnz .LBB4_4378
; %bb.3597:                             ;   in Loop: Header=BB4_3272 Depth=2
	s_or_saveexec_b32 s25, s25
	v_mov_b32_e32 v128, s24
	s_xor_b32 exec_lo, exec_lo, s25
	s_cbranch_execnz .LBB4_4381
.LBB4_3598:                             ;   in Loop: Header=BB4_3272 Depth=2
	s_or_b32 exec_lo, exec_lo, s25
	s_and_saveexec_b32 s24, s7
	s_cbranch_execz .LBB4_3600
.LBB4_3599:                             ;   in Loop: Header=BB4_3272 Depth=2
	v_bfe_u32 v128, v20, 24, 3
	v_bfe_u32 v131, v20, 27, 4
	s_delay_alu instid0(VALU_DEP_2) | instskip(NEXT) | instid1(VALU_DEP_2)
	v_clz_i32_u32_e32 v129, v128
	v_cmp_eq_u32_e32 vcc_lo, 0, v131
	s_delay_alu instid0(VALU_DEP_2) | instskip(NEXT) | instid1(VALU_DEP_1)
	v_min_u32_e32 v129, 32, v129
	v_subrev_nc_u32_e32 v130, 28, v129
	v_sub_nc_u32_e32 v129, 29, v129
	s_delay_alu instid0(VALU_DEP_2) | instskip(NEXT) | instid1(VALU_DEP_1)
	v_lshlrev_b32_e32 v130, v130, v117
	v_dual_cndmask_b32 v129, v131, v129 :: v_dual_and_b32 v130, 7, v130
	s_delay_alu instid0(VALU_DEP_1) | instskip(NEXT) | instid1(VALU_DEP_2)
	v_lshl_add_u32 v129, v129, 23, 0x3b800000
	v_cndmask_b32_e32 v128, v128, v130, vcc_lo
	v_and_b32_e32 v130, 0x80000000, v20
	s_delay_alu instid0(VALU_DEP_2) | instskip(NEXT) | instid1(VALU_DEP_1)
	v_lshlrev_b32_e32 v128, 20, v128
	v_or3_b32 v128, v130, v129, v128
.LBB4_3600:                             ;   in Loop: Header=BB4_3272 Depth=2
	s_or_b32 exec_lo, exec_lo, s24
	s_delay_alu instid0(VALU_DEP_1) | instskip(SKIP_1) | instid1(VALU_DEP_1)
	v_dual_max_f32 v128, v128, v128 :: v_dual_max_f32 v119, v119, v119
	s_mov_b32 s7, 0
	v_max_f32_e32 v119, v119, v128
	s_branch .LBB4_3602
.LBB4_3601:                             ;   in Loop: Header=BB4_3272 Depth=2
	s_mov_b32 s7, -1
                                        ; implicit-def: $vgpr119
.LBB4_3602:                             ;   in Loop: Header=BB4_3272 Depth=2
	s_delay_alu instid0(SALU_CYCLE_1)
	s_and_b32 vcc_lo, exec_lo, s7
	s_cbranch_vccz .LBB4_3612
; %bb.3603:                             ;   in Loop: Header=BB4_3272 Depth=2
	s_mov_b32 s7, 0
	s_mov_b32 s25, exec_lo
                                        ; implicit-def: $sgpr24
	v_cmpx_lt_i16_e32 0x7f, v118
	s_xor_b32 s25, exec_lo, s25
	s_cbranch_execnz .LBB4_4382
; %bb.3604:                             ;   in Loop: Header=BB4_3272 Depth=2
	s_or_saveexec_b32 s25, s25
	v_mov_b32_e32 v119, s24
	s_xor_b32 exec_lo, exec_lo, s25
	s_cbranch_execnz .LBB4_4385
.LBB4_3605:                             ;   in Loop: Header=BB4_3272 Depth=2
	s_or_b32 exec_lo, exec_lo, s25
	s_and_saveexec_b32 s24, s7
	s_cbranch_execz .LBB4_3607
.LBB4_3606:                             ;   in Loop: Header=BB4_3272 Depth=2
	v_bfe_u32 v119, v24, 24, 3
	s_delay_alu instid0(VALU_DEP_1) | instskip(NEXT) | instid1(VALU_DEP_1)
	v_clz_i32_u32_e32 v128, v119
	v_min_u32_e32 v128, 32, v128
	s_delay_alu instid0(VALU_DEP_1) | instskip(SKIP_1) | instid1(VALU_DEP_2)
	v_subrev_nc_u32_e32 v129, 28, v128
	v_sub_nc_u32_e32 v128, 29, v128
	v_lshlrev_b32_e32 v118, v129, v118
	v_bfe_u32 v129, v24, 27, 4
	v_and_b32_e32 v24, 0x80000000, v24
	s_delay_alu instid0(VALU_DEP_3) | instskip(NEXT) | instid1(VALU_DEP_3)
	v_and_b32_e32 v118, 7, v118
	v_cmp_eq_u32_e32 vcc_lo, 0, v129
	v_cndmask_b32_e32 v128, v129, v128, vcc_lo
	s_delay_alu instid0(VALU_DEP_3) | instskip(NEXT) | instid1(VALU_DEP_2)
	v_cndmask_b32_e32 v118, v119, v118, vcc_lo
	v_lshl_add_u32 v119, v128, 23, 0x3b800000
	s_delay_alu instid0(VALU_DEP_2) | instskip(NEXT) | instid1(VALU_DEP_1)
	v_lshlrev_b32_e32 v118, 20, v118
	v_or3_b32 v119, v24, v119, v118
.LBB4_3607:                             ;   in Loop: Header=BB4_3272 Depth=2
	s_or_b32 exec_lo, exec_lo, s24
	s_mov_b32 s7, 0
	s_mov_b32 s25, exec_lo
                                        ; implicit-def: $sgpr24
	v_cmpx_lt_i16_e32 0x7f, v117
	s_xor_b32 s25, exec_lo, s25
	s_cbranch_execnz .LBB4_4386
; %bb.3608:                             ;   in Loop: Header=BB4_3272 Depth=2
	s_or_saveexec_b32 s25, s25
	v_mov_b32_e32 v24, s24
	s_xor_b32 exec_lo, exec_lo, s25
	s_cbranch_execnz .LBB4_4389
.LBB4_3609:                             ;   in Loop: Header=BB4_3272 Depth=2
	s_or_b32 exec_lo, exec_lo, s25
	s_and_saveexec_b32 s24, s7
	s_cbranch_execz .LBB4_3611
.LBB4_3610:                             ;   in Loop: Header=BB4_3272 Depth=2
	v_bfe_u32 v24, v20, 24, 3
	s_delay_alu instid0(VALU_DEP_1) | instskip(NEXT) | instid1(VALU_DEP_1)
	v_clz_i32_u32_e32 v118, v24
	v_min_u32_e32 v118, 32, v118
	s_delay_alu instid0(VALU_DEP_1) | instskip(SKIP_1) | instid1(VALU_DEP_2)
	v_subrev_nc_u32_e32 v128, 28, v118
	v_sub_nc_u32_e32 v118, 29, v118
	v_lshlrev_b32_e32 v117, v128, v117
	v_bfe_u32 v128, v20, 27, 4
	v_and_b32_e32 v20, 0x80000000, v20
	s_delay_alu instid0(VALU_DEP_2) | instskip(NEXT) | instid1(VALU_DEP_4)
	v_cmp_eq_u32_e32 vcc_lo, 0, v128
	v_dual_cndmask_b32 v118, v128, v118 :: v_dual_and_b32 v117, 7, v117
	s_delay_alu instid0(VALU_DEP_1) | instskip(NEXT) | instid1(VALU_DEP_2)
	v_cndmask_b32_e32 v24, v24, v117, vcc_lo
	v_lshl_add_u32 v117, v118, 23, 0x3b800000
	s_delay_alu instid0(VALU_DEP_2) | instskip(NEXT) | instid1(VALU_DEP_1)
	v_lshlrev_b32_e32 v24, 20, v24
	v_or3_b32 v24, v20, v117, v24
.LBB4_3611:                             ;   in Loop: Header=BB4_3272 Depth=2
	s_or_b32 exec_lo, exec_lo, s24
	s_delay_alu instid0(VALU_DEP_1) | instskip(SKIP_1) | instid1(VALU_DEP_1)
	v_max_f32_e32 v20, v24, v24
	v_max_f32_e32 v24, v119, v119
	v_min_f32_e32 v119, v24, v20
.LBB4_3612:                             ;   in Loop: Header=BB4_3272 Depth=2
	s_delay_alu instid0(VALU_DEP_1) | instskip(NEXT) | instid1(VALU_DEP_1)
	v_and_b32_e32 v20, 0x7f800000, v119
	v_cmp_ne_u32_e32 vcc_lo, 0x7f800000, v20
	v_mov_b32_e32 v20, 0x80
	s_and_saveexec_b32 s24, vcc_lo
	s_cbranch_execz .LBB4_3620
; %bb.3613:                             ;   in Loop: Header=BB4_3272 Depth=2
	v_mov_b32_e32 v20, 0
	s_mov_b32 s25, exec_lo
	v_cmpx_ne_u32_e32 0, v119
	s_cbranch_execz .LBB4_3619
; %bb.3614:                             ;   in Loop: Header=BB4_3272 Depth=2
	v_bfe_u32 v20, v119, 23, 8
	s_delay_alu instid0(VALU_DEP_1) | instskip(SKIP_1) | instid1(VALU_DEP_2)
	v_sub_nc_u32_e32 v117, 0x78, v20
	v_cmp_gt_u32_e32 vcc_lo, 0x79, v20
	v_dual_cndmask_b32 v117, 0, v117 :: v_dual_and_b32 v24, 0x7fffff, v119
	s_delay_alu instid0(VALU_DEP_1) | instskip(SKIP_2) | instid1(VALU_DEP_4)
	v_or_b32_e32 v118, 0x800000, v24
	v_cmp_eq_u32_e32 vcc_lo, 0, v20
	v_add_nc_u32_e32 v20, 0xffffff89, v20
	v_cndmask_b32_e64 v117, v117, 0x77, vcc_lo
	s_delay_alu instid0(VALU_DEP_4) | instskip(NEXT) | instid1(VALU_DEP_3)
	v_cndmask_b32_e32 v24, v118, v24, vcc_lo
	v_cndmask_b32_e64 v20, v20, 0xffffff8a, vcc_lo
	s_delay_alu instid0(VALU_DEP_3) | instskip(NEXT) | instid1(VALU_DEP_3)
	v_lshl_add_u32 v118, 0x100000, v117, -1
	v_lshrrev_b32_e32 v128, v117, v24
	v_lshlrev_b32_e64 v130, v117, 0x80000
	s_delay_alu instid0(VALU_DEP_4) | instskip(NEXT) | instid1(VALU_DEP_4)
	v_add_nc_u32_e32 v117, v117, v20
	v_and_b32_e32 v24, v118, v24
	s_delay_alu instid0(VALU_DEP_4) | instskip(NEXT) | instid1(VALU_DEP_2)
	v_bfe_u32 v129, v128, 20, 1
	v_cmp_eq_u32_e64 s7, v24, v130
	s_delay_alu instid0(VALU_DEP_2) | instskip(NEXT) | instid1(VALU_DEP_1)
	v_add_nc_u32_e32 v118, -1, v129
	v_cndmask_b32_e64 v24, 0, v118, s7
	v_lshrrev_b32_e32 v118, 23, v128
	s_mov_b32 s7, exec_lo
	s_delay_alu instid0(VALU_DEP_2) | instskip(NEXT) | instid1(VALU_DEP_2)
	v_add_nc_u32_e32 v24, v24, v128
	v_xor_b32_e32 v118, 1, v118
	s_delay_alu instid0(VALU_DEP_2) | instskip(NEXT) | instid1(VALU_DEP_1)
	v_and_b32_e32 v20, 0xfffff, v24
	v_add_nc_u32_e32 v24, v20, v128
                                        ; implicit-def: $vgpr20
	s_delay_alu instid0(VALU_DEP_3)
	v_cmpx_ne_u32_e64 v117, v118
	s_xor_b32 s7, exec_lo, s7
; %bb.3615:                             ;   in Loop: Header=BB4_3272 Depth=2
	s_delay_alu instid0(VALU_DEP_2) | instskip(SKIP_2) | instid1(VALU_DEP_2)
	v_cmp_lt_u32_e32 vcc_lo, 0xffffff, v24
	v_sub_nc_u32_e32 v20, v117, v118
	v_cndmask_b32_e64 v117, 0, 1, vcc_lo
	v_add_co_ci_u32_e32 v20, vcc_lo, 0, v20, vcc_lo
	s_delay_alu instid0(VALU_DEP_2)
	v_lshrrev_b32_e32 v24, v117, v24
; %bb.3616:                             ;   in Loop: Header=BB4_3272 Depth=2
	s_and_not1_saveexec_b32 s7, s7
; %bb.3617:                             ;   in Loop: Header=BB4_3272 Depth=2
	s_delay_alu instid0(VALU_DEP_1)
	v_bfe_u32 v20, v24, 23, 1
; %bb.3618:                             ;   in Loop: Header=BB4_3272 Depth=2
	s_or_b32 exec_lo, exec_lo, s7
	v_lshrrev_b32_e32 v24, 20, v24
	s_delay_alu instid0(VALU_DEP_2) | instskip(SKIP_2) | instid1(VALU_DEP_2)
	v_cmp_gt_i32_e32 vcc_lo, 16, v20
	v_lshrrev_b32_e32 v117, 24, v119
	v_min_i32_e32 v118, 15, v20
	v_dual_cndmask_b32 v24, 7, v24 :: v_dual_and_b32 v117, 0x80, v117
	s_delay_alu instid0(VALU_DEP_2) | instskip(NEXT) | instid1(VALU_DEP_2)
	v_lshlrev_b32_e32 v118, 3, v118
	v_and_b32_e32 v119, 7, v24
	v_or_b32_e32 v20, v20, v24
	s_delay_alu instid0(VALU_DEP_2) | instskip(NEXT) | instid1(VALU_DEP_2)
	v_or3_b32 v24, v118, v117, v119
	v_cmp_ne_u32_e32 vcc_lo, 0, v20
	s_delay_alu instid0(VALU_DEP_2)
	v_cndmask_b32_e32 v20, 0, v24, vcc_lo
.LBB4_3619:                             ;   in Loop: Header=BB4_3272 Depth=2
	s_or_b32 exec_lo, exec_lo, s25
.LBB4_3620:                             ;   in Loop: Header=BB4_3272 Depth=2
	s_delay_alu instid0(SALU_CYCLE_1) | instskip(NEXT) | instid1(SALU_CYCLE_1)
	s_or_b32 exec_lo, exec_lo, s24
	s_and_b32 vcc_lo, exec_lo, s23
	s_cbranch_vccz .LBB4_3630
; %bb.3621:                             ;   in Loop: Header=BB4_3272 Depth=2
	v_and_b32_e32 v117, 0xff, v25
	s_mov_b32 s7, 0
	s_mov_b32 s25, exec_lo
                                        ; implicit-def: $sgpr24
	s_delay_alu instid0(VALU_DEP_1)
	v_cmpx_lt_i16_e32 0x7f, v117
	s_xor_b32 s25, exec_lo, s25
	s_cbranch_execnz .LBB4_4390
; %bb.3622:                             ;   in Loop: Header=BB4_3272 Depth=2
	s_or_saveexec_b32 s25, s25
	v_mov_b32_e32 v24, s24
	s_xor_b32 exec_lo, exec_lo, s25
	s_cbranch_execnz .LBB4_4393
.LBB4_3623:                             ;   in Loop: Header=BB4_3272 Depth=2
	s_or_b32 exec_lo, exec_lo, s25
	s_and_saveexec_b32 s24, s7
	s_cbranch_execz .LBB4_3625
.LBB4_3624:                             ;   in Loop: Header=BB4_3272 Depth=2
	v_and_b32_e32 v24, 7, v25
	v_bfe_u32 v119, v25, 3, 4
	v_lshlrev_b32_e32 v128, 24, v25
	s_delay_alu instid0(VALU_DEP_3) | instskip(NEXT) | instid1(VALU_DEP_3)
	v_clz_i32_u32_e32 v117, v24
	v_cmp_eq_u32_e32 vcc_lo, 0, v119
	s_delay_alu instid0(VALU_DEP_2) | instskip(NEXT) | instid1(VALU_DEP_1)
	v_min_u32_e32 v117, 32, v117
	v_subrev_nc_u32_e32 v118, 28, v117
	v_sub_nc_u32_e32 v117, 29, v117
	s_delay_alu instid0(VALU_DEP_2) | instskip(NEXT) | instid1(VALU_DEP_1)
	v_lshlrev_b32_e32 v118, v118, v25
	v_dual_cndmask_b32 v117, v119, v117 :: v_dual_and_b32 v118, 7, v118
	s_delay_alu instid0(VALU_DEP_1) | instskip(NEXT) | instid1(VALU_DEP_2)
	v_lshl_add_u32 v117, v117, 23, 0x3b800000
	v_cndmask_b32_e32 v24, v24, v118, vcc_lo
	v_and_b32_e32 v118, 0x80000000, v128
	s_delay_alu instid0(VALU_DEP_2) | instskip(NEXT) | instid1(VALU_DEP_1)
	v_lshlrev_b32_e32 v24, 20, v24
	v_or3_b32 v24, v118, v117, v24
.LBB4_3625:                             ;   in Loop: Header=BB4_3272 Depth=2
	s_or_b32 exec_lo, exec_lo, s24
	v_and_b32_e32 v118, 0xff, v21
	s_mov_b32 s7, 0
	s_mov_b32 s25, exec_lo
                                        ; implicit-def: $sgpr24
	s_delay_alu instid0(VALU_DEP_1)
	v_cmpx_lt_i16_e32 0x7f, v118
	s_xor_b32 s25, exec_lo, s25
	s_cbranch_execnz .LBB4_4394
; %bb.3626:                             ;   in Loop: Header=BB4_3272 Depth=2
	s_or_saveexec_b32 s25, s25
	v_mov_b32_e32 v117, s24
	s_xor_b32 exec_lo, exec_lo, s25
	s_cbranch_execnz .LBB4_4397
.LBB4_3627:                             ;   in Loop: Header=BB4_3272 Depth=2
	s_or_b32 exec_lo, exec_lo, s25
	s_and_saveexec_b32 s24, s7
	s_cbranch_execz .LBB4_3629
.LBB4_3628:                             ;   in Loop: Header=BB4_3272 Depth=2
	v_bfe_u32 v128, v21, 3, 4
	v_lshlrev_b32_e32 v129, 24, v21
	s_delay_alu instid0(VALU_DEP_2) | instskip(SKIP_1) | instid1(VALU_DEP_1)
	v_cmp_eq_u32_e32 vcc_lo, 0, v128
	v_and_b32_e32 v117, 7, v21
	v_clz_i32_u32_e32 v118, v117
	s_delay_alu instid0(VALU_DEP_1) | instskip(NEXT) | instid1(VALU_DEP_1)
	v_min_u32_e32 v118, 32, v118
	v_subrev_nc_u32_e32 v119, 28, v118
	v_sub_nc_u32_e32 v118, 29, v118
	s_delay_alu instid0(VALU_DEP_1) | instskip(NEXT) | instid1(VALU_DEP_1)
	v_dual_cndmask_b32 v118, v128, v118 :: v_dual_lshlrev_b32 v119, v119, v21
	v_and_b32_e32 v119, 7, v119
	s_delay_alu instid0(VALU_DEP_2) | instskip(NEXT) | instid1(VALU_DEP_2)
	v_lshl_add_u32 v118, v118, 23, 0x3b800000
	v_cndmask_b32_e32 v117, v117, v119, vcc_lo
	v_and_b32_e32 v119, 0x80000000, v129
	s_delay_alu instid0(VALU_DEP_2) | instskip(NEXT) | instid1(VALU_DEP_1)
	v_lshlrev_b32_e32 v117, 20, v117
	v_or3_b32 v117, v119, v118, v117
.LBB4_3629:                             ;   in Loop: Header=BB4_3272 Depth=2
	s_or_b32 exec_lo, exec_lo, s24
	s_delay_alu instid0(VALU_DEP_1) | instskip(SKIP_1) | instid1(VALU_DEP_1)
	v_dual_max_f32 v117, v117, v117 :: v_dual_max_f32 v24, v24, v24
	s_mov_b32 s7, 0
	v_max_f32_e32 v117, v24, v117
	s_branch .LBB4_3631
.LBB4_3630:                             ;   in Loop: Header=BB4_3272 Depth=2
	s_mov_b32 s7, -1
                                        ; implicit-def: $vgpr117
.LBB4_3631:                             ;   in Loop: Header=BB4_3272 Depth=2
	s_delay_alu instid0(SALU_CYCLE_1)
	s_and_b32 vcc_lo, exec_lo, s7
	s_cbranch_vccz .LBB4_3641
; %bb.3632:                             ;   in Loop: Header=BB4_3272 Depth=2
	v_and_b32_e32 v117, 0xff, v25
	s_mov_b32 s7, 0
	s_mov_b32 s25, exec_lo
                                        ; implicit-def: $sgpr24
	s_delay_alu instid0(VALU_DEP_1)
	v_cmpx_lt_i16_e32 0x7f, v117
	s_xor_b32 s25, exec_lo, s25
	s_cbranch_execnz .LBB4_4398
; %bb.3633:                             ;   in Loop: Header=BB4_3272 Depth=2
	s_or_saveexec_b32 s25, s25
	v_mov_b32_e32 v24, s24
	s_xor_b32 exec_lo, exec_lo, s25
	s_cbranch_execnz .LBB4_4401
.LBB4_3634:                             ;   in Loop: Header=BB4_3272 Depth=2
	s_or_b32 exec_lo, exec_lo, s25
	s_and_saveexec_b32 s24, s7
	s_cbranch_execz .LBB4_3636
.LBB4_3635:                             ;   in Loop: Header=BB4_3272 Depth=2
	v_and_b32_e32 v24, 7, v25
	v_bfe_u32 v119, v25, 3, 4
	v_lshlrev_b32_e32 v128, 24, v25
	s_delay_alu instid0(VALU_DEP_3) | instskip(NEXT) | instid1(VALU_DEP_3)
	v_clz_i32_u32_e32 v117, v24
	v_cmp_eq_u32_e32 vcc_lo, 0, v119
	s_delay_alu instid0(VALU_DEP_2) | instskip(NEXT) | instid1(VALU_DEP_1)
	v_min_u32_e32 v117, 32, v117
	v_subrev_nc_u32_e32 v118, 28, v117
	v_sub_nc_u32_e32 v117, 29, v117
	s_delay_alu instid0(VALU_DEP_2) | instskip(NEXT) | instid1(VALU_DEP_1)
	v_lshlrev_b32_e32 v118, v118, v25
	v_dual_cndmask_b32 v117, v119, v117 :: v_dual_and_b32 v118, 7, v118
	s_delay_alu instid0(VALU_DEP_1) | instskip(NEXT) | instid1(VALU_DEP_2)
	v_lshl_add_u32 v117, v117, 23, 0x3b800000
	v_cndmask_b32_e32 v24, v24, v118, vcc_lo
	v_and_b32_e32 v118, 0x80000000, v128
	s_delay_alu instid0(VALU_DEP_2) | instskip(NEXT) | instid1(VALU_DEP_1)
	v_lshlrev_b32_e32 v24, 20, v24
	v_or3_b32 v24, v118, v117, v24
.LBB4_3636:                             ;   in Loop: Header=BB4_3272 Depth=2
	s_or_b32 exec_lo, exec_lo, s24
	v_and_b32_e32 v118, 0xff, v21
	s_mov_b32 s7, 0
	s_mov_b32 s25, exec_lo
                                        ; implicit-def: $sgpr24
	s_delay_alu instid0(VALU_DEP_1)
	v_cmpx_lt_i16_e32 0x7f, v118
	s_xor_b32 s25, exec_lo, s25
	s_cbranch_execnz .LBB4_4402
; %bb.3637:                             ;   in Loop: Header=BB4_3272 Depth=2
	s_or_saveexec_b32 s25, s25
	v_mov_b32_e32 v117, s24
	s_xor_b32 exec_lo, exec_lo, s25
	s_cbranch_execnz .LBB4_4405
.LBB4_3638:                             ;   in Loop: Header=BB4_3272 Depth=2
	s_or_b32 exec_lo, exec_lo, s25
	s_and_saveexec_b32 s24, s7
	s_cbranch_execz .LBB4_3640
.LBB4_3639:                             ;   in Loop: Header=BB4_3272 Depth=2
	v_bfe_u32 v128, v21, 3, 4
	v_lshlrev_b32_e32 v129, 24, v21
	s_delay_alu instid0(VALU_DEP_2) | instskip(SKIP_1) | instid1(VALU_DEP_1)
	v_cmp_eq_u32_e32 vcc_lo, 0, v128
	v_and_b32_e32 v117, 7, v21
	v_clz_i32_u32_e32 v118, v117
	s_delay_alu instid0(VALU_DEP_1) | instskip(NEXT) | instid1(VALU_DEP_1)
	v_min_u32_e32 v118, 32, v118
	v_subrev_nc_u32_e32 v119, 28, v118
	v_sub_nc_u32_e32 v118, 29, v118
	s_delay_alu instid0(VALU_DEP_1) | instskip(NEXT) | instid1(VALU_DEP_1)
	v_dual_cndmask_b32 v118, v128, v118 :: v_dual_lshlrev_b32 v119, v119, v21
	v_and_b32_e32 v119, 7, v119
	s_delay_alu instid0(VALU_DEP_2) | instskip(NEXT) | instid1(VALU_DEP_2)
	v_lshl_add_u32 v118, v118, 23, 0x3b800000
	v_cndmask_b32_e32 v117, v117, v119, vcc_lo
	v_and_b32_e32 v119, 0x80000000, v129
	s_delay_alu instid0(VALU_DEP_2) | instskip(NEXT) | instid1(VALU_DEP_1)
	v_lshlrev_b32_e32 v117, 20, v117
	v_or3_b32 v117, v119, v118, v117
.LBB4_3640:                             ;   in Loop: Header=BB4_3272 Depth=2
	s_or_b32 exec_lo, exec_lo, s24
	s_delay_alu instid0(VALU_DEP_1) | instskip(NEXT) | instid1(VALU_DEP_1)
	v_dual_max_f32 v117, v117, v117 :: v_dual_max_f32 v24, v24, v24
	v_min_f32_e32 v117, v24, v117
.LBB4_3641:                             ;   in Loop: Header=BB4_3272 Depth=2
	s_delay_alu instid0(VALU_DEP_1) | instskip(NEXT) | instid1(VALU_DEP_1)
	v_and_b32_e32 v24, 0x7f800000, v117
	v_cmp_ne_u32_e32 vcc_lo, 0x7f800000, v24
	v_mov_b32_e32 v24, 0x80
	s_and_saveexec_b32 s24, vcc_lo
	s_cbranch_execz .LBB4_3649
; %bb.3642:                             ;   in Loop: Header=BB4_3272 Depth=2
	v_mov_b32_e32 v24, 0
	s_mov_b32 s25, exec_lo
	v_cmpx_ne_u32_e32 0, v117
	s_cbranch_execz .LBB4_3648
; %bb.3643:                             ;   in Loop: Header=BB4_3272 Depth=2
	v_bfe_u32 v24, v117, 23, 8
	s_delay_alu instid0(VALU_DEP_1) | instskip(SKIP_1) | instid1(VALU_DEP_2)
	v_sub_nc_u32_e32 v119, 0x78, v24
	v_cmp_gt_u32_e32 vcc_lo, 0x79, v24
	v_dual_cndmask_b32 v119, 0, v119 :: v_dual_and_b32 v118, 0x7fffff, v117
	s_delay_alu instid0(VALU_DEP_1) | instskip(SKIP_2) | instid1(VALU_DEP_4)
	v_or_b32_e32 v128, 0x800000, v118
	v_cmp_eq_u32_e32 vcc_lo, 0, v24
	v_add_nc_u32_e32 v24, 0xffffff89, v24
	v_cndmask_b32_e64 v119, v119, 0x77, vcc_lo
	s_delay_alu instid0(VALU_DEP_2) | instskip(SKIP_1) | instid1(VALU_DEP_3)
	v_cndmask_b32_e64 v24, v24, 0xffffff8a, vcc_lo
	v_cndmask_b32_e32 v118, v128, v118, vcc_lo
	v_lshl_add_u32 v128, 0x100000, v119, -1
	v_lshlrev_b32_e64 v131, v119, 0x80000
	s_delay_alu instid0(VALU_DEP_3) | instskip(SKIP_1) | instid1(VALU_DEP_4)
	v_lshrrev_b32_e32 v129, v119, v118
	v_add_nc_u32_e32 v119, v119, v24
	v_and_b32_e32 v118, v128, v118
	s_delay_alu instid0(VALU_DEP_3) | instskip(NEXT) | instid1(VALU_DEP_2)
	v_bfe_u32 v130, v129, 20, 1
	v_cmp_eq_u32_e64 s7, v118, v131
	s_delay_alu instid0(VALU_DEP_2) | instskip(NEXT) | instid1(VALU_DEP_1)
	v_add_nc_u32_e32 v128, -1, v130
	v_cndmask_b32_e64 v118, 0, v128, s7
	v_lshrrev_b32_e32 v128, 23, v129
	s_mov_b32 s7, exec_lo
	s_delay_alu instid0(VALU_DEP_2) | instskip(NEXT) | instid1(VALU_DEP_2)
	v_add_nc_u32_e32 v118, v118, v129
	v_xor_b32_e32 v128, 1, v128
	s_delay_alu instid0(VALU_DEP_2) | instskip(NEXT) | instid1(VALU_DEP_1)
	v_and_b32_e32 v24, 0xfffff, v118
	v_add_nc_u32_e32 v118, v24, v129
                                        ; implicit-def: $vgpr24
	s_delay_alu instid0(VALU_DEP_3)
	v_cmpx_ne_u32_e64 v119, v128
	s_xor_b32 s7, exec_lo, s7
; %bb.3644:                             ;   in Loop: Header=BB4_3272 Depth=2
	s_delay_alu instid0(VALU_DEP_2) | instskip(SKIP_2) | instid1(VALU_DEP_2)
	v_cmp_lt_u32_e32 vcc_lo, 0xffffff, v118
	v_sub_nc_u32_e32 v24, v119, v128
	v_cndmask_b32_e64 v119, 0, 1, vcc_lo
	v_add_co_ci_u32_e32 v24, vcc_lo, 0, v24, vcc_lo
	s_delay_alu instid0(VALU_DEP_2)
	v_lshrrev_b32_e32 v118, v119, v118
; %bb.3645:                             ;   in Loop: Header=BB4_3272 Depth=2
	s_and_not1_saveexec_b32 s7, s7
; %bb.3646:                             ;   in Loop: Header=BB4_3272 Depth=2
	s_delay_alu instid0(VALU_DEP_1)
	v_bfe_u32 v24, v118, 23, 1
; %bb.3647:                             ;   in Loop: Header=BB4_3272 Depth=2
	s_or_b32 exec_lo, exec_lo, s7
	v_lshrrev_b32_e32 v118, 20, v118
	s_delay_alu instid0(VALU_DEP_2) | instskip(SKIP_2) | instid1(VALU_DEP_2)
	v_cmp_gt_i32_e32 vcc_lo, 16, v24
	v_lshrrev_b32_e32 v117, 24, v117
	v_min_i32_e32 v119, 15, v24
	v_dual_cndmask_b32 v118, 7, v118 :: v_dual_and_b32 v117, 0x80, v117
	s_delay_alu instid0(VALU_DEP_1) | instskip(SKIP_1) | instid1(VALU_DEP_2)
	v_or_b32_e32 v24, v24, v118
	v_and_b32_e32 v128, 7, v118
	v_cmp_ne_u32_e32 vcc_lo, 0, v24
	v_lshlrev_b32_e32 v119, 3, v119
	s_delay_alu instid0(VALU_DEP_1) | instskip(NEXT) | instid1(VALU_DEP_1)
	v_or3_b32 v117, v119, v117, v128
	v_cndmask_b32_e32 v24, 0, v117, vcc_lo
.LBB4_3648:                             ;   in Loop: Header=BB4_3272 Depth=2
	s_or_b32 exec_lo, exec_lo, s25
.LBB4_3649:                             ;   in Loop: Header=BB4_3272 Depth=2
	s_delay_alu instid0(SALU_CYCLE_1)
	s_or_b32 exec_lo, exec_lo, s24
	v_lshrrev_b16 v118, 8, v25
	v_lshrrev_b16 v117, 8, v21
	s_and_b32 vcc_lo, exec_lo, s23
	s_cbranch_vccz .LBB4_3659
; %bb.3650:                             ;   in Loop: Header=BB4_3272 Depth=2
	s_mov_b32 s7, 0
	s_mov_b32 s25, exec_lo
                                        ; implicit-def: $sgpr24
	v_cmpx_lt_i16_e32 0x7f, v118
	s_xor_b32 s25, exec_lo, s25
	s_cbranch_execnz .LBB4_4406
; %bb.3651:                             ;   in Loop: Header=BB4_3272 Depth=2
	s_or_saveexec_b32 s25, s25
	v_mov_b32_e32 v119, s24
	s_xor_b32 exec_lo, exec_lo, s25
	s_cbranch_execnz .LBB4_4409
.LBB4_3652:                             ;   in Loop: Header=BB4_3272 Depth=2
	s_or_b32 exec_lo, exec_lo, s25
	s_and_saveexec_b32 s24, s7
	s_cbranch_execz .LBB4_3654
.LBB4_3653:                             ;   in Loop: Header=BB4_3272 Depth=2
	v_and_b32_e32 v119, 0xffff, v118
	s_delay_alu instid0(VALU_DEP_1) | instskip(NEXT) | instid1(VALU_DEP_1)
	v_and_b32_e32 v128, 7, v119
	v_clz_i32_u32_e32 v129, v128
	s_delay_alu instid0(VALU_DEP_1) | instskip(NEXT) | instid1(VALU_DEP_1)
	v_min_u32_e32 v129, 32, v129
	v_subrev_nc_u32_e32 v130, 28, v129
	v_sub_nc_u32_e32 v129, 29, v129
	s_delay_alu instid0(VALU_DEP_2) | instskip(SKIP_1) | instid1(VALU_DEP_2)
	v_lshlrev_b32_e32 v130, v130, v119
	v_bfe_u32 v119, v119, 3, 4
	v_and_b32_e32 v130, 7, v130
	s_delay_alu instid0(VALU_DEP_2) | instskip(SKIP_1) | instid1(VALU_DEP_3)
	v_cmp_eq_u32_e32 vcc_lo, 0, v119
	v_cndmask_b32_e32 v119, v119, v129, vcc_lo
	v_dual_cndmask_b32 v128, v128, v130 :: v_dual_lshlrev_b32 v131, 16, v25
	s_delay_alu instid0(VALU_DEP_2) | instskip(NEXT) | instid1(VALU_DEP_2)
	v_lshl_add_u32 v119, v119, 23, 0x3b800000
	v_and_b32_e32 v129, 0x80000000, v131
	s_delay_alu instid0(VALU_DEP_3) | instskip(NEXT) | instid1(VALU_DEP_1)
	v_lshlrev_b32_e32 v128, 20, v128
	v_or3_b32 v119, v129, v119, v128
.LBB4_3654:                             ;   in Loop: Header=BB4_3272 Depth=2
	s_or_b32 exec_lo, exec_lo, s24
	s_mov_b32 s7, 0
	s_mov_b32 s25, exec_lo
                                        ; implicit-def: $sgpr24
	v_cmpx_lt_i16_e32 0x7f, v117
	s_xor_b32 s25, exec_lo, s25
	s_cbranch_execnz .LBB4_4410
; %bb.3655:                             ;   in Loop: Header=BB4_3272 Depth=2
	s_or_saveexec_b32 s25, s25
	v_mov_b32_e32 v128, s24
	s_xor_b32 exec_lo, exec_lo, s25
	s_cbranch_execnz .LBB4_4413
.LBB4_3656:                             ;   in Loop: Header=BB4_3272 Depth=2
	s_or_b32 exec_lo, exec_lo, s25
	s_and_saveexec_b32 s24, s7
	s_cbranch_execz .LBB4_3658
.LBB4_3657:                             ;   in Loop: Header=BB4_3272 Depth=2
	v_and_b32_e32 v128, 0xffff, v117
	v_lshlrev_b32_e32 v132, 16, v21
	s_delay_alu instid0(VALU_DEP_2) | instskip(NEXT) | instid1(VALU_DEP_1)
	v_and_b32_e32 v129, 7, v128
	v_clz_i32_u32_e32 v130, v129
	s_delay_alu instid0(VALU_DEP_1) | instskip(NEXT) | instid1(VALU_DEP_1)
	v_min_u32_e32 v130, 32, v130
	v_subrev_nc_u32_e32 v131, 28, v130
	v_sub_nc_u32_e32 v130, 29, v130
	s_delay_alu instid0(VALU_DEP_2) | instskip(SKIP_1) | instid1(VALU_DEP_2)
	v_lshlrev_b32_e32 v131, v131, v128
	v_bfe_u32 v128, v128, 3, 4
	v_and_b32_e32 v131, 7, v131
	s_delay_alu instid0(VALU_DEP_2) | instskip(NEXT) | instid1(VALU_DEP_2)
	v_cmp_eq_u32_e32 vcc_lo, 0, v128
	v_dual_cndmask_b32 v128, v128, v130 :: v_dual_cndmask_b32 v129, v129, v131
	v_and_b32_e32 v130, 0x80000000, v132
	s_delay_alu instid0(VALU_DEP_2) | instskip(NEXT) | instid1(VALU_DEP_3)
	v_lshl_add_u32 v128, v128, 23, 0x3b800000
	v_lshlrev_b32_e32 v129, 20, v129
	s_delay_alu instid0(VALU_DEP_1)
	v_or3_b32 v128, v130, v128, v129
.LBB4_3658:                             ;   in Loop: Header=BB4_3272 Depth=2
	s_or_b32 exec_lo, exec_lo, s24
	s_delay_alu instid0(VALU_DEP_1) | instskip(SKIP_1) | instid1(VALU_DEP_1)
	v_dual_max_f32 v128, v128, v128 :: v_dual_max_f32 v119, v119, v119
	s_mov_b32 s7, 0
	v_max_f32_e32 v119, v119, v128
	s_branch .LBB4_3660
.LBB4_3659:                             ;   in Loop: Header=BB4_3272 Depth=2
	s_mov_b32 s7, -1
                                        ; implicit-def: $vgpr119
.LBB4_3660:                             ;   in Loop: Header=BB4_3272 Depth=2
	s_delay_alu instid0(SALU_CYCLE_1)
	s_and_b32 vcc_lo, exec_lo, s7
	s_cbranch_vccz .LBB4_3670
; %bb.3661:                             ;   in Loop: Header=BB4_3272 Depth=2
	s_mov_b32 s7, 0
	s_mov_b32 s25, exec_lo
                                        ; implicit-def: $sgpr24
	v_cmpx_lt_i16_e32 0x7f, v118
	s_xor_b32 s25, exec_lo, s25
	s_cbranch_execnz .LBB4_4414
; %bb.3662:                             ;   in Loop: Header=BB4_3272 Depth=2
	s_or_saveexec_b32 s25, s25
	v_mov_b32_e32 v119, s24
	s_xor_b32 exec_lo, exec_lo, s25
	s_cbranch_execnz .LBB4_4417
.LBB4_3663:                             ;   in Loop: Header=BB4_3272 Depth=2
	s_or_b32 exec_lo, exec_lo, s25
	s_and_saveexec_b32 s24, s7
	s_cbranch_execz .LBB4_3665
.LBB4_3664:                             ;   in Loop: Header=BB4_3272 Depth=2
	v_and_b32_e32 v118, 0xffff, v118
	v_lshlrev_b32_e32 v130, 16, v25
	s_delay_alu instid0(VALU_DEP_2) | instskip(NEXT) | instid1(VALU_DEP_1)
	v_and_b32_e32 v119, 7, v118
	v_clz_i32_u32_e32 v128, v119
	s_delay_alu instid0(VALU_DEP_1) | instskip(NEXT) | instid1(VALU_DEP_1)
	v_min_u32_e32 v128, 32, v128
	v_subrev_nc_u32_e32 v129, 28, v128
	v_sub_nc_u32_e32 v128, 29, v128
	s_delay_alu instid0(VALU_DEP_2) | instskip(SKIP_1) | instid1(VALU_DEP_2)
	v_lshlrev_b32_e32 v129, v129, v118
	v_bfe_u32 v118, v118, 3, 4
	v_and_b32_e32 v129, 7, v129
	s_delay_alu instid0(VALU_DEP_2) | instskip(NEXT) | instid1(VALU_DEP_2)
	v_cmp_eq_u32_e32 vcc_lo, 0, v118
	v_dual_cndmask_b32 v118, v118, v128 :: v_dual_cndmask_b32 v119, v119, v129
	v_and_b32_e32 v128, 0x80000000, v130
	s_delay_alu instid0(VALU_DEP_2) | instskip(NEXT) | instid1(VALU_DEP_3)
	v_lshl_add_u32 v118, v118, 23, 0x3b800000
	v_lshlrev_b32_e32 v119, 20, v119
	s_delay_alu instid0(VALU_DEP_1)
	v_or3_b32 v119, v128, v118, v119
.LBB4_3665:                             ;   in Loop: Header=BB4_3272 Depth=2
	s_or_b32 exec_lo, exec_lo, s24
	s_mov_b32 s7, 0
	s_mov_b32 s25, exec_lo
                                        ; implicit-def: $sgpr24
	v_cmpx_lt_i16_e32 0x7f, v117
	s_xor_b32 s25, exec_lo, s25
	s_cbranch_execnz .LBB4_4418
; %bb.3666:                             ;   in Loop: Header=BB4_3272 Depth=2
	s_or_saveexec_b32 s25, s25
	v_mov_b32_e32 v118, s24
	s_xor_b32 exec_lo, exec_lo, s25
	s_cbranch_execnz .LBB4_4421
.LBB4_3667:                             ;   in Loop: Header=BB4_3272 Depth=2
	s_or_b32 exec_lo, exec_lo, s25
	s_and_saveexec_b32 s24, s7
	s_cbranch_execz .LBB4_3669
.LBB4_3668:                             ;   in Loop: Header=BB4_3272 Depth=2
	v_and_b32_e32 v117, 0xffff, v117
	v_lshlrev_b32_e32 v130, 16, v21
	s_delay_alu instid0(VALU_DEP_2) | instskip(NEXT) | instid1(VALU_DEP_1)
	v_and_b32_e32 v118, 7, v117
	v_clz_i32_u32_e32 v128, v118
	s_delay_alu instid0(VALU_DEP_1) | instskip(NEXT) | instid1(VALU_DEP_1)
	v_min_u32_e32 v128, 32, v128
	v_subrev_nc_u32_e32 v129, 28, v128
	v_sub_nc_u32_e32 v128, 29, v128
	s_delay_alu instid0(VALU_DEP_2) | instskip(SKIP_1) | instid1(VALU_DEP_2)
	v_lshlrev_b32_e32 v129, v129, v117
	v_bfe_u32 v117, v117, 3, 4
	v_and_b32_e32 v129, 7, v129
	s_delay_alu instid0(VALU_DEP_2) | instskip(NEXT) | instid1(VALU_DEP_2)
	v_cmp_eq_u32_e32 vcc_lo, 0, v117
	v_dual_cndmask_b32 v117, v117, v128 :: v_dual_cndmask_b32 v118, v118, v129
	v_and_b32_e32 v128, 0x80000000, v130
	s_delay_alu instid0(VALU_DEP_2) | instskip(NEXT) | instid1(VALU_DEP_3)
	v_lshl_add_u32 v117, v117, 23, 0x3b800000
	v_lshlrev_b32_e32 v118, 20, v118
	s_delay_alu instid0(VALU_DEP_1)
	v_or3_b32 v118, v128, v117, v118
.LBB4_3669:                             ;   in Loop: Header=BB4_3272 Depth=2
	s_or_b32 exec_lo, exec_lo, s24
	s_delay_alu instid0(VALU_DEP_1) | instskip(NEXT) | instid1(VALU_DEP_1)
	v_dual_max_f32 v117, v118, v118 :: v_dual_max_f32 v118, v119, v119
	v_min_f32_e32 v119, v118, v117
.LBB4_3670:                             ;   in Loop: Header=BB4_3272 Depth=2
	s_delay_alu instid0(VALU_DEP_1) | instskip(NEXT) | instid1(VALU_DEP_1)
	v_and_b32_e32 v117, 0x7f800000, v119
	v_cmp_ne_u32_e32 vcc_lo, 0x7f800000, v117
	v_mov_b32_e32 v117, 0x80
	s_and_saveexec_b32 s24, vcc_lo
	s_cbranch_execz .LBB4_3678
; %bb.3671:                             ;   in Loop: Header=BB4_3272 Depth=2
	v_mov_b32_e32 v117, 0
	s_mov_b32 s25, exec_lo
	v_cmpx_ne_u32_e32 0, v119
	s_cbranch_execz .LBB4_3677
; %bb.3672:                             ;   in Loop: Header=BB4_3272 Depth=2
	v_bfe_u32 v117, v119, 23, 8
	v_and_b32_e32 v118, 0x7fffff, v119
	s_delay_alu instid0(VALU_DEP_2) | instskip(SKIP_1) | instid1(VALU_DEP_3)
	v_sub_nc_u32_e32 v128, 0x78, v117
	v_cmp_gt_u32_e32 vcc_lo, 0x79, v117
	v_or_b32_e32 v129, 0x800000, v118
	s_delay_alu instid0(VALU_DEP_3) | instskip(SKIP_2) | instid1(VALU_DEP_3)
	v_cndmask_b32_e32 v128, 0, v128, vcc_lo
	v_cmp_eq_u32_e32 vcc_lo, 0, v117
	v_add_nc_u32_e32 v117, 0xffffff89, v117
	v_cndmask_b32_e64 v128, v128, 0x77, vcc_lo
	v_cndmask_b32_e32 v118, v129, v118, vcc_lo
	s_delay_alu instid0(VALU_DEP_3) | instskip(NEXT) | instid1(VALU_DEP_3)
	v_cndmask_b32_e64 v117, v117, 0xffffff8a, vcc_lo
	v_lshl_add_u32 v129, 0x100000, v128, -1
	s_delay_alu instid0(VALU_DEP_3) | instskip(SKIP_1) | instid1(VALU_DEP_4)
	v_lshrrev_b32_e32 v130, v128, v118
	v_lshlrev_b32_e64 v132, v128, 0x80000
	v_add_nc_u32_e32 v128, v128, v117
	s_delay_alu instid0(VALU_DEP_4) | instskip(NEXT) | instid1(VALU_DEP_4)
	v_and_b32_e32 v118, v129, v118
	v_bfe_u32 v131, v130, 20, 1
	s_delay_alu instid0(VALU_DEP_2) | instskip(NEXT) | instid1(VALU_DEP_2)
	v_cmp_eq_u32_e64 s7, v118, v132
	v_add_nc_u32_e32 v129, -1, v131
	s_delay_alu instid0(VALU_DEP_1) | instskip(SKIP_2) | instid1(VALU_DEP_2)
	v_cndmask_b32_e64 v118, 0, v129, s7
	v_lshrrev_b32_e32 v129, 23, v130
	s_mov_b32 s7, exec_lo
	v_add_nc_u32_e32 v118, v118, v130
	s_delay_alu instid0(VALU_DEP_2) | instskip(NEXT) | instid1(VALU_DEP_2)
	v_xor_b32_e32 v129, 1, v129
	v_and_b32_e32 v117, 0xfffff, v118
	s_delay_alu instid0(VALU_DEP_1) | instskip(NEXT) | instid1(VALU_DEP_3)
	v_add_nc_u32_e32 v118, v117, v130
                                        ; implicit-def: $vgpr117
	v_cmpx_ne_u32_e64 v128, v129
	s_xor_b32 s7, exec_lo, s7
; %bb.3673:                             ;   in Loop: Header=BB4_3272 Depth=2
	s_delay_alu instid0(VALU_DEP_2) | instskip(SKIP_2) | instid1(VALU_DEP_2)
	v_cmp_lt_u32_e32 vcc_lo, 0xffffff, v118
	v_sub_nc_u32_e32 v117, v128, v129
	v_cndmask_b32_e64 v128, 0, 1, vcc_lo
	v_add_co_ci_u32_e32 v117, vcc_lo, 0, v117, vcc_lo
	s_delay_alu instid0(VALU_DEP_2)
	v_lshrrev_b32_e32 v118, v128, v118
; %bb.3674:                             ;   in Loop: Header=BB4_3272 Depth=2
	s_and_not1_saveexec_b32 s7, s7
; %bb.3675:                             ;   in Loop: Header=BB4_3272 Depth=2
	s_delay_alu instid0(VALU_DEP_1)
	v_bfe_u32 v117, v118, 23, 1
; %bb.3676:                             ;   in Loop: Header=BB4_3272 Depth=2
	s_or_b32 exec_lo, exec_lo, s7
	v_lshrrev_b32_e32 v118, 20, v118
	s_delay_alu instid0(VALU_DEP_2) | instskip(SKIP_2) | instid1(VALU_DEP_2)
	v_cmp_gt_i32_e32 vcc_lo, 16, v117
	v_lshrrev_b32_e32 v119, 24, v119
	v_min_i32_e32 v128, 15, v117
	v_dual_cndmask_b32 v118, 7, v118 :: v_dual_and_b32 v119, 0x80, v119
	s_delay_alu instid0(VALU_DEP_1) | instskip(SKIP_1) | instid1(VALU_DEP_2)
	v_or_b32_e32 v117, v117, v118
	v_and_b32_e32 v129, 7, v118
	v_cmp_ne_u32_e32 vcc_lo, 0, v117
	v_lshlrev_b32_e32 v128, 3, v128
	s_delay_alu instid0(VALU_DEP_1) | instskip(NEXT) | instid1(VALU_DEP_1)
	v_or3_b32 v118, v128, v119, v129
	v_cndmask_b32_e32 v117, 0, v118, vcc_lo
.LBB4_3677:                             ;   in Loop: Header=BB4_3272 Depth=2
	s_or_b32 exec_lo, exec_lo, s25
.LBB4_3678:                             ;   in Loop: Header=BB4_3272 Depth=2
	s_delay_alu instid0(SALU_CYCLE_1)
	s_or_b32 exec_lo, exec_lo, s24
	v_lshrrev_b32_e32 v119, 16, v25
	v_lshrrev_b32_e32 v118, 16, v21
	s_and_b32 vcc_lo, exec_lo, s23
	s_cbranch_vccz .LBB4_3688
; %bb.3679:                             ;   in Loop: Header=BB4_3272 Depth=2
	s_delay_alu instid0(VALU_DEP_2) | instskip(SKIP_2) | instid1(VALU_DEP_1)
	v_and_b32_e32 v129, 0xff, v119
	s_mov_b32 s7, 0
	s_mov_b32 s25, exec_lo
                                        ; implicit-def: $sgpr24
	v_cmpx_lt_i16_e64 0x7f, v129
	s_xor_b32 s25, exec_lo, s25
	s_cbranch_execnz .LBB4_4422
; %bb.3680:                             ;   in Loop: Header=BB4_3272 Depth=2
	s_or_saveexec_b32 s25, s25
	v_mov_b32_e32 v128, s24
	s_xor_b32 exec_lo, exec_lo, s25
	s_cbranch_execnz .LBB4_4425
.LBB4_3681:                             ;   in Loop: Header=BB4_3272 Depth=2
	s_or_b32 exec_lo, exec_lo, s25
	s_and_saveexec_b32 s24, s7
	s_cbranch_execz .LBB4_3683
.LBB4_3682:                             ;   in Loop: Header=BB4_3272 Depth=2
	v_bfe_u32 v128, v25, 16, 3
	v_bfe_u32 v131, v25, 19, 4
	v_lshlrev_b32_e32 v132, 24, v119
	s_delay_alu instid0(VALU_DEP_3) | instskip(NEXT) | instid1(VALU_DEP_3)
	v_clz_i32_u32_e32 v129, v128
	v_cmp_eq_u32_e32 vcc_lo, 0, v131
	s_delay_alu instid0(VALU_DEP_2) | instskip(NEXT) | instid1(VALU_DEP_1)
	v_min_u32_e32 v129, 32, v129
	v_subrev_nc_u32_e32 v130, 28, v129
	v_sub_nc_u32_e32 v129, 29, v129
	s_delay_alu instid0(VALU_DEP_1) | instskip(NEXT) | instid1(VALU_DEP_1)
	v_dual_cndmask_b32 v129, v131, v129 :: v_dual_lshlrev_b32 v130, v130, v119
	v_and_b32_e32 v130, 7, v130
	s_delay_alu instid0(VALU_DEP_2) | instskip(NEXT) | instid1(VALU_DEP_2)
	v_lshl_add_u32 v129, v129, 23, 0x3b800000
	v_cndmask_b32_e32 v128, v128, v130, vcc_lo
	v_and_b32_e32 v130, 0x80000000, v132
	s_delay_alu instid0(VALU_DEP_2) | instskip(NEXT) | instid1(VALU_DEP_1)
	v_lshlrev_b32_e32 v128, 20, v128
	v_or3_b32 v128, v130, v129, v128
.LBB4_3683:                             ;   in Loop: Header=BB4_3272 Depth=2
	s_or_b32 exec_lo, exec_lo, s24
	v_and_b32_e32 v130, 0xff, v118
	s_mov_b32 s7, 0
	s_mov_b32 s25, exec_lo
                                        ; implicit-def: $sgpr24
	s_delay_alu instid0(VALU_DEP_1)
	v_cmpx_lt_i16_e64 0x7f, v130
	s_xor_b32 s25, exec_lo, s25
	s_cbranch_execnz .LBB4_4426
; %bb.3684:                             ;   in Loop: Header=BB4_3272 Depth=2
	s_or_saveexec_b32 s25, s25
	v_mov_b32_e32 v129, s24
	s_xor_b32 exec_lo, exec_lo, s25
	s_cbranch_execnz .LBB4_4429
.LBB4_3685:                             ;   in Loop: Header=BB4_3272 Depth=2
	s_or_b32 exec_lo, exec_lo, s25
	s_and_saveexec_b32 s24, s7
	s_cbranch_execz .LBB4_3687
.LBB4_3686:                             ;   in Loop: Header=BB4_3272 Depth=2
	v_bfe_u32 v129, v21, 16, 3
	v_bfe_u32 v132, v21, 19, 4
	v_lshlrev_b32_e32 v133, 24, v118
	s_delay_alu instid0(VALU_DEP_3) | instskip(NEXT) | instid1(VALU_DEP_3)
	v_clz_i32_u32_e32 v130, v129
	v_cmp_eq_u32_e32 vcc_lo, 0, v132
	s_delay_alu instid0(VALU_DEP_2) | instskip(NEXT) | instid1(VALU_DEP_1)
	v_min_u32_e32 v130, 32, v130
	v_subrev_nc_u32_e32 v131, 28, v130
	v_sub_nc_u32_e32 v130, 29, v130
	s_delay_alu instid0(VALU_DEP_2) | instskip(NEXT) | instid1(VALU_DEP_1)
	v_lshlrev_b32_e32 v131, v131, v118
	v_dual_cndmask_b32 v130, v132, v130 :: v_dual_and_b32 v131, 7, v131
	s_delay_alu instid0(VALU_DEP_1) | instskip(NEXT) | instid1(VALU_DEP_2)
	v_lshl_add_u32 v130, v130, 23, 0x3b800000
	v_cndmask_b32_e32 v129, v129, v131, vcc_lo
	v_and_b32_e32 v131, 0x80000000, v133
	s_delay_alu instid0(VALU_DEP_2) | instskip(NEXT) | instid1(VALU_DEP_1)
	v_lshlrev_b32_e32 v129, 20, v129
	v_or3_b32 v129, v131, v130, v129
.LBB4_3687:                             ;   in Loop: Header=BB4_3272 Depth=2
	s_or_b32 exec_lo, exec_lo, s24
	s_delay_alu instid0(VALU_DEP_1) | instskip(SKIP_1) | instid1(VALU_DEP_1)
	v_dual_max_f32 v129, v129, v129 :: v_dual_max_f32 v128, v128, v128
	s_mov_b32 s7, 0
	v_max_f32_e32 v128, v128, v129
	s_branch .LBB4_3689
.LBB4_3688:                             ;   in Loop: Header=BB4_3272 Depth=2
	s_mov_b32 s7, -1
                                        ; implicit-def: $vgpr128
.LBB4_3689:                             ;   in Loop: Header=BB4_3272 Depth=2
	s_delay_alu instid0(SALU_CYCLE_1)
	s_and_b32 vcc_lo, exec_lo, s7
	s_cbranch_vccz .LBB4_3699
; %bb.3690:                             ;   in Loop: Header=BB4_3272 Depth=2
	v_and_b32_e32 v129, 0xff, v119
	s_mov_b32 s7, 0
	s_mov_b32 s25, exec_lo
                                        ; implicit-def: $sgpr24
	s_delay_alu instid0(VALU_DEP_1)
	v_cmpx_lt_i16_e64 0x7f, v129
	s_xor_b32 s25, exec_lo, s25
	s_cbranch_execnz .LBB4_4430
; %bb.3691:                             ;   in Loop: Header=BB4_3272 Depth=2
	s_or_saveexec_b32 s25, s25
	v_mov_b32_e32 v128, s24
	s_xor_b32 exec_lo, exec_lo, s25
	s_cbranch_execnz .LBB4_4433
.LBB4_3692:                             ;   in Loop: Header=BB4_3272 Depth=2
	s_or_b32 exec_lo, exec_lo, s25
	s_and_saveexec_b32 s24, s7
	s_cbranch_execz .LBB4_3694
.LBB4_3693:                             ;   in Loop: Header=BB4_3272 Depth=2
	v_bfe_u32 v128, v25, 16, 3
	v_bfe_u32 v131, v25, 19, 4
	s_delay_alu instid0(VALU_DEP_2) | instskip(NEXT) | instid1(VALU_DEP_2)
	v_clz_i32_u32_e32 v129, v128
	v_cmp_eq_u32_e32 vcc_lo, 0, v131
	s_delay_alu instid0(VALU_DEP_2) | instskip(NEXT) | instid1(VALU_DEP_1)
	v_min_u32_e32 v129, 32, v129
	v_subrev_nc_u32_e32 v130, 28, v129
	v_sub_nc_u32_e32 v129, 29, v129
	s_delay_alu instid0(VALU_DEP_1) | instskip(NEXT) | instid1(VALU_DEP_1)
	v_dual_cndmask_b32 v129, v131, v129 :: v_dual_lshlrev_b32 v130, v130, v119
	v_and_b32_e32 v130, 7, v130
	v_lshlrev_b32_e32 v119, 24, v119
	s_delay_alu instid0(VALU_DEP_3) | instskip(NEXT) | instid1(VALU_DEP_2)
	v_lshl_add_u32 v129, v129, 23, 0x3b800000
	v_dual_cndmask_b32 v128, v128, v130 :: v_dual_and_b32 v119, 0x80000000, v119
	s_delay_alu instid0(VALU_DEP_1) | instskip(NEXT) | instid1(VALU_DEP_1)
	v_lshlrev_b32_e32 v128, 20, v128
	v_or3_b32 v128, v119, v129, v128
.LBB4_3694:                             ;   in Loop: Header=BB4_3272 Depth=2
	s_or_b32 exec_lo, exec_lo, s24
	v_and_b32_e32 v129, 0xff, v118
	s_mov_b32 s7, 0
	s_mov_b32 s25, exec_lo
                                        ; implicit-def: $sgpr24
	s_delay_alu instid0(VALU_DEP_1)
	v_cmpx_lt_i16_e64 0x7f, v129
	s_xor_b32 s25, exec_lo, s25
	s_cbranch_execnz .LBB4_4434
; %bb.3695:                             ;   in Loop: Header=BB4_3272 Depth=2
	s_or_saveexec_b32 s25, s25
	v_mov_b32_e32 v119, s24
	s_xor_b32 exec_lo, exec_lo, s25
	s_cbranch_execnz .LBB4_4437
.LBB4_3696:                             ;   in Loop: Header=BB4_3272 Depth=2
	s_or_b32 exec_lo, exec_lo, s25
	s_and_saveexec_b32 s24, s7
	s_cbranch_execz .LBB4_3698
.LBB4_3697:                             ;   in Loop: Header=BB4_3272 Depth=2
	v_bfe_u32 v119, v21, 16, 3
	v_bfe_u32 v131, v21, 19, 4
	s_delay_alu instid0(VALU_DEP_2) | instskip(NEXT) | instid1(VALU_DEP_2)
	v_clz_i32_u32_e32 v129, v119
	v_cmp_eq_u32_e32 vcc_lo, 0, v131
	s_delay_alu instid0(VALU_DEP_2) | instskip(NEXT) | instid1(VALU_DEP_1)
	v_min_u32_e32 v129, 32, v129
	v_subrev_nc_u32_e32 v130, 28, v129
	v_sub_nc_u32_e32 v129, 29, v129
	s_delay_alu instid0(VALU_DEP_1) | instskip(SKIP_1) | instid1(VALU_DEP_2)
	v_dual_cndmask_b32 v129, v131, v129 :: v_dual_lshlrev_b32 v130, v130, v118
	v_lshlrev_b32_e32 v118, 24, v118
	v_and_b32_e32 v130, 7, v130
	s_delay_alu instid0(VALU_DEP_3) | instskip(NEXT) | instid1(VALU_DEP_3)
	v_lshl_add_u32 v129, v129, 23, 0x3b800000
	v_and_b32_e32 v118, 0x80000000, v118
	s_delay_alu instid0(VALU_DEP_3) | instskip(NEXT) | instid1(VALU_DEP_1)
	v_cndmask_b32_e32 v119, v119, v130, vcc_lo
	v_lshlrev_b32_e32 v119, 20, v119
	s_delay_alu instid0(VALU_DEP_1)
	v_or3_b32 v119, v118, v129, v119
.LBB4_3698:                             ;   in Loop: Header=BB4_3272 Depth=2
	s_or_b32 exec_lo, exec_lo, s24
	s_delay_alu instid0(VALU_DEP_1) | instskip(NEXT) | instid1(VALU_DEP_1)
	v_dual_max_f32 v118, v119, v119 :: v_dual_max_f32 v119, v128, v128
	v_min_f32_e32 v128, v119, v118
.LBB4_3699:                             ;   in Loop: Header=BB4_3272 Depth=2
	s_delay_alu instid0(VALU_DEP_1) | instskip(NEXT) | instid1(VALU_DEP_1)
	v_and_b32_e32 v118, 0x7f800000, v128
	v_cmp_ne_u32_e32 vcc_lo, 0x7f800000, v118
	v_mov_b32_e32 v118, 0x80
	s_and_saveexec_b32 s24, vcc_lo
	s_cbranch_execz .LBB4_3707
; %bb.3700:                             ;   in Loop: Header=BB4_3272 Depth=2
	v_mov_b32_e32 v118, 0
	s_mov_b32 s25, exec_lo
	v_cmpx_ne_u32_e32 0, v128
	s_cbranch_execz .LBB4_3706
; %bb.3701:                             ;   in Loop: Header=BB4_3272 Depth=2
	v_bfe_u32 v118, v128, 23, 8
	v_and_b32_e32 v119, 0x7fffff, v128
	s_delay_alu instid0(VALU_DEP_2) | instskip(SKIP_1) | instid1(VALU_DEP_3)
	v_sub_nc_u32_e32 v129, 0x78, v118
	v_cmp_gt_u32_e32 vcc_lo, 0x79, v118
	v_or_b32_e32 v130, 0x800000, v119
	s_delay_alu instid0(VALU_DEP_3) | instskip(SKIP_2) | instid1(VALU_DEP_3)
	v_cndmask_b32_e32 v129, 0, v129, vcc_lo
	v_cmp_eq_u32_e32 vcc_lo, 0, v118
	v_add_nc_u32_e32 v118, 0xffffff89, v118
	v_cndmask_b32_e64 v129, v129, 0x77, vcc_lo
	v_cndmask_b32_e32 v119, v130, v119, vcc_lo
	s_delay_alu instid0(VALU_DEP_3) | instskip(NEXT) | instid1(VALU_DEP_3)
	v_cndmask_b32_e64 v118, v118, 0xffffff8a, vcc_lo
	v_lshl_add_u32 v130, 0x100000, v129, -1
	s_delay_alu instid0(VALU_DEP_3) | instskip(SKIP_1) | instid1(VALU_DEP_4)
	v_lshrrev_b32_e32 v131, v129, v119
	v_lshlrev_b32_e64 v133, v129, 0x80000
	v_add_nc_u32_e32 v129, v129, v118
	s_delay_alu instid0(VALU_DEP_4) | instskip(NEXT) | instid1(VALU_DEP_4)
	v_and_b32_e32 v119, v130, v119
	v_bfe_u32 v132, v131, 20, 1
	s_delay_alu instid0(VALU_DEP_2) | instskip(NEXT) | instid1(VALU_DEP_2)
	v_cmp_eq_u32_e64 s7, v119, v133
	v_add_nc_u32_e32 v130, -1, v132
	s_delay_alu instid0(VALU_DEP_1) | instskip(SKIP_2) | instid1(VALU_DEP_2)
	v_cndmask_b32_e64 v119, 0, v130, s7
	v_lshrrev_b32_e32 v130, 23, v131
	s_mov_b32 s7, exec_lo
	v_add_nc_u32_e32 v119, v119, v131
	s_delay_alu instid0(VALU_DEP_2) | instskip(NEXT) | instid1(VALU_DEP_2)
	v_xor_b32_e32 v130, 1, v130
	v_and_b32_e32 v118, 0xfffff, v119
	s_delay_alu instid0(VALU_DEP_1) | instskip(NEXT) | instid1(VALU_DEP_3)
	v_add_nc_u32_e32 v119, v118, v131
                                        ; implicit-def: $vgpr118
	v_cmpx_ne_u32_e64 v129, v130
	s_xor_b32 s7, exec_lo, s7
; %bb.3702:                             ;   in Loop: Header=BB4_3272 Depth=2
	s_delay_alu instid0(VALU_DEP_2) | instskip(SKIP_2) | instid1(VALU_DEP_2)
	v_cmp_lt_u32_e32 vcc_lo, 0xffffff, v119
	v_sub_nc_u32_e32 v118, v129, v130
	v_cndmask_b32_e64 v129, 0, 1, vcc_lo
	v_add_co_ci_u32_e32 v118, vcc_lo, 0, v118, vcc_lo
	s_delay_alu instid0(VALU_DEP_2)
	v_lshrrev_b32_e32 v119, v129, v119
; %bb.3703:                             ;   in Loop: Header=BB4_3272 Depth=2
	s_and_not1_saveexec_b32 s7, s7
; %bb.3704:                             ;   in Loop: Header=BB4_3272 Depth=2
	s_delay_alu instid0(VALU_DEP_1)
	v_bfe_u32 v118, v119, 23, 1
; %bb.3705:                             ;   in Loop: Header=BB4_3272 Depth=2
	s_or_b32 exec_lo, exec_lo, s7
	v_lshrrev_b32_e32 v119, 20, v119
	s_delay_alu instid0(VALU_DEP_2) | instskip(SKIP_2) | instid1(VALU_DEP_2)
	v_cmp_gt_i32_e32 vcc_lo, 16, v118
	v_lshrrev_b32_e32 v128, 24, v128
	v_min_i32_e32 v129, 15, v118
	v_dual_cndmask_b32 v119, 7, v119 :: v_dual_and_b32 v128, 0x80, v128
	s_delay_alu instid0(VALU_DEP_1) | instskip(SKIP_1) | instid1(VALU_DEP_2)
	v_or_b32_e32 v118, v118, v119
	v_and_b32_e32 v130, 7, v119
	v_cmp_ne_u32_e32 vcc_lo, 0, v118
	v_lshlrev_b32_e32 v129, 3, v129
	s_delay_alu instid0(VALU_DEP_1) | instskip(NEXT) | instid1(VALU_DEP_1)
	v_and_b32_e32 v129, 0xf8, v129
	v_or3_b32 v119, v129, v128, v130
	s_delay_alu instid0(VALU_DEP_1)
	v_cndmask_b32_e32 v118, 0, v119, vcc_lo
.LBB4_3706:                             ;   in Loop: Header=BB4_3272 Depth=2
	s_or_b32 exec_lo, exec_lo, s25
.LBB4_3707:                             ;   in Loop: Header=BB4_3272 Depth=2
	s_delay_alu instid0(SALU_CYCLE_1)
	s_or_b32 exec_lo, exec_lo, s24
	v_lshrrev_b32_e32 v128, 24, v25
	v_lshrrev_b32_e32 v119, 24, v21
	s_and_b32 vcc_lo, exec_lo, s23
	s_cbranch_vccz .LBB4_3717
; %bb.3708:                             ;   in Loop: Header=BB4_3272 Depth=2
	s_mov_b32 s7, 0
	s_mov_b32 s25, exec_lo
                                        ; implicit-def: $sgpr24
	v_cmpx_lt_i16_e64 0x7f, v128
	s_xor_b32 s25, exec_lo, s25
	s_cbranch_execnz .LBB4_4438
; %bb.3709:                             ;   in Loop: Header=BB4_3272 Depth=2
	s_or_saveexec_b32 s25, s25
	v_mov_b32_e32 v129, s24
	s_xor_b32 exec_lo, exec_lo, s25
	s_cbranch_execnz .LBB4_4441
.LBB4_3710:                             ;   in Loop: Header=BB4_3272 Depth=2
	s_or_b32 exec_lo, exec_lo, s25
	s_and_saveexec_b32 s24, s7
	s_cbranch_execz .LBB4_3712
.LBB4_3711:                             ;   in Loop: Header=BB4_3272 Depth=2
	v_bfe_u32 v129, v25, 24, 3
	v_bfe_u32 v132, v25, 27, 4
	s_delay_alu instid0(VALU_DEP_2) | instskip(NEXT) | instid1(VALU_DEP_2)
	v_clz_i32_u32_e32 v130, v129
	v_cmp_eq_u32_e32 vcc_lo, 0, v132
	s_delay_alu instid0(VALU_DEP_2) | instskip(NEXT) | instid1(VALU_DEP_1)
	v_min_u32_e32 v130, 32, v130
	v_subrev_nc_u32_e32 v131, 28, v130
	v_sub_nc_u32_e32 v130, 29, v130
	s_delay_alu instid0(VALU_DEP_1) | instskip(NEXT) | instid1(VALU_DEP_1)
	v_dual_cndmask_b32 v130, v132, v130 :: v_dual_lshlrev_b32 v131, v131, v128
	v_and_b32_e32 v131, 7, v131
	s_delay_alu instid0(VALU_DEP_2) | instskip(NEXT) | instid1(VALU_DEP_2)
	v_lshl_add_u32 v130, v130, 23, 0x3b800000
	v_cndmask_b32_e32 v129, v129, v131, vcc_lo
	v_and_b32_e32 v131, 0x80000000, v25
	s_delay_alu instid0(VALU_DEP_2) | instskip(NEXT) | instid1(VALU_DEP_1)
	v_lshlrev_b32_e32 v129, 20, v129
	v_or3_b32 v129, v131, v130, v129
.LBB4_3712:                             ;   in Loop: Header=BB4_3272 Depth=2
	s_or_b32 exec_lo, exec_lo, s24
	s_mov_b32 s7, 0
	s_mov_b32 s25, exec_lo
                                        ; implicit-def: $sgpr24
	v_cmpx_lt_i16_e32 0x7f, v119
	s_xor_b32 s25, exec_lo, s25
	s_cbranch_execnz .LBB4_4442
; %bb.3713:                             ;   in Loop: Header=BB4_3272 Depth=2
	s_or_saveexec_b32 s25, s25
	v_mov_b32_e32 v130, s24
	s_xor_b32 exec_lo, exec_lo, s25
	s_cbranch_execnz .LBB4_4445
.LBB4_3714:                             ;   in Loop: Header=BB4_3272 Depth=2
	s_or_b32 exec_lo, exec_lo, s25
	s_and_saveexec_b32 s24, s7
	s_cbranch_execz .LBB4_3716
.LBB4_3715:                             ;   in Loop: Header=BB4_3272 Depth=2
	v_bfe_u32 v130, v21, 24, 3
	v_bfe_u32 v133, v21, 27, 4
	s_delay_alu instid0(VALU_DEP_2) | instskip(NEXT) | instid1(VALU_DEP_2)
	v_clz_i32_u32_e32 v131, v130
	v_cmp_eq_u32_e32 vcc_lo, 0, v133
	s_delay_alu instid0(VALU_DEP_2) | instskip(NEXT) | instid1(VALU_DEP_1)
	v_min_u32_e32 v131, 32, v131
	v_subrev_nc_u32_e32 v132, 28, v131
	v_sub_nc_u32_e32 v131, 29, v131
	s_delay_alu instid0(VALU_DEP_2) | instskip(NEXT) | instid1(VALU_DEP_1)
	v_lshlrev_b32_e32 v132, v132, v119
	v_dual_cndmask_b32 v131, v133, v131 :: v_dual_and_b32 v132, 7, v132
	s_delay_alu instid0(VALU_DEP_1) | instskip(NEXT) | instid1(VALU_DEP_2)
	v_lshl_add_u32 v131, v131, 23, 0x3b800000
	v_cndmask_b32_e32 v130, v130, v132, vcc_lo
	v_and_b32_e32 v132, 0x80000000, v21
	s_delay_alu instid0(VALU_DEP_2) | instskip(NEXT) | instid1(VALU_DEP_1)
	v_lshlrev_b32_e32 v130, 20, v130
	v_or3_b32 v130, v132, v131, v130
.LBB4_3716:                             ;   in Loop: Header=BB4_3272 Depth=2
	s_or_b32 exec_lo, exec_lo, s24
	s_delay_alu instid0(VALU_DEP_1) | instskip(SKIP_1) | instid1(VALU_DEP_1)
	v_dual_max_f32 v130, v130, v130 :: v_dual_max_f32 v129, v129, v129
	s_mov_b32 s7, 0
	v_max_f32_e32 v129, v129, v130
	s_branch .LBB4_3718
.LBB4_3717:                             ;   in Loop: Header=BB4_3272 Depth=2
	s_mov_b32 s7, -1
                                        ; implicit-def: $vgpr129
.LBB4_3718:                             ;   in Loop: Header=BB4_3272 Depth=2
	s_delay_alu instid0(SALU_CYCLE_1)
	s_and_b32 vcc_lo, exec_lo, s7
	s_cbranch_vccz .LBB4_3728
; %bb.3719:                             ;   in Loop: Header=BB4_3272 Depth=2
	s_mov_b32 s7, 0
	s_mov_b32 s25, exec_lo
                                        ; implicit-def: $sgpr24
	v_cmpx_lt_i16_e64 0x7f, v128
	s_xor_b32 s25, exec_lo, s25
	s_cbranch_execnz .LBB4_4446
; %bb.3720:                             ;   in Loop: Header=BB4_3272 Depth=2
	s_or_saveexec_b32 s25, s25
	v_mov_b32_e32 v129, s24
	s_xor_b32 exec_lo, exec_lo, s25
	s_cbranch_execnz .LBB4_4449
.LBB4_3721:                             ;   in Loop: Header=BB4_3272 Depth=2
	s_or_b32 exec_lo, exec_lo, s25
	s_and_saveexec_b32 s24, s7
	s_cbranch_execz .LBB4_3723
.LBB4_3722:                             ;   in Loop: Header=BB4_3272 Depth=2
	v_bfe_u32 v129, v25, 24, 3
	s_delay_alu instid0(VALU_DEP_1) | instskip(NEXT) | instid1(VALU_DEP_1)
	v_clz_i32_u32_e32 v130, v129
	v_min_u32_e32 v130, 32, v130
	s_delay_alu instid0(VALU_DEP_1) | instskip(SKIP_1) | instid1(VALU_DEP_2)
	v_subrev_nc_u32_e32 v131, 28, v130
	v_sub_nc_u32_e32 v130, 29, v130
	v_lshlrev_b32_e32 v128, v131, v128
	v_bfe_u32 v131, v25, 27, 4
	v_and_b32_e32 v25, 0x80000000, v25
	s_delay_alu instid0(VALU_DEP_3) | instskip(NEXT) | instid1(VALU_DEP_3)
	v_and_b32_e32 v128, 7, v128
	v_cmp_eq_u32_e32 vcc_lo, 0, v131
	v_cndmask_b32_e32 v130, v131, v130, vcc_lo
	s_delay_alu instid0(VALU_DEP_3) | instskip(NEXT) | instid1(VALU_DEP_2)
	v_cndmask_b32_e32 v128, v129, v128, vcc_lo
	v_lshl_add_u32 v129, v130, 23, 0x3b800000
	s_delay_alu instid0(VALU_DEP_2) | instskip(NEXT) | instid1(VALU_DEP_1)
	v_lshlrev_b32_e32 v128, 20, v128
	v_or3_b32 v129, v25, v129, v128
.LBB4_3723:                             ;   in Loop: Header=BB4_3272 Depth=2
	s_or_b32 exec_lo, exec_lo, s24
	s_mov_b32 s7, 0
	s_mov_b32 s25, exec_lo
                                        ; implicit-def: $sgpr24
	v_cmpx_lt_i16_e32 0x7f, v119
	s_xor_b32 s25, exec_lo, s25
	s_cbranch_execnz .LBB4_4450
; %bb.3724:                             ;   in Loop: Header=BB4_3272 Depth=2
	s_or_saveexec_b32 s25, s25
	v_mov_b32_e32 v25, s24
	s_xor_b32 exec_lo, exec_lo, s25
	s_cbranch_execnz .LBB4_4453
.LBB4_3725:                             ;   in Loop: Header=BB4_3272 Depth=2
	s_or_b32 exec_lo, exec_lo, s25
	s_and_saveexec_b32 s24, s7
	s_cbranch_execz .LBB4_3727
.LBB4_3726:                             ;   in Loop: Header=BB4_3272 Depth=2
	v_bfe_u32 v25, v21, 24, 3
	s_delay_alu instid0(VALU_DEP_1) | instskip(NEXT) | instid1(VALU_DEP_1)
	v_clz_i32_u32_e32 v128, v25
	v_min_u32_e32 v128, 32, v128
	s_delay_alu instid0(VALU_DEP_1) | instskip(SKIP_1) | instid1(VALU_DEP_2)
	v_subrev_nc_u32_e32 v130, 28, v128
	v_sub_nc_u32_e32 v128, 29, v128
	v_lshlrev_b32_e32 v119, v130, v119
	v_bfe_u32 v130, v21, 27, 4
	v_and_b32_e32 v21, 0x80000000, v21
	s_delay_alu instid0(VALU_DEP_2) | instskip(NEXT) | instid1(VALU_DEP_4)
	v_cmp_eq_u32_e32 vcc_lo, 0, v130
	v_dual_cndmask_b32 v128, v130, v128 :: v_dual_and_b32 v119, 7, v119
	s_delay_alu instid0(VALU_DEP_1) | instskip(NEXT) | instid1(VALU_DEP_2)
	v_cndmask_b32_e32 v25, v25, v119, vcc_lo
	v_lshl_add_u32 v119, v128, 23, 0x3b800000
	s_delay_alu instid0(VALU_DEP_2) | instskip(NEXT) | instid1(VALU_DEP_1)
	v_lshlrev_b32_e32 v25, 20, v25
	v_or3_b32 v25, v21, v119, v25
.LBB4_3727:                             ;   in Loop: Header=BB4_3272 Depth=2
	s_or_b32 exec_lo, exec_lo, s24
	s_delay_alu instid0(VALU_DEP_1) | instskip(SKIP_1) | instid1(VALU_DEP_1)
	v_max_f32_e32 v21, v25, v25
	v_max_f32_e32 v25, v129, v129
	v_min_f32_e32 v129, v25, v21
.LBB4_3728:                             ;   in Loop: Header=BB4_3272 Depth=2
	s_delay_alu instid0(VALU_DEP_1) | instskip(NEXT) | instid1(VALU_DEP_1)
	v_and_b32_e32 v21, 0x7f800000, v129
	v_cmp_ne_u32_e32 vcc_lo, 0x7f800000, v21
	v_mov_b32_e32 v21, 0x8000
	s_and_saveexec_b32 s24, vcc_lo
	s_cbranch_execz .LBB4_3736
; %bb.3729:                             ;   in Loop: Header=BB4_3272 Depth=2
	v_mov_b32_e32 v21, 0
	s_mov_b32 s25, exec_lo
	v_cmpx_ne_u32_e32 0, v129
	s_cbranch_execz .LBB4_3735
; %bb.3730:                             ;   in Loop: Header=BB4_3272 Depth=2
	v_bfe_u32 v21, v129, 23, 8
	v_and_b32_e32 v25, 0x7fffff, v129
	s_delay_alu instid0(VALU_DEP_2) | instskip(SKIP_1) | instid1(VALU_DEP_3)
	v_sub_nc_u32_e32 v119, 0x78, v21
	v_cmp_gt_u32_e32 vcc_lo, 0x79, v21
	v_or_b32_e32 v128, 0x800000, v25
	s_delay_alu instid0(VALU_DEP_3) | instskip(SKIP_2) | instid1(VALU_DEP_3)
	v_cndmask_b32_e32 v119, 0, v119, vcc_lo
	v_cmp_eq_u32_e32 vcc_lo, 0, v21
	v_add_nc_u32_e32 v21, 0xffffff89, v21
	v_cndmask_b32_e64 v119, v119, 0x77, vcc_lo
	v_cndmask_b32_e32 v25, v128, v25, vcc_lo
	s_delay_alu instid0(VALU_DEP_3) | instskip(NEXT) | instid1(VALU_DEP_3)
	v_cndmask_b32_e64 v21, v21, 0xffffff8a, vcc_lo
	v_lshl_add_u32 v128, 0x100000, v119, -1
	s_delay_alu instid0(VALU_DEP_3) | instskip(SKIP_1) | instid1(VALU_DEP_4)
	v_lshrrev_b32_e32 v130, v119, v25
	v_lshlrev_b32_e64 v132, v119, 0x80000
	v_add_nc_u32_e32 v119, v119, v21
	s_delay_alu instid0(VALU_DEP_4) | instskip(NEXT) | instid1(VALU_DEP_4)
	v_and_b32_e32 v25, v128, v25
	v_bfe_u32 v131, v130, 20, 1
	s_delay_alu instid0(VALU_DEP_2) | instskip(NEXT) | instid1(VALU_DEP_2)
	v_cmp_eq_u32_e64 s7, v25, v132
	v_add_nc_u32_e32 v128, -1, v131
	s_delay_alu instid0(VALU_DEP_1) | instskip(SKIP_2) | instid1(VALU_DEP_2)
	v_cndmask_b32_e64 v25, 0, v128, s7
	v_lshrrev_b32_e32 v128, 23, v130
	s_mov_b32 s7, exec_lo
	v_add_nc_u32_e32 v25, v25, v130
	s_delay_alu instid0(VALU_DEP_2) | instskip(NEXT) | instid1(VALU_DEP_2)
	v_xor_b32_e32 v128, 1, v128
	v_and_b32_e32 v21, 0xfffff, v25
	s_delay_alu instid0(VALU_DEP_1) | instskip(NEXT) | instid1(VALU_DEP_3)
	v_add_nc_u32_e32 v25, v21, v130
                                        ; implicit-def: $vgpr21
	v_cmpx_ne_u32_e64 v119, v128
	s_xor_b32 s7, exec_lo, s7
; %bb.3731:                             ;   in Loop: Header=BB4_3272 Depth=2
	s_delay_alu instid0(VALU_DEP_2) | instskip(SKIP_2) | instid1(VALU_DEP_2)
	v_cmp_lt_u32_e32 vcc_lo, 0xffffff, v25
	v_sub_nc_u32_e32 v21, v119, v128
	v_cndmask_b32_e64 v119, 0, 1, vcc_lo
	v_add_co_ci_u32_e32 v21, vcc_lo, 0, v21, vcc_lo
	s_delay_alu instid0(VALU_DEP_2)
	v_lshrrev_b32_e32 v25, v119, v25
; %bb.3732:                             ;   in Loop: Header=BB4_3272 Depth=2
	s_and_not1_saveexec_b32 s7, s7
; %bb.3733:                             ;   in Loop: Header=BB4_3272 Depth=2
	s_delay_alu instid0(VALU_DEP_1)
	v_bfe_u32 v21, v25, 23, 1
; %bb.3734:                             ;   in Loop: Header=BB4_3272 Depth=2
	s_or_b32 exec_lo, exec_lo, s7
	v_lshrrev_b32_e32 v25, 20, v25
	s_delay_alu instid0(VALU_DEP_2) | instskip(SKIP_2) | instid1(VALU_DEP_3)
	v_min_i32_e32 v119, 15, v21
	v_cmp_gt_i32_e32 vcc_lo, 16, v21
	v_lshrrev_b32_e32 v128, 24, v129
	v_lshlrev_b32_e32 v119, 3, v119
	s_delay_alu instid0(VALU_DEP_2) | instskip(NEXT) | instid1(VALU_DEP_2)
	v_dual_cndmask_b32 v25, 7, v25 :: v_dual_and_b32 v128, 0x80, v128
	v_and_b32_e32 v119, 0xf8, v119
	s_delay_alu instid0(VALU_DEP_2) | instskip(SKIP_1) | instid1(VALU_DEP_2)
	v_and_b32_e32 v129, 7, v25
	v_or_b32_e32 v21, v21, v25
	v_or3_b32 v119, v128, v119, v129
	s_delay_alu instid0(VALU_DEP_2) | instskip(NEXT) | instid1(VALU_DEP_2)
	v_cmp_ne_u32_e32 vcc_lo, 0, v21
	v_lshlrev_b32_e32 v25, 8, v119
	s_delay_alu instid0(VALU_DEP_1)
	v_cndmask_b32_e32 v21, 0, v25, vcc_lo
.LBB4_3735:                             ;   in Loop: Header=BB4_3272 Depth=2
	s_or_b32 exec_lo, exec_lo, s25
.LBB4_3736:                             ;   in Loop: Header=BB4_3272 Depth=2
	s_delay_alu instid0(SALU_CYCLE_1) | instskip(NEXT) | instid1(SALU_CYCLE_1)
	s_or_b32 exec_lo, exec_lo, s24
	s_and_not1_b32 vcc_lo, exec_lo, s23
	s_cbranch_vccnz .LBB4_3746
; %bb.3737:                             ;   in Loop: Header=BB4_3272 Depth=2
	v_and_b32_e32 v119, 0xff, v14
	s_mov_b32 s7, 0
	s_mov_b32 s25, exec_lo
                                        ; implicit-def: $sgpr24
	s_delay_alu instid0(VALU_DEP_1)
	v_cmpx_lt_i16_e32 0x7f, v119
	s_xor_b32 s25, exec_lo, s25
	s_cbranch_execnz .LBB4_4454
; %bb.3738:                             ;   in Loop: Header=BB4_3272 Depth=2
	s_or_saveexec_b32 s25, s25
	v_mov_b32_e32 v25, s24
	s_xor_b32 exec_lo, exec_lo, s25
	s_cbranch_execnz .LBB4_4457
.LBB4_3739:                             ;   in Loop: Header=BB4_3272 Depth=2
	s_or_b32 exec_lo, exec_lo, s25
	s_and_saveexec_b32 s24, s7
	s_cbranch_execz .LBB4_3741
.LBB4_3740:                             ;   in Loop: Header=BB4_3272 Depth=2
	v_and_b32_e32 v25, 7, v14
	v_bfe_u32 v129, v14, 3, 4
	s_delay_alu instid0(VALU_DEP_2) | instskip(NEXT) | instid1(VALU_DEP_2)
	v_clz_i32_u32_e32 v119, v25
	v_cmp_eq_u32_e32 vcc_lo, 0, v129
	s_delay_alu instid0(VALU_DEP_2) | instskip(NEXT) | instid1(VALU_DEP_1)
	v_min_u32_e32 v119, 32, v119
	v_subrev_nc_u32_e32 v128, 28, v119
	v_sub_nc_u32_e32 v119, 29, v119
	s_delay_alu instid0(VALU_DEP_1) | instskip(NEXT) | instid1(VALU_DEP_1)
	v_dual_cndmask_b32 v119, v129, v119 :: v_dual_lshlrev_b32 v128, v128, v14
	v_and_b32_e32 v128, 7, v128
	v_lshlrev_b32_e32 v130, 24, v14
	s_delay_alu instid0(VALU_DEP_3) | instskip(NEXT) | instid1(VALU_DEP_2)
	v_lshl_add_u32 v119, v119, 23, 0x3b800000
	v_dual_cndmask_b32 v25, v25, v128 :: v_dual_and_b32 v128, 0x80000000, v130
	s_delay_alu instid0(VALU_DEP_1) | instskip(NEXT) | instid1(VALU_DEP_1)
	v_lshlrev_b32_e32 v25, 20, v25
	v_or3_b32 v25, v128, v119, v25
.LBB4_3741:                             ;   in Loop: Header=BB4_3272 Depth=2
	s_or_b32 exec_lo, exec_lo, s24
	s_waitcnt vmcnt(0)
	v_and_b32_e32 v128, 0xff, v10
	s_mov_b32 s7, 0
	s_mov_b32 s25, exec_lo
                                        ; implicit-def: $sgpr24
	s_delay_alu instid0(VALU_DEP_1)
	v_cmpx_lt_i16_e64 0x7f, v128
	s_xor_b32 s25, exec_lo, s25
	s_cbranch_execnz .LBB4_4458
; %bb.3742:                             ;   in Loop: Header=BB4_3272 Depth=2
	s_or_saveexec_b32 s25, s25
	v_mov_b32_e32 v119, s24
	s_xor_b32 exec_lo, exec_lo, s25
	s_cbranch_execnz .LBB4_4461
.LBB4_3743:                             ;   in Loop: Header=BB4_3272 Depth=2
	s_or_b32 exec_lo, exec_lo, s25
	s_and_saveexec_b32 s24, s7
	s_cbranch_execz .LBB4_3745
.LBB4_3744:                             ;   in Loop: Header=BB4_3272 Depth=2
	v_bfe_u32 v130, v10, 3, 4
	v_lshlrev_b32_e32 v131, 24, v10
	s_delay_alu instid0(VALU_DEP_2) | instskip(SKIP_1) | instid1(VALU_DEP_1)
	v_cmp_eq_u32_e32 vcc_lo, 0, v130
	v_and_b32_e32 v119, 7, v10
	v_clz_i32_u32_e32 v128, v119
	s_delay_alu instid0(VALU_DEP_1) | instskip(NEXT) | instid1(VALU_DEP_1)
	v_min_u32_e32 v128, 32, v128
	v_subrev_nc_u32_e32 v129, 28, v128
	v_sub_nc_u32_e32 v128, 29, v128
	s_delay_alu instid0(VALU_DEP_1) | instskip(NEXT) | instid1(VALU_DEP_1)
	v_dual_cndmask_b32 v128, v130, v128 :: v_dual_lshlrev_b32 v129, v129, v10
	v_and_b32_e32 v129, 7, v129
	s_delay_alu instid0(VALU_DEP_2) | instskip(NEXT) | instid1(VALU_DEP_2)
	v_lshl_add_u32 v128, v128, 23, 0x3b800000
	v_cndmask_b32_e32 v119, v119, v129, vcc_lo
	v_and_b32_e32 v129, 0x80000000, v131
	s_delay_alu instid0(VALU_DEP_2) | instskip(NEXT) | instid1(VALU_DEP_1)
	v_lshlrev_b32_e32 v119, 20, v119
	v_or3_b32 v119, v129, v128, v119
.LBB4_3745:                             ;   in Loop: Header=BB4_3272 Depth=2
	s_or_b32 exec_lo, exec_lo, s24
	s_delay_alu instid0(VALU_DEP_1) | instskip(SKIP_2) | instid1(VALU_DEP_1)
	v_max_f32_e32 v119, v119, v119
	v_max_f32_e32 v25, v25, v25
	s_mov_b32 s7, 0
	v_max_f32_e32 v119, v25, v119
	s_branch .LBB4_3747
.LBB4_3746:                             ;   in Loop: Header=BB4_3272 Depth=2
	s_mov_b32 s7, -1
                                        ; implicit-def: $vgpr119
.LBB4_3747:                             ;   in Loop: Header=BB4_3272 Depth=2
	s_delay_alu instid0(SALU_CYCLE_1)
	s_and_b32 vcc_lo, exec_lo, s7
	s_cbranch_vccz .LBB4_3757
; %bb.3748:                             ;   in Loop: Header=BB4_3272 Depth=2
	v_and_b32_e32 v119, 0xff, v14
	s_mov_b32 s7, 0
	s_mov_b32 s25, exec_lo
                                        ; implicit-def: $sgpr24
	s_delay_alu instid0(VALU_DEP_1)
	v_cmpx_lt_i16_e32 0x7f, v119
	s_xor_b32 s25, exec_lo, s25
	s_cbranch_execnz .LBB4_4462
; %bb.3749:                             ;   in Loop: Header=BB4_3272 Depth=2
	s_or_saveexec_b32 s25, s25
	v_mov_b32_e32 v25, s24
	s_xor_b32 exec_lo, exec_lo, s25
	s_cbranch_execnz .LBB4_4465
.LBB4_3750:                             ;   in Loop: Header=BB4_3272 Depth=2
	s_or_b32 exec_lo, exec_lo, s25
	s_and_saveexec_b32 s24, s7
	s_cbranch_execz .LBB4_3752
.LBB4_3751:                             ;   in Loop: Header=BB4_3272 Depth=2
	v_and_b32_e32 v25, 7, v14
	v_bfe_u32 v129, v14, 3, 4
	s_delay_alu instid0(VALU_DEP_2) | instskip(NEXT) | instid1(VALU_DEP_2)
	v_clz_i32_u32_e32 v119, v25
	v_cmp_eq_u32_e32 vcc_lo, 0, v129
	s_delay_alu instid0(VALU_DEP_2) | instskip(NEXT) | instid1(VALU_DEP_1)
	v_min_u32_e32 v119, 32, v119
	v_subrev_nc_u32_e32 v128, 28, v119
	v_sub_nc_u32_e32 v119, 29, v119
	s_delay_alu instid0(VALU_DEP_1) | instskip(NEXT) | instid1(VALU_DEP_1)
	v_dual_cndmask_b32 v119, v129, v119 :: v_dual_lshlrev_b32 v128, v128, v14
	v_and_b32_e32 v128, 7, v128
	v_lshlrev_b32_e32 v130, 24, v14
	s_delay_alu instid0(VALU_DEP_3) | instskip(NEXT) | instid1(VALU_DEP_2)
	v_lshl_add_u32 v119, v119, 23, 0x3b800000
	v_dual_cndmask_b32 v25, v25, v128 :: v_dual_and_b32 v128, 0x80000000, v130
	s_delay_alu instid0(VALU_DEP_1) | instskip(NEXT) | instid1(VALU_DEP_1)
	v_lshlrev_b32_e32 v25, 20, v25
	v_or3_b32 v25, v128, v119, v25
.LBB4_3752:                             ;   in Loop: Header=BB4_3272 Depth=2
	s_or_b32 exec_lo, exec_lo, s24
	s_waitcnt vmcnt(0)
	v_and_b32_e32 v128, 0xff, v10
	s_mov_b32 s7, 0
	s_mov_b32 s25, exec_lo
                                        ; implicit-def: $sgpr24
	s_delay_alu instid0(VALU_DEP_1)
	v_cmpx_lt_i16_e64 0x7f, v128
	s_xor_b32 s25, exec_lo, s25
	s_cbranch_execnz .LBB4_4466
; %bb.3753:                             ;   in Loop: Header=BB4_3272 Depth=2
	s_or_saveexec_b32 s25, s25
	v_mov_b32_e32 v119, s24
	s_xor_b32 exec_lo, exec_lo, s25
	s_cbranch_execnz .LBB4_4469
.LBB4_3754:                             ;   in Loop: Header=BB4_3272 Depth=2
	s_or_b32 exec_lo, exec_lo, s25
	s_and_saveexec_b32 s24, s7
	s_cbranch_execz .LBB4_3756
.LBB4_3755:                             ;   in Loop: Header=BB4_3272 Depth=2
	v_bfe_u32 v130, v10, 3, 4
	v_lshlrev_b32_e32 v131, 24, v10
	s_delay_alu instid0(VALU_DEP_2) | instskip(SKIP_1) | instid1(VALU_DEP_1)
	v_cmp_eq_u32_e32 vcc_lo, 0, v130
	v_and_b32_e32 v119, 7, v10
	v_clz_i32_u32_e32 v128, v119
	s_delay_alu instid0(VALU_DEP_1) | instskip(NEXT) | instid1(VALU_DEP_1)
	v_min_u32_e32 v128, 32, v128
	v_subrev_nc_u32_e32 v129, 28, v128
	v_sub_nc_u32_e32 v128, 29, v128
	s_delay_alu instid0(VALU_DEP_1) | instskip(NEXT) | instid1(VALU_DEP_1)
	v_dual_cndmask_b32 v128, v130, v128 :: v_dual_lshlrev_b32 v129, v129, v10
	v_and_b32_e32 v129, 7, v129
	s_delay_alu instid0(VALU_DEP_2) | instskip(NEXT) | instid1(VALU_DEP_2)
	v_lshl_add_u32 v128, v128, 23, 0x3b800000
	v_cndmask_b32_e32 v119, v119, v129, vcc_lo
	v_and_b32_e32 v129, 0x80000000, v131
	s_delay_alu instid0(VALU_DEP_2) | instskip(NEXT) | instid1(VALU_DEP_1)
	v_lshlrev_b32_e32 v119, 20, v119
	v_or3_b32 v119, v129, v128, v119
.LBB4_3756:                             ;   in Loop: Header=BB4_3272 Depth=2
	s_or_b32 exec_lo, exec_lo, s24
	s_delay_alu instid0(VALU_DEP_1) | instskip(SKIP_1) | instid1(VALU_DEP_1)
	v_max_f32_e32 v119, v119, v119
	v_max_f32_e32 v25, v25, v25
	v_min_f32_e32 v119, v25, v119
.LBB4_3757:                             ;   in Loop: Header=BB4_3272 Depth=2
	s_delay_alu instid0(VALU_DEP_1) | instskip(NEXT) | instid1(VALU_DEP_1)
	v_and_b32_e32 v25, 0x7f800000, v119
	v_cmp_ne_u32_e32 vcc_lo, 0x7f800000, v25
	v_mov_b32_e32 v25, 0x80
	s_and_saveexec_b32 s24, vcc_lo
	s_cbranch_execz .LBB4_3765
; %bb.3758:                             ;   in Loop: Header=BB4_3272 Depth=2
	v_mov_b32_e32 v25, 0
	s_mov_b32 s25, exec_lo
	v_cmpx_ne_u32_e32 0, v119
	s_cbranch_execz .LBB4_3764
; %bb.3759:                             ;   in Loop: Header=BB4_3272 Depth=2
	v_bfe_u32 v25, v119, 23, 8
	s_delay_alu instid0(VALU_DEP_1) | instskip(SKIP_1) | instid1(VALU_DEP_2)
	v_sub_nc_u32_e32 v129, 0x78, v25
	v_cmp_gt_u32_e32 vcc_lo, 0x79, v25
	v_dual_cndmask_b32 v129, 0, v129 :: v_dual_and_b32 v128, 0x7fffff, v119
	s_delay_alu instid0(VALU_DEP_1) | instskip(SKIP_2) | instid1(VALU_DEP_4)
	v_or_b32_e32 v130, 0x800000, v128
	v_cmp_eq_u32_e32 vcc_lo, 0, v25
	v_add_nc_u32_e32 v25, 0xffffff89, v25
	v_cndmask_b32_e64 v129, v129, 0x77, vcc_lo
	s_delay_alu instid0(VALU_DEP_4) | instskip(NEXT) | instid1(VALU_DEP_3)
	v_cndmask_b32_e32 v128, v130, v128, vcc_lo
	v_cndmask_b32_e64 v25, v25, 0xffffff8a, vcc_lo
	s_delay_alu instid0(VALU_DEP_3) | instskip(NEXT) | instid1(VALU_DEP_3)
	v_lshl_add_u32 v130, 0x100000, v129, -1
	v_lshrrev_b32_e32 v131, v129, v128
	v_lshlrev_b32_e64 v133, v129, 0x80000
	s_delay_alu instid0(VALU_DEP_4) | instskip(NEXT) | instid1(VALU_DEP_4)
	v_add_nc_u32_e32 v129, v129, v25
	v_and_b32_e32 v128, v130, v128
	s_delay_alu instid0(VALU_DEP_4) | instskip(NEXT) | instid1(VALU_DEP_2)
	v_bfe_u32 v132, v131, 20, 1
	v_cmp_eq_u32_e64 s7, v128, v133
	s_delay_alu instid0(VALU_DEP_2) | instskip(NEXT) | instid1(VALU_DEP_1)
	v_add_nc_u32_e32 v130, -1, v132
	v_cndmask_b32_e64 v128, 0, v130, s7
	v_lshrrev_b32_e32 v130, 23, v131
	s_mov_b32 s7, exec_lo
	s_delay_alu instid0(VALU_DEP_2) | instskip(NEXT) | instid1(VALU_DEP_2)
	v_add_nc_u32_e32 v128, v128, v131
	v_xor_b32_e32 v130, 1, v130
	s_delay_alu instid0(VALU_DEP_2) | instskip(NEXT) | instid1(VALU_DEP_1)
	v_and_b32_e32 v25, 0xfffff, v128
	v_add_nc_u32_e32 v128, v25, v131
                                        ; implicit-def: $vgpr25
	s_delay_alu instid0(VALU_DEP_3)
	v_cmpx_ne_u32_e64 v129, v130
	s_xor_b32 s7, exec_lo, s7
; %bb.3760:                             ;   in Loop: Header=BB4_3272 Depth=2
	s_delay_alu instid0(VALU_DEP_2) | instskip(SKIP_2) | instid1(VALU_DEP_2)
	v_cmp_lt_u32_e32 vcc_lo, 0xffffff, v128
	v_sub_nc_u32_e32 v25, v129, v130
	v_cndmask_b32_e64 v129, 0, 1, vcc_lo
	v_add_co_ci_u32_e32 v25, vcc_lo, 0, v25, vcc_lo
	s_delay_alu instid0(VALU_DEP_2)
	v_lshrrev_b32_e32 v128, v129, v128
; %bb.3761:                             ;   in Loop: Header=BB4_3272 Depth=2
	s_and_not1_saveexec_b32 s7, s7
; %bb.3762:                             ;   in Loop: Header=BB4_3272 Depth=2
	s_delay_alu instid0(VALU_DEP_1)
	v_bfe_u32 v25, v128, 23, 1
; %bb.3763:                             ;   in Loop: Header=BB4_3272 Depth=2
	s_or_b32 exec_lo, exec_lo, s7
	v_lshrrev_b32_e32 v128, 20, v128
	s_delay_alu instid0(VALU_DEP_2) | instskip(SKIP_2) | instid1(VALU_DEP_2)
	v_cmp_gt_i32_e32 vcc_lo, 16, v25
	v_lshrrev_b32_e32 v119, 24, v119
	v_min_i32_e32 v129, 15, v25
	v_dual_cndmask_b32 v128, 7, v128 :: v_dual_and_b32 v119, 0x80, v119
	s_delay_alu instid0(VALU_DEP_2) | instskip(NEXT) | instid1(VALU_DEP_2)
	v_lshlrev_b32_e32 v129, 3, v129
	v_or_b32_e32 v25, v25, v128
	s_delay_alu instid0(VALU_DEP_1) | instskip(SKIP_1) | instid1(VALU_DEP_1)
	v_cmp_ne_u32_e32 vcc_lo, 0, v25
	v_and_b32_e32 v130, 7, v128
	v_or3_b32 v119, v129, v119, v130
	s_delay_alu instid0(VALU_DEP_1)
	v_cndmask_b32_e32 v25, 0, v119, vcc_lo
.LBB4_3764:                             ;   in Loop: Header=BB4_3272 Depth=2
	s_or_b32 exec_lo, exec_lo, s25
.LBB4_3765:                             ;   in Loop: Header=BB4_3272 Depth=2
	s_delay_alu instid0(SALU_CYCLE_1)
	s_or_b32 exec_lo, exec_lo, s24
	v_lshrrev_b16 v128, 8, v14
	s_waitcnt vmcnt(0)
	v_lshrrev_b16 v119, 8, v10
	s_and_not1_b32 vcc_lo, exec_lo, s23
	s_cbranch_vccnz .LBB4_3775
; %bb.3766:                             ;   in Loop: Header=BB4_3272 Depth=2
	s_mov_b32 s7, 0
	s_mov_b32 s25, exec_lo
                                        ; implicit-def: $sgpr24
	v_cmpx_lt_i16_e64 0x7f, v128
	s_xor_b32 s25, exec_lo, s25
	s_cbranch_execnz .LBB4_4470
; %bb.3767:                             ;   in Loop: Header=BB4_3272 Depth=2
	s_or_saveexec_b32 s25, s25
	v_mov_b32_e32 v129, s24
	s_xor_b32 exec_lo, exec_lo, s25
	s_cbranch_execnz .LBB4_4473
.LBB4_3768:                             ;   in Loop: Header=BB4_3272 Depth=2
	s_or_b32 exec_lo, exec_lo, s25
	s_and_saveexec_b32 s24, s7
	s_cbranch_execz .LBB4_3770
.LBB4_3769:                             ;   in Loop: Header=BB4_3272 Depth=2
	v_and_b32_e32 v129, 0xffff, v128
	s_delay_alu instid0(VALU_DEP_1) | instskip(NEXT) | instid1(VALU_DEP_1)
	v_and_b32_e32 v130, 7, v129
	v_clz_i32_u32_e32 v131, v130
	s_delay_alu instid0(VALU_DEP_1) | instskip(NEXT) | instid1(VALU_DEP_1)
	v_min_u32_e32 v131, 32, v131
	v_subrev_nc_u32_e32 v132, 28, v131
	v_sub_nc_u32_e32 v131, 29, v131
	s_delay_alu instid0(VALU_DEP_2) | instskip(SKIP_1) | instid1(VALU_DEP_2)
	v_lshlrev_b32_e32 v132, v132, v129
	v_bfe_u32 v129, v129, 3, 4
	v_and_b32_e32 v132, 7, v132
	s_delay_alu instid0(VALU_DEP_2) | instskip(SKIP_1) | instid1(VALU_DEP_3)
	v_cmp_eq_u32_e32 vcc_lo, 0, v129
	v_cndmask_b32_e32 v129, v129, v131, vcc_lo
	v_dual_cndmask_b32 v130, v130, v132 :: v_dual_lshlrev_b32 v133, 16, v14
	s_delay_alu instid0(VALU_DEP_2) | instskip(NEXT) | instid1(VALU_DEP_2)
	v_lshl_add_u32 v129, v129, 23, 0x3b800000
	v_and_b32_e32 v131, 0x80000000, v133
	s_delay_alu instid0(VALU_DEP_3) | instskip(NEXT) | instid1(VALU_DEP_1)
	v_lshlrev_b32_e32 v130, 20, v130
	v_or3_b32 v129, v131, v129, v130
.LBB4_3770:                             ;   in Loop: Header=BB4_3272 Depth=2
	s_or_b32 exec_lo, exec_lo, s24
	s_mov_b32 s7, 0
	s_mov_b32 s25, exec_lo
                                        ; implicit-def: $sgpr24
	v_cmpx_lt_i16_e32 0x7f, v119
	s_xor_b32 s25, exec_lo, s25
	s_cbranch_execnz .LBB4_4474
; %bb.3771:                             ;   in Loop: Header=BB4_3272 Depth=2
	s_or_saveexec_b32 s25, s25
	v_mov_b32_e32 v130, s24
	s_xor_b32 exec_lo, exec_lo, s25
	s_cbranch_execnz .LBB4_4477
.LBB4_3772:                             ;   in Loop: Header=BB4_3272 Depth=2
	s_or_b32 exec_lo, exec_lo, s25
	s_and_saveexec_b32 s24, s7
	s_cbranch_execz .LBB4_3774
.LBB4_3773:                             ;   in Loop: Header=BB4_3272 Depth=2
	v_and_b32_e32 v130, 0xffff, v119
	v_lshlrev_b32_e32 v134, 16, v10
	s_delay_alu instid0(VALU_DEP_2) | instskip(NEXT) | instid1(VALU_DEP_1)
	v_and_b32_e32 v131, 7, v130
	v_clz_i32_u32_e32 v132, v131
	s_delay_alu instid0(VALU_DEP_1) | instskip(NEXT) | instid1(VALU_DEP_1)
	v_min_u32_e32 v132, 32, v132
	v_subrev_nc_u32_e32 v133, 28, v132
	v_sub_nc_u32_e32 v132, 29, v132
	s_delay_alu instid0(VALU_DEP_2) | instskip(SKIP_1) | instid1(VALU_DEP_2)
	v_lshlrev_b32_e32 v133, v133, v130
	v_bfe_u32 v130, v130, 3, 4
	v_and_b32_e32 v133, 7, v133
	s_delay_alu instid0(VALU_DEP_2) | instskip(NEXT) | instid1(VALU_DEP_2)
	v_cmp_eq_u32_e32 vcc_lo, 0, v130
	v_dual_cndmask_b32 v130, v130, v132 :: v_dual_cndmask_b32 v131, v131, v133
	v_and_b32_e32 v132, 0x80000000, v134
	s_delay_alu instid0(VALU_DEP_2) | instskip(NEXT) | instid1(VALU_DEP_3)
	v_lshl_add_u32 v130, v130, 23, 0x3b800000
	v_lshlrev_b32_e32 v131, 20, v131
	s_delay_alu instid0(VALU_DEP_1)
	v_or3_b32 v130, v132, v130, v131
.LBB4_3774:                             ;   in Loop: Header=BB4_3272 Depth=2
	s_or_b32 exec_lo, exec_lo, s24
	s_delay_alu instid0(VALU_DEP_1) | instskip(SKIP_1) | instid1(VALU_DEP_1)
	v_dual_max_f32 v130, v130, v130 :: v_dual_max_f32 v129, v129, v129
	s_mov_b32 s7, 0
	v_max_f32_e32 v129, v129, v130
	s_branch .LBB4_3776
.LBB4_3775:                             ;   in Loop: Header=BB4_3272 Depth=2
	s_mov_b32 s7, -1
                                        ; implicit-def: $vgpr129
.LBB4_3776:                             ;   in Loop: Header=BB4_3272 Depth=2
	s_delay_alu instid0(SALU_CYCLE_1)
	s_and_b32 vcc_lo, exec_lo, s7
	s_cbranch_vccz .LBB4_3786
; %bb.3777:                             ;   in Loop: Header=BB4_3272 Depth=2
	s_mov_b32 s7, 0
	s_mov_b32 s25, exec_lo
                                        ; implicit-def: $sgpr24
	v_cmpx_lt_i16_e64 0x7f, v128
	s_xor_b32 s25, exec_lo, s25
	s_cbranch_execnz .LBB4_4478
; %bb.3778:                             ;   in Loop: Header=BB4_3272 Depth=2
	s_or_saveexec_b32 s25, s25
	v_mov_b32_e32 v129, s24
	s_xor_b32 exec_lo, exec_lo, s25
	s_cbranch_execnz .LBB4_4481
.LBB4_3779:                             ;   in Loop: Header=BB4_3272 Depth=2
	s_or_b32 exec_lo, exec_lo, s25
	s_and_saveexec_b32 s24, s7
	s_cbranch_execz .LBB4_3781
.LBB4_3780:                             ;   in Loop: Header=BB4_3272 Depth=2
	v_and_b32_e32 v128, 0xffff, v128
	v_lshlrev_b32_e32 v132, 16, v14
	s_delay_alu instid0(VALU_DEP_2) | instskip(NEXT) | instid1(VALU_DEP_1)
	v_and_b32_e32 v129, 7, v128
	v_clz_i32_u32_e32 v130, v129
	s_delay_alu instid0(VALU_DEP_1) | instskip(NEXT) | instid1(VALU_DEP_1)
	v_min_u32_e32 v130, 32, v130
	v_subrev_nc_u32_e32 v131, 28, v130
	v_sub_nc_u32_e32 v130, 29, v130
	s_delay_alu instid0(VALU_DEP_2) | instskip(SKIP_1) | instid1(VALU_DEP_2)
	v_lshlrev_b32_e32 v131, v131, v128
	v_bfe_u32 v128, v128, 3, 4
	v_and_b32_e32 v131, 7, v131
	s_delay_alu instid0(VALU_DEP_2) | instskip(NEXT) | instid1(VALU_DEP_2)
	v_cmp_eq_u32_e32 vcc_lo, 0, v128
	v_dual_cndmask_b32 v128, v128, v130 :: v_dual_cndmask_b32 v129, v129, v131
	v_and_b32_e32 v130, 0x80000000, v132
	s_delay_alu instid0(VALU_DEP_2) | instskip(NEXT) | instid1(VALU_DEP_3)
	v_lshl_add_u32 v128, v128, 23, 0x3b800000
	v_lshlrev_b32_e32 v129, 20, v129
	s_delay_alu instid0(VALU_DEP_1)
	v_or3_b32 v129, v130, v128, v129
.LBB4_3781:                             ;   in Loop: Header=BB4_3272 Depth=2
	s_or_b32 exec_lo, exec_lo, s24
	s_mov_b32 s7, 0
	s_mov_b32 s25, exec_lo
                                        ; implicit-def: $sgpr24
	v_cmpx_lt_i16_e32 0x7f, v119
	s_xor_b32 s25, exec_lo, s25
	s_cbranch_execnz .LBB4_4482
; %bb.3782:                             ;   in Loop: Header=BB4_3272 Depth=2
	s_or_saveexec_b32 s25, s25
	v_mov_b32_e32 v128, s24
	s_xor_b32 exec_lo, exec_lo, s25
	s_cbranch_execnz .LBB4_4485
.LBB4_3783:                             ;   in Loop: Header=BB4_3272 Depth=2
	s_or_b32 exec_lo, exec_lo, s25
	s_and_saveexec_b32 s24, s7
	s_cbranch_execz .LBB4_3785
.LBB4_3784:                             ;   in Loop: Header=BB4_3272 Depth=2
	v_and_b32_e32 v119, 0xffff, v119
	v_lshlrev_b32_e32 v132, 16, v10
	s_delay_alu instid0(VALU_DEP_2) | instskip(NEXT) | instid1(VALU_DEP_1)
	v_and_b32_e32 v128, 7, v119
	v_clz_i32_u32_e32 v130, v128
	s_delay_alu instid0(VALU_DEP_1) | instskip(NEXT) | instid1(VALU_DEP_1)
	v_min_u32_e32 v130, 32, v130
	v_subrev_nc_u32_e32 v131, 28, v130
	v_sub_nc_u32_e32 v130, 29, v130
	s_delay_alu instid0(VALU_DEP_2) | instskip(SKIP_1) | instid1(VALU_DEP_2)
	v_lshlrev_b32_e32 v131, v131, v119
	v_bfe_u32 v119, v119, 3, 4
	v_and_b32_e32 v131, 7, v131
	s_delay_alu instid0(VALU_DEP_2) | instskip(NEXT) | instid1(VALU_DEP_2)
	v_cmp_eq_u32_e32 vcc_lo, 0, v119
	v_dual_cndmask_b32 v119, v119, v130 :: v_dual_cndmask_b32 v128, v128, v131
	v_and_b32_e32 v130, 0x80000000, v132
	s_delay_alu instid0(VALU_DEP_2) | instskip(NEXT) | instid1(VALU_DEP_3)
	v_lshl_add_u32 v119, v119, 23, 0x3b800000
	v_lshlrev_b32_e32 v128, 20, v128
	s_delay_alu instid0(VALU_DEP_1)
	v_or3_b32 v128, v130, v119, v128
.LBB4_3785:                             ;   in Loop: Header=BB4_3272 Depth=2
	s_or_b32 exec_lo, exec_lo, s24
	s_delay_alu instid0(VALU_DEP_1) | instskip(NEXT) | instid1(VALU_DEP_1)
	v_dual_max_f32 v119, v128, v128 :: v_dual_max_f32 v128, v129, v129
	v_min_f32_e32 v129, v128, v119
.LBB4_3786:                             ;   in Loop: Header=BB4_3272 Depth=2
	s_delay_alu instid0(VALU_DEP_1) | instskip(NEXT) | instid1(VALU_DEP_1)
	v_and_b32_e32 v119, 0x7f800000, v129
	v_cmp_ne_u32_e32 vcc_lo, 0x7f800000, v119
	v_mov_b32_e32 v119, 0x80
	s_and_saveexec_b32 s24, vcc_lo
	s_cbranch_execz .LBB4_3794
; %bb.3787:                             ;   in Loop: Header=BB4_3272 Depth=2
	v_mov_b32_e32 v119, 0
	s_mov_b32 s25, exec_lo
	v_cmpx_ne_u32_e32 0, v129
	s_cbranch_execz .LBB4_3793
; %bb.3788:                             ;   in Loop: Header=BB4_3272 Depth=2
	v_bfe_u32 v119, v129, 23, 8
	v_and_b32_e32 v128, 0x7fffff, v129
	s_delay_alu instid0(VALU_DEP_2) | instskip(SKIP_1) | instid1(VALU_DEP_3)
	v_sub_nc_u32_e32 v130, 0x78, v119
	v_cmp_gt_u32_e32 vcc_lo, 0x79, v119
	v_or_b32_e32 v131, 0x800000, v128
	s_delay_alu instid0(VALU_DEP_3) | instskip(SKIP_2) | instid1(VALU_DEP_3)
	v_cndmask_b32_e32 v130, 0, v130, vcc_lo
	v_cmp_eq_u32_e32 vcc_lo, 0, v119
	v_add_nc_u32_e32 v119, 0xffffff89, v119
	v_cndmask_b32_e64 v130, v130, 0x77, vcc_lo
	v_cndmask_b32_e32 v128, v131, v128, vcc_lo
	s_delay_alu instid0(VALU_DEP_3) | instskip(NEXT) | instid1(VALU_DEP_3)
	v_cndmask_b32_e64 v119, v119, 0xffffff8a, vcc_lo
	v_lshl_add_u32 v131, 0x100000, v130, -1
	s_delay_alu instid0(VALU_DEP_3) | instskip(SKIP_1) | instid1(VALU_DEP_4)
	v_lshrrev_b32_e32 v132, v130, v128
	v_lshlrev_b32_e64 v134, v130, 0x80000
	v_add_nc_u32_e32 v130, v130, v119
	s_delay_alu instid0(VALU_DEP_4) | instskip(NEXT) | instid1(VALU_DEP_4)
	v_and_b32_e32 v128, v131, v128
	v_bfe_u32 v133, v132, 20, 1
	s_delay_alu instid0(VALU_DEP_2) | instskip(NEXT) | instid1(VALU_DEP_2)
	v_cmp_eq_u32_e64 s7, v128, v134
	v_add_nc_u32_e32 v131, -1, v133
	s_delay_alu instid0(VALU_DEP_1) | instskip(SKIP_2) | instid1(VALU_DEP_2)
	v_cndmask_b32_e64 v128, 0, v131, s7
	v_lshrrev_b32_e32 v131, 23, v132
	s_mov_b32 s7, exec_lo
	v_add_nc_u32_e32 v128, v128, v132
	s_delay_alu instid0(VALU_DEP_2) | instskip(NEXT) | instid1(VALU_DEP_2)
	v_xor_b32_e32 v131, 1, v131
	v_and_b32_e32 v119, 0xfffff, v128
	s_delay_alu instid0(VALU_DEP_1) | instskip(NEXT) | instid1(VALU_DEP_3)
	v_add_nc_u32_e32 v128, v119, v132
                                        ; implicit-def: $vgpr119
	v_cmpx_ne_u32_e64 v130, v131
	s_xor_b32 s7, exec_lo, s7
; %bb.3789:                             ;   in Loop: Header=BB4_3272 Depth=2
	s_delay_alu instid0(VALU_DEP_2) | instskip(SKIP_2) | instid1(VALU_DEP_2)
	v_cmp_lt_u32_e32 vcc_lo, 0xffffff, v128
	v_sub_nc_u32_e32 v119, v130, v131
	v_cndmask_b32_e64 v130, 0, 1, vcc_lo
	v_add_co_ci_u32_e32 v119, vcc_lo, 0, v119, vcc_lo
	s_delay_alu instid0(VALU_DEP_2)
	v_lshrrev_b32_e32 v128, v130, v128
; %bb.3790:                             ;   in Loop: Header=BB4_3272 Depth=2
	s_and_not1_saveexec_b32 s7, s7
; %bb.3791:                             ;   in Loop: Header=BB4_3272 Depth=2
	s_delay_alu instid0(VALU_DEP_1)
	v_bfe_u32 v119, v128, 23, 1
; %bb.3792:                             ;   in Loop: Header=BB4_3272 Depth=2
	s_or_b32 exec_lo, exec_lo, s7
	v_lshrrev_b32_e32 v128, 20, v128
	s_delay_alu instid0(VALU_DEP_2) | instskip(SKIP_2) | instid1(VALU_DEP_2)
	v_cmp_gt_i32_e32 vcc_lo, 16, v119
	v_lshrrev_b32_e32 v129, 24, v129
	v_min_i32_e32 v130, 15, v119
	v_dual_cndmask_b32 v128, 7, v128 :: v_dual_and_b32 v129, 0x80, v129
	s_delay_alu instid0(VALU_DEP_1) | instskip(SKIP_1) | instid1(VALU_DEP_2)
	v_or_b32_e32 v119, v119, v128
	v_and_b32_e32 v131, 7, v128
	v_cmp_ne_u32_e32 vcc_lo, 0, v119
	v_lshlrev_b32_e32 v130, 3, v130
	s_delay_alu instid0(VALU_DEP_1) | instskip(NEXT) | instid1(VALU_DEP_1)
	v_or3_b32 v128, v130, v129, v131
	v_cndmask_b32_e32 v119, 0, v128, vcc_lo
.LBB4_3793:                             ;   in Loop: Header=BB4_3272 Depth=2
	s_or_b32 exec_lo, exec_lo, s25
.LBB4_3794:                             ;   in Loop: Header=BB4_3272 Depth=2
	s_delay_alu instid0(SALU_CYCLE_1)
	s_or_b32 exec_lo, exec_lo, s24
	v_lshrrev_b32_e32 v129, 16, v14
	v_lshrrev_b32_e32 v128, 16, v10
	s_and_not1_b32 vcc_lo, exec_lo, s23
	s_cbranch_vccnz .LBB4_3804
; %bb.3795:                             ;   in Loop: Header=BB4_3272 Depth=2
	s_delay_alu instid0(VALU_DEP_2) | instskip(SKIP_2) | instid1(VALU_DEP_1)
	v_and_b32_e32 v131, 0xff, v129
	s_mov_b32 s7, 0
	s_mov_b32 s25, exec_lo
                                        ; implicit-def: $sgpr24
	v_cmpx_lt_i16_e64 0x7f, v131
	s_xor_b32 s25, exec_lo, s25
	s_cbranch_execnz .LBB4_4486
; %bb.3796:                             ;   in Loop: Header=BB4_3272 Depth=2
	s_or_saveexec_b32 s25, s25
	v_mov_b32_e32 v130, s24
	s_xor_b32 exec_lo, exec_lo, s25
	s_cbranch_execnz .LBB4_4489
.LBB4_3797:                             ;   in Loop: Header=BB4_3272 Depth=2
	s_or_b32 exec_lo, exec_lo, s25
	s_and_saveexec_b32 s24, s7
	s_cbranch_execz .LBB4_3799
.LBB4_3798:                             ;   in Loop: Header=BB4_3272 Depth=2
	v_bfe_u32 v130, v14, 16, 3
	v_bfe_u32 v133, v14, 19, 4
	v_lshlrev_b32_e32 v134, 24, v129
	s_delay_alu instid0(VALU_DEP_3) | instskip(NEXT) | instid1(VALU_DEP_3)
	v_clz_i32_u32_e32 v131, v130
	v_cmp_eq_u32_e32 vcc_lo, 0, v133
	s_delay_alu instid0(VALU_DEP_2) | instskip(NEXT) | instid1(VALU_DEP_1)
	v_min_u32_e32 v131, 32, v131
	v_subrev_nc_u32_e32 v132, 28, v131
	v_sub_nc_u32_e32 v131, 29, v131
	s_delay_alu instid0(VALU_DEP_1) | instskip(NEXT) | instid1(VALU_DEP_1)
	v_dual_cndmask_b32 v131, v133, v131 :: v_dual_lshlrev_b32 v132, v132, v129
	v_and_b32_e32 v132, 7, v132
	s_delay_alu instid0(VALU_DEP_2) | instskip(NEXT) | instid1(VALU_DEP_2)
	v_lshl_add_u32 v131, v131, 23, 0x3b800000
	v_cndmask_b32_e32 v130, v130, v132, vcc_lo
	v_and_b32_e32 v132, 0x80000000, v134
	s_delay_alu instid0(VALU_DEP_2) | instskip(NEXT) | instid1(VALU_DEP_1)
	v_lshlrev_b32_e32 v130, 20, v130
	v_or3_b32 v130, v132, v131, v130
.LBB4_3799:                             ;   in Loop: Header=BB4_3272 Depth=2
	s_or_b32 exec_lo, exec_lo, s24
	v_and_b32_e32 v132, 0xff, v128
	s_mov_b32 s7, 0
	s_mov_b32 s25, exec_lo
                                        ; implicit-def: $sgpr24
	s_delay_alu instid0(VALU_DEP_1)
	v_cmpx_lt_i16_e64 0x7f, v132
	s_xor_b32 s25, exec_lo, s25
	s_cbranch_execnz .LBB4_4490
; %bb.3800:                             ;   in Loop: Header=BB4_3272 Depth=2
	s_or_saveexec_b32 s25, s25
	v_mov_b32_e32 v131, s24
	s_xor_b32 exec_lo, exec_lo, s25
	s_cbranch_execnz .LBB4_4493
.LBB4_3801:                             ;   in Loop: Header=BB4_3272 Depth=2
	s_or_b32 exec_lo, exec_lo, s25
	s_and_saveexec_b32 s24, s7
	s_cbranch_execz .LBB4_3803
.LBB4_3802:                             ;   in Loop: Header=BB4_3272 Depth=2
	v_bfe_u32 v131, v10, 16, 3
	v_bfe_u32 v134, v10, 19, 4
	v_lshlrev_b32_e32 v135, 24, v128
	s_delay_alu instid0(VALU_DEP_3) | instskip(NEXT) | instid1(VALU_DEP_3)
	v_clz_i32_u32_e32 v132, v131
	v_cmp_eq_u32_e32 vcc_lo, 0, v134
	s_delay_alu instid0(VALU_DEP_2) | instskip(NEXT) | instid1(VALU_DEP_1)
	v_min_u32_e32 v132, 32, v132
	v_subrev_nc_u32_e32 v133, 28, v132
	v_sub_nc_u32_e32 v132, 29, v132
	s_delay_alu instid0(VALU_DEP_2) | instskip(NEXT) | instid1(VALU_DEP_1)
	v_lshlrev_b32_e32 v133, v133, v128
	v_dual_cndmask_b32 v132, v134, v132 :: v_dual_and_b32 v133, 7, v133
	s_delay_alu instid0(VALU_DEP_1) | instskip(NEXT) | instid1(VALU_DEP_2)
	v_lshl_add_u32 v132, v132, 23, 0x3b800000
	v_cndmask_b32_e32 v131, v131, v133, vcc_lo
	v_and_b32_e32 v133, 0x80000000, v135
	s_delay_alu instid0(VALU_DEP_2) | instskip(NEXT) | instid1(VALU_DEP_1)
	v_lshlrev_b32_e32 v131, 20, v131
	v_or3_b32 v131, v133, v132, v131
.LBB4_3803:                             ;   in Loop: Header=BB4_3272 Depth=2
	s_or_b32 exec_lo, exec_lo, s24
	s_delay_alu instid0(VALU_DEP_1) | instskip(SKIP_1) | instid1(VALU_DEP_1)
	v_dual_max_f32 v131, v131, v131 :: v_dual_max_f32 v130, v130, v130
	s_mov_b32 s7, 0
	v_max_f32_e32 v130, v130, v131
	s_branch .LBB4_3805
.LBB4_3804:                             ;   in Loop: Header=BB4_3272 Depth=2
	s_mov_b32 s7, -1
                                        ; implicit-def: $vgpr130
.LBB4_3805:                             ;   in Loop: Header=BB4_3272 Depth=2
	s_delay_alu instid0(SALU_CYCLE_1)
	s_and_b32 vcc_lo, exec_lo, s7
	s_cbranch_vccz .LBB4_3815
; %bb.3806:                             ;   in Loop: Header=BB4_3272 Depth=2
	v_and_b32_e32 v131, 0xff, v129
	s_mov_b32 s7, 0
	s_mov_b32 s25, exec_lo
                                        ; implicit-def: $sgpr24
	s_delay_alu instid0(VALU_DEP_1)
	v_cmpx_lt_i16_e64 0x7f, v131
	s_xor_b32 s25, exec_lo, s25
	s_cbranch_execnz .LBB4_4494
; %bb.3807:                             ;   in Loop: Header=BB4_3272 Depth=2
	s_or_saveexec_b32 s25, s25
	v_mov_b32_e32 v130, s24
	s_xor_b32 exec_lo, exec_lo, s25
	s_cbranch_execnz .LBB4_4497
.LBB4_3808:                             ;   in Loop: Header=BB4_3272 Depth=2
	s_or_b32 exec_lo, exec_lo, s25
	s_and_saveexec_b32 s24, s7
	s_cbranch_execz .LBB4_3810
.LBB4_3809:                             ;   in Loop: Header=BB4_3272 Depth=2
	v_bfe_u32 v130, v14, 16, 3
	v_bfe_u32 v133, v14, 19, 4
	s_delay_alu instid0(VALU_DEP_2) | instskip(NEXT) | instid1(VALU_DEP_2)
	v_clz_i32_u32_e32 v131, v130
	v_cmp_eq_u32_e32 vcc_lo, 0, v133
	s_delay_alu instid0(VALU_DEP_2) | instskip(NEXT) | instid1(VALU_DEP_1)
	v_min_u32_e32 v131, 32, v131
	v_subrev_nc_u32_e32 v132, 28, v131
	v_sub_nc_u32_e32 v131, 29, v131
	s_delay_alu instid0(VALU_DEP_1) | instskip(NEXT) | instid1(VALU_DEP_1)
	v_dual_cndmask_b32 v131, v133, v131 :: v_dual_lshlrev_b32 v132, v132, v129
	v_and_b32_e32 v132, 7, v132
	v_lshlrev_b32_e32 v129, 24, v129
	s_delay_alu instid0(VALU_DEP_3) | instskip(NEXT) | instid1(VALU_DEP_2)
	v_lshl_add_u32 v131, v131, 23, 0x3b800000
	v_dual_cndmask_b32 v130, v130, v132 :: v_dual_and_b32 v129, 0x80000000, v129
	s_delay_alu instid0(VALU_DEP_1) | instskip(NEXT) | instid1(VALU_DEP_1)
	v_lshlrev_b32_e32 v130, 20, v130
	v_or3_b32 v130, v129, v131, v130
.LBB4_3810:                             ;   in Loop: Header=BB4_3272 Depth=2
	s_or_b32 exec_lo, exec_lo, s24
	v_and_b32_e32 v131, 0xff, v128
	s_mov_b32 s7, 0
	s_mov_b32 s25, exec_lo
                                        ; implicit-def: $sgpr24
	s_delay_alu instid0(VALU_DEP_1)
	v_cmpx_lt_i16_e64 0x7f, v131
	s_xor_b32 s25, exec_lo, s25
	s_cbranch_execnz .LBB4_4498
; %bb.3811:                             ;   in Loop: Header=BB4_3272 Depth=2
	s_or_saveexec_b32 s25, s25
	v_mov_b32_e32 v129, s24
	s_xor_b32 exec_lo, exec_lo, s25
	s_cbranch_execnz .LBB4_4501
.LBB4_3812:                             ;   in Loop: Header=BB4_3272 Depth=2
	s_or_b32 exec_lo, exec_lo, s25
	s_and_saveexec_b32 s24, s7
	s_cbranch_execz .LBB4_3814
.LBB4_3813:                             ;   in Loop: Header=BB4_3272 Depth=2
	v_bfe_u32 v129, v10, 16, 3
	v_bfe_u32 v133, v10, 19, 4
	s_delay_alu instid0(VALU_DEP_2) | instskip(NEXT) | instid1(VALU_DEP_2)
	v_clz_i32_u32_e32 v131, v129
	v_cmp_eq_u32_e32 vcc_lo, 0, v133
	s_delay_alu instid0(VALU_DEP_2) | instskip(NEXT) | instid1(VALU_DEP_1)
	v_min_u32_e32 v131, 32, v131
	v_subrev_nc_u32_e32 v132, 28, v131
	v_sub_nc_u32_e32 v131, 29, v131
	s_delay_alu instid0(VALU_DEP_1) | instskip(SKIP_1) | instid1(VALU_DEP_2)
	v_dual_cndmask_b32 v131, v133, v131 :: v_dual_lshlrev_b32 v132, v132, v128
	v_lshlrev_b32_e32 v128, 24, v128
	v_and_b32_e32 v132, 7, v132
	s_delay_alu instid0(VALU_DEP_3) | instskip(NEXT) | instid1(VALU_DEP_3)
	v_lshl_add_u32 v131, v131, 23, 0x3b800000
	v_and_b32_e32 v128, 0x80000000, v128
	s_delay_alu instid0(VALU_DEP_3) | instskip(NEXT) | instid1(VALU_DEP_1)
	v_cndmask_b32_e32 v129, v129, v132, vcc_lo
	v_lshlrev_b32_e32 v129, 20, v129
	s_delay_alu instid0(VALU_DEP_1)
	v_or3_b32 v129, v128, v131, v129
.LBB4_3814:                             ;   in Loop: Header=BB4_3272 Depth=2
	s_or_b32 exec_lo, exec_lo, s24
	s_delay_alu instid0(VALU_DEP_1) | instskip(NEXT) | instid1(VALU_DEP_1)
	v_dual_max_f32 v128, v129, v129 :: v_dual_max_f32 v129, v130, v130
	v_min_f32_e32 v130, v129, v128
.LBB4_3815:                             ;   in Loop: Header=BB4_3272 Depth=2
	s_delay_alu instid0(VALU_DEP_1) | instskip(NEXT) | instid1(VALU_DEP_1)
	v_and_b32_e32 v128, 0x7f800000, v130
	v_cmp_ne_u32_e32 vcc_lo, 0x7f800000, v128
	v_mov_b32_e32 v128, 0x80
	s_and_saveexec_b32 s24, vcc_lo
	s_cbranch_execz .LBB4_3823
; %bb.3816:                             ;   in Loop: Header=BB4_3272 Depth=2
	v_mov_b32_e32 v128, 0
	s_mov_b32 s25, exec_lo
	v_cmpx_ne_u32_e32 0, v130
	s_cbranch_execz .LBB4_3822
; %bb.3817:                             ;   in Loop: Header=BB4_3272 Depth=2
	v_bfe_u32 v128, v130, 23, 8
	v_and_b32_e32 v129, 0x7fffff, v130
	s_delay_alu instid0(VALU_DEP_2) | instskip(SKIP_1) | instid1(VALU_DEP_3)
	v_sub_nc_u32_e32 v131, 0x78, v128
	v_cmp_gt_u32_e32 vcc_lo, 0x79, v128
	v_or_b32_e32 v132, 0x800000, v129
	s_delay_alu instid0(VALU_DEP_3) | instskip(SKIP_2) | instid1(VALU_DEP_3)
	v_cndmask_b32_e32 v131, 0, v131, vcc_lo
	v_cmp_eq_u32_e32 vcc_lo, 0, v128
	v_add_nc_u32_e32 v128, 0xffffff89, v128
	v_cndmask_b32_e64 v131, v131, 0x77, vcc_lo
	v_cndmask_b32_e32 v129, v132, v129, vcc_lo
	s_delay_alu instid0(VALU_DEP_3) | instskip(NEXT) | instid1(VALU_DEP_3)
	v_cndmask_b32_e64 v128, v128, 0xffffff8a, vcc_lo
	v_lshl_add_u32 v132, 0x100000, v131, -1
	s_delay_alu instid0(VALU_DEP_3) | instskip(SKIP_1) | instid1(VALU_DEP_4)
	v_lshrrev_b32_e32 v133, v131, v129
	v_lshlrev_b32_e64 v135, v131, 0x80000
	v_add_nc_u32_e32 v131, v131, v128
	s_delay_alu instid0(VALU_DEP_4) | instskip(NEXT) | instid1(VALU_DEP_4)
	v_and_b32_e32 v129, v132, v129
	v_bfe_u32 v134, v133, 20, 1
	s_delay_alu instid0(VALU_DEP_2) | instskip(NEXT) | instid1(VALU_DEP_2)
	v_cmp_eq_u32_e64 s7, v129, v135
	v_add_nc_u32_e32 v132, -1, v134
	s_delay_alu instid0(VALU_DEP_1) | instskip(SKIP_2) | instid1(VALU_DEP_2)
	v_cndmask_b32_e64 v129, 0, v132, s7
	v_lshrrev_b32_e32 v132, 23, v133
	s_mov_b32 s7, exec_lo
	v_add_nc_u32_e32 v129, v129, v133
	s_delay_alu instid0(VALU_DEP_2) | instskip(NEXT) | instid1(VALU_DEP_2)
	v_xor_b32_e32 v132, 1, v132
	v_and_b32_e32 v128, 0xfffff, v129
	s_delay_alu instid0(VALU_DEP_1) | instskip(NEXT) | instid1(VALU_DEP_3)
	v_add_nc_u32_e32 v129, v128, v133
                                        ; implicit-def: $vgpr128
	v_cmpx_ne_u32_e64 v131, v132
	s_xor_b32 s7, exec_lo, s7
; %bb.3818:                             ;   in Loop: Header=BB4_3272 Depth=2
	s_delay_alu instid0(VALU_DEP_2) | instskip(SKIP_2) | instid1(VALU_DEP_2)
	v_cmp_lt_u32_e32 vcc_lo, 0xffffff, v129
	v_sub_nc_u32_e32 v128, v131, v132
	v_cndmask_b32_e64 v131, 0, 1, vcc_lo
	v_add_co_ci_u32_e32 v128, vcc_lo, 0, v128, vcc_lo
	s_delay_alu instid0(VALU_DEP_2)
	v_lshrrev_b32_e32 v129, v131, v129
; %bb.3819:                             ;   in Loop: Header=BB4_3272 Depth=2
	s_and_not1_saveexec_b32 s7, s7
; %bb.3820:                             ;   in Loop: Header=BB4_3272 Depth=2
	s_delay_alu instid0(VALU_DEP_1)
	v_bfe_u32 v128, v129, 23, 1
; %bb.3821:                             ;   in Loop: Header=BB4_3272 Depth=2
	s_or_b32 exec_lo, exec_lo, s7
	v_lshrrev_b32_e32 v129, 20, v129
	s_delay_alu instid0(VALU_DEP_2) | instskip(SKIP_2) | instid1(VALU_DEP_2)
	v_cmp_gt_i32_e32 vcc_lo, 16, v128
	v_lshrrev_b32_e32 v130, 24, v130
	v_min_i32_e32 v131, 15, v128
	v_dual_cndmask_b32 v129, 7, v129 :: v_dual_and_b32 v130, 0x80, v130
	s_delay_alu instid0(VALU_DEP_1) | instskip(SKIP_1) | instid1(VALU_DEP_2)
	v_or_b32_e32 v128, v128, v129
	v_and_b32_e32 v132, 7, v129
	v_cmp_ne_u32_e32 vcc_lo, 0, v128
	v_lshlrev_b32_e32 v131, 3, v131
	s_delay_alu instid0(VALU_DEP_1) | instskip(NEXT) | instid1(VALU_DEP_1)
	v_or3_b32 v129, v131, v130, v132
	v_cndmask_b32_e32 v128, 0, v129, vcc_lo
.LBB4_3822:                             ;   in Loop: Header=BB4_3272 Depth=2
	s_or_b32 exec_lo, exec_lo, s25
.LBB4_3823:                             ;   in Loop: Header=BB4_3272 Depth=2
	s_delay_alu instid0(SALU_CYCLE_1)
	s_or_b32 exec_lo, exec_lo, s24
	v_lshrrev_b32_e32 v130, 24, v14
	v_lshrrev_b32_e32 v129, 24, v10
	s_and_not1_b32 vcc_lo, exec_lo, s23
	s_cbranch_vccnz .LBB4_3833
; %bb.3824:                             ;   in Loop: Header=BB4_3272 Depth=2
	s_mov_b32 s7, 0
	s_mov_b32 s25, exec_lo
                                        ; implicit-def: $sgpr24
	v_cmpx_lt_i16_e64 0x7f, v130
	s_xor_b32 s25, exec_lo, s25
	s_cbranch_execnz .LBB4_4502
; %bb.3825:                             ;   in Loop: Header=BB4_3272 Depth=2
	s_or_saveexec_b32 s25, s25
	v_mov_b32_e32 v131, s24
	s_xor_b32 exec_lo, exec_lo, s25
	s_cbranch_execnz .LBB4_4505
.LBB4_3826:                             ;   in Loop: Header=BB4_3272 Depth=2
	s_or_b32 exec_lo, exec_lo, s25
	s_and_saveexec_b32 s24, s7
	s_cbranch_execz .LBB4_3828
.LBB4_3827:                             ;   in Loop: Header=BB4_3272 Depth=2
	v_bfe_u32 v131, v14, 24, 3
	v_bfe_u32 v134, v14, 27, 4
	s_delay_alu instid0(VALU_DEP_2) | instskip(NEXT) | instid1(VALU_DEP_2)
	v_clz_i32_u32_e32 v132, v131
	v_cmp_eq_u32_e32 vcc_lo, 0, v134
	s_delay_alu instid0(VALU_DEP_2) | instskip(NEXT) | instid1(VALU_DEP_1)
	v_min_u32_e32 v132, 32, v132
	v_subrev_nc_u32_e32 v133, 28, v132
	v_sub_nc_u32_e32 v132, 29, v132
	s_delay_alu instid0(VALU_DEP_1) | instskip(NEXT) | instid1(VALU_DEP_1)
	v_dual_cndmask_b32 v132, v134, v132 :: v_dual_lshlrev_b32 v133, v133, v130
	v_and_b32_e32 v133, 7, v133
	s_delay_alu instid0(VALU_DEP_2) | instskip(NEXT) | instid1(VALU_DEP_2)
	v_lshl_add_u32 v132, v132, 23, 0x3b800000
	v_cndmask_b32_e32 v131, v131, v133, vcc_lo
	v_and_b32_e32 v133, 0x80000000, v14
	s_delay_alu instid0(VALU_DEP_2) | instskip(NEXT) | instid1(VALU_DEP_1)
	v_lshlrev_b32_e32 v131, 20, v131
	v_or3_b32 v131, v133, v132, v131
.LBB4_3828:                             ;   in Loop: Header=BB4_3272 Depth=2
	s_or_b32 exec_lo, exec_lo, s24
	s_mov_b32 s7, 0
	s_mov_b32 s25, exec_lo
                                        ; implicit-def: $sgpr24
	v_cmpx_lt_i16_e64 0x7f, v129
	s_xor_b32 s25, exec_lo, s25
	s_cbranch_execnz .LBB4_4506
; %bb.3829:                             ;   in Loop: Header=BB4_3272 Depth=2
	s_or_saveexec_b32 s25, s25
	v_mov_b32_e32 v132, s24
	s_xor_b32 exec_lo, exec_lo, s25
	s_cbranch_execnz .LBB4_4509
.LBB4_3830:                             ;   in Loop: Header=BB4_3272 Depth=2
	s_or_b32 exec_lo, exec_lo, s25
	s_and_saveexec_b32 s24, s7
	s_cbranch_execz .LBB4_3832
.LBB4_3831:                             ;   in Loop: Header=BB4_3272 Depth=2
	v_bfe_u32 v132, v10, 24, 3
	v_bfe_u32 v135, v10, 27, 4
	s_delay_alu instid0(VALU_DEP_2) | instskip(NEXT) | instid1(VALU_DEP_2)
	v_clz_i32_u32_e32 v133, v132
	v_cmp_eq_u32_e32 vcc_lo, 0, v135
	s_delay_alu instid0(VALU_DEP_2) | instskip(NEXT) | instid1(VALU_DEP_1)
	v_min_u32_e32 v133, 32, v133
	v_subrev_nc_u32_e32 v134, 28, v133
	v_sub_nc_u32_e32 v133, 29, v133
	s_delay_alu instid0(VALU_DEP_2) | instskip(NEXT) | instid1(VALU_DEP_1)
	v_lshlrev_b32_e32 v134, v134, v129
	v_dual_cndmask_b32 v133, v135, v133 :: v_dual_and_b32 v134, 7, v134
	s_delay_alu instid0(VALU_DEP_1) | instskip(NEXT) | instid1(VALU_DEP_2)
	v_lshl_add_u32 v133, v133, 23, 0x3b800000
	v_cndmask_b32_e32 v132, v132, v134, vcc_lo
	v_and_b32_e32 v134, 0x80000000, v10
	s_delay_alu instid0(VALU_DEP_2) | instskip(NEXT) | instid1(VALU_DEP_1)
	v_lshlrev_b32_e32 v132, 20, v132
	v_or3_b32 v132, v134, v133, v132
.LBB4_3832:                             ;   in Loop: Header=BB4_3272 Depth=2
	s_or_b32 exec_lo, exec_lo, s24
	s_delay_alu instid0(VALU_DEP_1) | instskip(SKIP_1) | instid1(VALU_DEP_1)
	v_dual_max_f32 v132, v132, v132 :: v_dual_max_f32 v131, v131, v131
	s_mov_b32 s7, 0
	v_max_f32_e32 v131, v131, v132
	s_branch .LBB4_3834
.LBB4_3833:                             ;   in Loop: Header=BB4_3272 Depth=2
	s_mov_b32 s7, -1
                                        ; implicit-def: $vgpr131
.LBB4_3834:                             ;   in Loop: Header=BB4_3272 Depth=2
	s_delay_alu instid0(SALU_CYCLE_1)
	s_and_b32 vcc_lo, exec_lo, s7
	s_cbranch_vccz .LBB4_3844
; %bb.3835:                             ;   in Loop: Header=BB4_3272 Depth=2
	s_mov_b32 s7, 0
	s_mov_b32 s25, exec_lo
                                        ; implicit-def: $sgpr24
	v_cmpx_lt_i16_e64 0x7f, v130
	s_xor_b32 s25, exec_lo, s25
	s_cbranch_execnz .LBB4_4510
; %bb.3836:                             ;   in Loop: Header=BB4_3272 Depth=2
	s_or_saveexec_b32 s25, s25
	v_mov_b32_e32 v131, s24
	s_xor_b32 exec_lo, exec_lo, s25
	s_cbranch_execnz .LBB4_4513
.LBB4_3837:                             ;   in Loop: Header=BB4_3272 Depth=2
	s_or_b32 exec_lo, exec_lo, s25
	s_and_saveexec_b32 s24, s7
	s_cbranch_execz .LBB4_3839
.LBB4_3838:                             ;   in Loop: Header=BB4_3272 Depth=2
	v_bfe_u32 v131, v14, 24, 3
	s_delay_alu instid0(VALU_DEP_1) | instskip(NEXT) | instid1(VALU_DEP_1)
	v_clz_i32_u32_e32 v132, v131
	v_min_u32_e32 v132, 32, v132
	s_delay_alu instid0(VALU_DEP_1) | instskip(SKIP_1) | instid1(VALU_DEP_2)
	v_subrev_nc_u32_e32 v133, 28, v132
	v_sub_nc_u32_e32 v132, 29, v132
	v_lshlrev_b32_e32 v130, v133, v130
	v_bfe_u32 v133, v14, 27, 4
	v_and_b32_e32 v14, 0x80000000, v14
	s_delay_alu instid0(VALU_DEP_3) | instskip(NEXT) | instid1(VALU_DEP_3)
	v_and_b32_e32 v130, 7, v130
	v_cmp_eq_u32_e32 vcc_lo, 0, v133
	v_cndmask_b32_e32 v132, v133, v132, vcc_lo
	s_delay_alu instid0(VALU_DEP_3) | instskip(NEXT) | instid1(VALU_DEP_2)
	v_cndmask_b32_e32 v130, v131, v130, vcc_lo
	v_lshl_add_u32 v131, v132, 23, 0x3b800000
	s_delay_alu instid0(VALU_DEP_2) | instskip(NEXT) | instid1(VALU_DEP_1)
	v_lshlrev_b32_e32 v130, 20, v130
	v_or3_b32 v131, v14, v131, v130
.LBB4_3839:                             ;   in Loop: Header=BB4_3272 Depth=2
	s_or_b32 exec_lo, exec_lo, s24
	s_mov_b32 s7, 0
	s_mov_b32 s25, exec_lo
                                        ; implicit-def: $sgpr24
	v_cmpx_lt_i16_e64 0x7f, v129
	s_xor_b32 s25, exec_lo, s25
	s_cbranch_execnz .LBB4_4514
; %bb.3840:                             ;   in Loop: Header=BB4_3272 Depth=2
	s_or_saveexec_b32 s25, s25
	v_mov_b32_e32 v14, s24
	s_xor_b32 exec_lo, exec_lo, s25
	s_cbranch_execnz .LBB4_4517
.LBB4_3841:                             ;   in Loop: Header=BB4_3272 Depth=2
	s_or_b32 exec_lo, exec_lo, s25
	s_and_saveexec_b32 s24, s7
	s_cbranch_execz .LBB4_3843
.LBB4_3842:                             ;   in Loop: Header=BB4_3272 Depth=2
	v_bfe_u32 v14, v10, 24, 3
	s_delay_alu instid0(VALU_DEP_1) | instskip(NEXT) | instid1(VALU_DEP_1)
	v_clz_i32_u32_e32 v130, v14
	v_min_u32_e32 v130, 32, v130
	s_delay_alu instid0(VALU_DEP_1) | instskip(SKIP_1) | instid1(VALU_DEP_2)
	v_subrev_nc_u32_e32 v132, 28, v130
	v_sub_nc_u32_e32 v130, 29, v130
	v_lshlrev_b32_e32 v129, v132, v129
	v_bfe_u32 v132, v10, 27, 4
	v_and_b32_e32 v10, 0x80000000, v10
	s_delay_alu instid0(VALU_DEP_2) | instskip(NEXT) | instid1(VALU_DEP_4)
	v_cmp_eq_u32_e32 vcc_lo, 0, v132
	v_dual_cndmask_b32 v130, v132, v130 :: v_dual_and_b32 v129, 7, v129
	s_delay_alu instid0(VALU_DEP_1) | instskip(NEXT) | instid1(VALU_DEP_2)
	v_cndmask_b32_e32 v14, v14, v129, vcc_lo
	v_lshl_add_u32 v129, v130, 23, 0x3b800000
	s_delay_alu instid0(VALU_DEP_2) | instskip(NEXT) | instid1(VALU_DEP_1)
	v_lshlrev_b32_e32 v14, 20, v14
	v_or3_b32 v14, v10, v129, v14
.LBB4_3843:                             ;   in Loop: Header=BB4_3272 Depth=2
	s_or_b32 exec_lo, exec_lo, s24
	s_delay_alu instid0(VALU_DEP_1) | instskip(SKIP_1) | instid1(VALU_DEP_1)
	v_max_f32_e32 v10, v14, v14
	v_max_f32_e32 v14, v131, v131
	v_min_f32_e32 v131, v14, v10
.LBB4_3844:                             ;   in Loop: Header=BB4_3272 Depth=2
	s_delay_alu instid0(VALU_DEP_1) | instskip(NEXT) | instid1(VALU_DEP_1)
	v_and_b32_e32 v10, 0x7f800000, v131
	v_cmp_ne_u32_e32 vcc_lo, 0x7f800000, v10
	v_mov_b32_e32 v10, 0x80
	s_and_saveexec_b32 s24, vcc_lo
	s_cbranch_execz .LBB4_3852
; %bb.3845:                             ;   in Loop: Header=BB4_3272 Depth=2
	v_mov_b32_e32 v10, 0
	s_mov_b32 s25, exec_lo
	v_cmpx_ne_u32_e32 0, v131
	s_cbranch_execz .LBB4_3851
; %bb.3846:                             ;   in Loop: Header=BB4_3272 Depth=2
	v_bfe_u32 v10, v131, 23, 8
	s_delay_alu instid0(VALU_DEP_1) | instskip(SKIP_1) | instid1(VALU_DEP_2)
	v_sub_nc_u32_e32 v129, 0x78, v10
	v_cmp_gt_u32_e32 vcc_lo, 0x79, v10
	v_dual_cndmask_b32 v129, 0, v129 :: v_dual_and_b32 v14, 0x7fffff, v131
	s_delay_alu instid0(VALU_DEP_1) | instskip(SKIP_2) | instid1(VALU_DEP_4)
	v_or_b32_e32 v130, 0x800000, v14
	v_cmp_eq_u32_e32 vcc_lo, 0, v10
	v_add_nc_u32_e32 v10, 0xffffff89, v10
	v_cndmask_b32_e64 v129, v129, 0x77, vcc_lo
	s_delay_alu instid0(VALU_DEP_4) | instskip(NEXT) | instid1(VALU_DEP_3)
	v_cndmask_b32_e32 v14, v130, v14, vcc_lo
	v_cndmask_b32_e64 v10, v10, 0xffffff8a, vcc_lo
	s_delay_alu instid0(VALU_DEP_3) | instskip(NEXT) | instid1(VALU_DEP_3)
	v_lshl_add_u32 v130, 0x100000, v129, -1
	v_lshrrev_b32_e32 v132, v129, v14
	v_lshlrev_b32_e64 v134, v129, 0x80000
	s_delay_alu instid0(VALU_DEP_4) | instskip(NEXT) | instid1(VALU_DEP_4)
	v_add_nc_u32_e32 v129, v129, v10
	v_and_b32_e32 v14, v130, v14
	s_delay_alu instid0(VALU_DEP_4) | instskip(NEXT) | instid1(VALU_DEP_2)
	v_bfe_u32 v133, v132, 20, 1
	v_cmp_eq_u32_e64 s7, v14, v134
	s_delay_alu instid0(VALU_DEP_2) | instskip(NEXT) | instid1(VALU_DEP_1)
	v_add_nc_u32_e32 v130, -1, v133
	v_cndmask_b32_e64 v14, 0, v130, s7
	v_lshrrev_b32_e32 v130, 23, v132
	s_mov_b32 s7, exec_lo
	s_delay_alu instid0(VALU_DEP_2) | instskip(NEXT) | instid1(VALU_DEP_2)
	v_add_nc_u32_e32 v14, v14, v132
	v_xor_b32_e32 v130, 1, v130
	s_delay_alu instid0(VALU_DEP_2) | instskip(NEXT) | instid1(VALU_DEP_1)
	v_and_b32_e32 v10, 0xfffff, v14
	v_add_nc_u32_e32 v14, v10, v132
                                        ; implicit-def: $vgpr10
	s_delay_alu instid0(VALU_DEP_3)
	v_cmpx_ne_u32_e64 v129, v130
	s_xor_b32 s7, exec_lo, s7
; %bb.3847:                             ;   in Loop: Header=BB4_3272 Depth=2
	s_delay_alu instid0(VALU_DEP_2) | instskip(SKIP_2) | instid1(VALU_DEP_2)
	v_cmp_lt_u32_e32 vcc_lo, 0xffffff, v14
	v_sub_nc_u32_e32 v10, v129, v130
	v_cndmask_b32_e64 v129, 0, 1, vcc_lo
	v_add_co_ci_u32_e32 v10, vcc_lo, 0, v10, vcc_lo
	s_delay_alu instid0(VALU_DEP_2)
	v_lshrrev_b32_e32 v14, v129, v14
; %bb.3848:                             ;   in Loop: Header=BB4_3272 Depth=2
	s_and_not1_saveexec_b32 s7, s7
; %bb.3849:                             ;   in Loop: Header=BB4_3272 Depth=2
	s_delay_alu instid0(VALU_DEP_1)
	v_bfe_u32 v10, v14, 23, 1
; %bb.3850:                             ;   in Loop: Header=BB4_3272 Depth=2
	s_or_b32 exec_lo, exec_lo, s7
	v_lshrrev_b32_e32 v14, 20, v14
	s_delay_alu instid0(VALU_DEP_2) | instskip(SKIP_2) | instid1(VALU_DEP_2)
	v_cmp_gt_i32_e32 vcc_lo, 16, v10
	v_lshrrev_b32_e32 v129, 24, v131
	v_min_i32_e32 v130, 15, v10
	v_dual_cndmask_b32 v14, 7, v14 :: v_dual_and_b32 v129, 0x80, v129
	s_delay_alu instid0(VALU_DEP_2) | instskip(NEXT) | instid1(VALU_DEP_2)
	v_lshlrev_b32_e32 v130, 3, v130
	v_and_b32_e32 v131, 7, v14
	v_or_b32_e32 v10, v10, v14
	s_delay_alu instid0(VALU_DEP_2) | instskip(NEXT) | instid1(VALU_DEP_2)
	v_or3_b32 v14, v130, v129, v131
	v_cmp_ne_u32_e32 vcc_lo, 0, v10
	s_delay_alu instid0(VALU_DEP_2)
	v_cndmask_b32_e32 v10, 0, v14, vcc_lo
.LBB4_3851:                             ;   in Loop: Header=BB4_3272 Depth=2
	s_or_b32 exec_lo, exec_lo, s25
.LBB4_3852:                             ;   in Loop: Header=BB4_3272 Depth=2
	s_delay_alu instid0(SALU_CYCLE_1) | instskip(NEXT) | instid1(SALU_CYCLE_1)
	s_or_b32 exec_lo, exec_lo, s24
	s_and_not1_b32 vcc_lo, exec_lo, s23
	s_cbranch_vccnz .LBB4_3862
; %bb.3853:                             ;   in Loop: Header=BB4_3272 Depth=2
	v_and_b32_e32 v129, 0xff, v15
	s_mov_b32 s7, 0
	s_mov_b32 s25, exec_lo
                                        ; implicit-def: $sgpr24
	s_delay_alu instid0(VALU_DEP_1)
	v_cmpx_lt_i16_e64 0x7f, v129
	s_xor_b32 s25, exec_lo, s25
	s_cbranch_execnz .LBB4_4518
; %bb.3854:                             ;   in Loop: Header=BB4_3272 Depth=2
	s_or_saveexec_b32 s25, s25
	v_mov_b32_e32 v14, s24
	s_xor_b32 exec_lo, exec_lo, s25
	s_cbranch_execnz .LBB4_4521
.LBB4_3855:                             ;   in Loop: Header=BB4_3272 Depth=2
	s_or_b32 exec_lo, exec_lo, s25
	s_and_saveexec_b32 s24, s7
	s_cbranch_execz .LBB4_3857
.LBB4_3856:                             ;   in Loop: Header=BB4_3272 Depth=2
	v_bfe_u32 v131, v15, 3, 4
	v_lshlrev_b32_e32 v132, 24, v15
	s_delay_alu instid0(VALU_DEP_2) | instskip(SKIP_1) | instid1(VALU_DEP_1)
	v_cmp_eq_u32_e32 vcc_lo, 0, v131
	v_and_b32_e32 v14, 7, v15
	v_clz_i32_u32_e32 v129, v14
	s_delay_alu instid0(VALU_DEP_1) | instskip(NEXT) | instid1(VALU_DEP_1)
	v_min_u32_e32 v129, 32, v129
	v_subrev_nc_u32_e32 v130, 28, v129
	v_sub_nc_u32_e32 v129, 29, v129
	s_delay_alu instid0(VALU_DEP_1) | instskip(NEXT) | instid1(VALU_DEP_1)
	v_dual_cndmask_b32 v129, v131, v129 :: v_dual_lshlrev_b32 v130, v130, v15
	v_and_b32_e32 v130, 7, v130
	s_delay_alu instid0(VALU_DEP_2) | instskip(NEXT) | instid1(VALU_DEP_2)
	v_lshl_add_u32 v129, v129, 23, 0x3b800000
	v_cndmask_b32_e32 v14, v14, v130, vcc_lo
	v_and_b32_e32 v130, 0x80000000, v132
	s_delay_alu instid0(VALU_DEP_2) | instskip(NEXT) | instid1(VALU_DEP_1)
	v_lshlrev_b32_e32 v14, 20, v14
	v_or3_b32 v14, v130, v129, v14
.LBB4_3857:                             ;   in Loop: Header=BB4_3272 Depth=2
	s_or_b32 exec_lo, exec_lo, s24
	v_and_b32_e32 v130, 0xff, v11
	s_mov_b32 s7, 0
	s_mov_b32 s25, exec_lo
                                        ; implicit-def: $sgpr24
	s_delay_alu instid0(VALU_DEP_1)
	v_cmpx_lt_i16_e64 0x7f, v130
	s_xor_b32 s25, exec_lo, s25
	s_cbranch_execnz .LBB4_4522
; %bb.3858:                             ;   in Loop: Header=BB4_3272 Depth=2
	s_or_saveexec_b32 s25, s25
	v_mov_b32_e32 v129, s24
	s_xor_b32 exec_lo, exec_lo, s25
	s_cbranch_execnz .LBB4_4525
.LBB4_3859:                             ;   in Loop: Header=BB4_3272 Depth=2
	s_or_b32 exec_lo, exec_lo, s25
	s_and_saveexec_b32 s24, s7
	s_cbranch_execz .LBB4_3861
.LBB4_3860:                             ;   in Loop: Header=BB4_3272 Depth=2
	v_bfe_u32 v132, v11, 3, 4
	v_lshlrev_b32_e32 v133, 24, v11
	s_delay_alu instid0(VALU_DEP_2) | instskip(SKIP_1) | instid1(VALU_DEP_1)
	v_cmp_eq_u32_e32 vcc_lo, 0, v132
	v_and_b32_e32 v129, 7, v11
	v_clz_i32_u32_e32 v130, v129
	s_delay_alu instid0(VALU_DEP_1) | instskip(NEXT) | instid1(VALU_DEP_1)
	v_min_u32_e32 v130, 32, v130
	v_subrev_nc_u32_e32 v131, 28, v130
	v_sub_nc_u32_e32 v130, 29, v130
	s_delay_alu instid0(VALU_DEP_1) | instskip(NEXT) | instid1(VALU_DEP_1)
	v_dual_cndmask_b32 v130, v132, v130 :: v_dual_lshlrev_b32 v131, v131, v11
	v_and_b32_e32 v131, 7, v131
	s_delay_alu instid0(VALU_DEP_2) | instskip(NEXT) | instid1(VALU_DEP_2)
	v_lshl_add_u32 v130, v130, 23, 0x3b800000
	v_cndmask_b32_e32 v129, v129, v131, vcc_lo
	v_and_b32_e32 v131, 0x80000000, v133
	s_delay_alu instid0(VALU_DEP_2) | instskip(NEXT) | instid1(VALU_DEP_1)
	v_lshlrev_b32_e32 v129, 20, v129
	v_or3_b32 v129, v131, v130, v129
.LBB4_3861:                             ;   in Loop: Header=BB4_3272 Depth=2
	s_or_b32 exec_lo, exec_lo, s24
	s_delay_alu instid0(VALU_DEP_1) | instskip(SKIP_1) | instid1(VALU_DEP_1)
	v_dual_max_f32 v129, v129, v129 :: v_dual_max_f32 v14, v14, v14
	s_mov_b32 s7, 0
	v_max_f32_e32 v129, v14, v129
	s_branch .LBB4_3863
.LBB4_3862:                             ;   in Loop: Header=BB4_3272 Depth=2
	s_mov_b32 s7, -1
                                        ; implicit-def: $vgpr129
.LBB4_3863:                             ;   in Loop: Header=BB4_3272 Depth=2
	s_delay_alu instid0(SALU_CYCLE_1)
	s_and_b32 vcc_lo, exec_lo, s7
	s_cbranch_vccz .LBB4_3873
; %bb.3864:                             ;   in Loop: Header=BB4_3272 Depth=2
	v_and_b32_e32 v129, 0xff, v15
	s_mov_b32 s7, 0
	s_mov_b32 s25, exec_lo
                                        ; implicit-def: $sgpr24
	s_delay_alu instid0(VALU_DEP_1)
	v_cmpx_lt_i16_e64 0x7f, v129
	s_xor_b32 s25, exec_lo, s25
	s_cbranch_execnz .LBB4_4526
; %bb.3865:                             ;   in Loop: Header=BB4_3272 Depth=2
	s_or_saveexec_b32 s25, s25
	v_mov_b32_e32 v14, s24
	s_xor_b32 exec_lo, exec_lo, s25
	s_cbranch_execnz .LBB4_4529
.LBB4_3866:                             ;   in Loop: Header=BB4_3272 Depth=2
	s_or_b32 exec_lo, exec_lo, s25
	s_and_saveexec_b32 s24, s7
	s_cbranch_execz .LBB4_3868
.LBB4_3867:                             ;   in Loop: Header=BB4_3272 Depth=2
	v_bfe_u32 v131, v15, 3, 4
	v_lshlrev_b32_e32 v132, 24, v15
	s_delay_alu instid0(VALU_DEP_2) | instskip(SKIP_1) | instid1(VALU_DEP_1)
	v_cmp_eq_u32_e32 vcc_lo, 0, v131
	v_and_b32_e32 v14, 7, v15
	v_clz_i32_u32_e32 v129, v14
	s_delay_alu instid0(VALU_DEP_1) | instskip(NEXT) | instid1(VALU_DEP_1)
	v_min_u32_e32 v129, 32, v129
	v_subrev_nc_u32_e32 v130, 28, v129
	v_sub_nc_u32_e32 v129, 29, v129
	s_delay_alu instid0(VALU_DEP_1) | instskip(NEXT) | instid1(VALU_DEP_1)
	v_dual_cndmask_b32 v129, v131, v129 :: v_dual_lshlrev_b32 v130, v130, v15
	v_and_b32_e32 v130, 7, v130
	s_delay_alu instid0(VALU_DEP_2) | instskip(NEXT) | instid1(VALU_DEP_2)
	v_lshl_add_u32 v129, v129, 23, 0x3b800000
	v_cndmask_b32_e32 v14, v14, v130, vcc_lo
	v_and_b32_e32 v130, 0x80000000, v132
	s_delay_alu instid0(VALU_DEP_2) | instskip(NEXT) | instid1(VALU_DEP_1)
	v_lshlrev_b32_e32 v14, 20, v14
	v_or3_b32 v14, v130, v129, v14
.LBB4_3868:                             ;   in Loop: Header=BB4_3272 Depth=2
	s_or_b32 exec_lo, exec_lo, s24
	v_and_b32_e32 v130, 0xff, v11
	s_mov_b32 s7, 0
	s_mov_b32 s25, exec_lo
                                        ; implicit-def: $sgpr24
	s_delay_alu instid0(VALU_DEP_1)
	v_cmpx_lt_i16_e64 0x7f, v130
	s_xor_b32 s25, exec_lo, s25
	s_cbranch_execnz .LBB4_4530
; %bb.3869:                             ;   in Loop: Header=BB4_3272 Depth=2
	s_or_saveexec_b32 s25, s25
	v_mov_b32_e32 v129, s24
	s_xor_b32 exec_lo, exec_lo, s25
	s_cbranch_execnz .LBB4_4533
.LBB4_3870:                             ;   in Loop: Header=BB4_3272 Depth=2
	s_or_b32 exec_lo, exec_lo, s25
	s_and_saveexec_b32 s24, s7
	s_cbranch_execz .LBB4_3872
.LBB4_3871:                             ;   in Loop: Header=BB4_3272 Depth=2
	v_bfe_u32 v132, v11, 3, 4
	v_lshlrev_b32_e32 v133, 24, v11
	s_delay_alu instid0(VALU_DEP_2) | instskip(SKIP_1) | instid1(VALU_DEP_1)
	v_cmp_eq_u32_e32 vcc_lo, 0, v132
	v_and_b32_e32 v129, 7, v11
	v_clz_i32_u32_e32 v130, v129
	s_delay_alu instid0(VALU_DEP_1) | instskip(NEXT) | instid1(VALU_DEP_1)
	v_min_u32_e32 v130, 32, v130
	v_subrev_nc_u32_e32 v131, 28, v130
	v_sub_nc_u32_e32 v130, 29, v130
	s_delay_alu instid0(VALU_DEP_1) | instskip(NEXT) | instid1(VALU_DEP_1)
	v_dual_cndmask_b32 v130, v132, v130 :: v_dual_lshlrev_b32 v131, v131, v11
	v_and_b32_e32 v131, 7, v131
	s_delay_alu instid0(VALU_DEP_2) | instskip(NEXT) | instid1(VALU_DEP_2)
	v_lshl_add_u32 v130, v130, 23, 0x3b800000
	v_cndmask_b32_e32 v129, v129, v131, vcc_lo
	v_and_b32_e32 v131, 0x80000000, v133
	s_delay_alu instid0(VALU_DEP_2) | instskip(NEXT) | instid1(VALU_DEP_1)
	v_lshlrev_b32_e32 v129, 20, v129
	v_or3_b32 v129, v131, v130, v129
.LBB4_3872:                             ;   in Loop: Header=BB4_3272 Depth=2
	s_or_b32 exec_lo, exec_lo, s24
	s_delay_alu instid0(VALU_DEP_1) | instskip(NEXT) | instid1(VALU_DEP_1)
	v_dual_max_f32 v129, v129, v129 :: v_dual_max_f32 v14, v14, v14
	v_min_f32_e32 v129, v14, v129
.LBB4_3873:                             ;   in Loop: Header=BB4_3272 Depth=2
	s_delay_alu instid0(VALU_DEP_1) | instskip(NEXT) | instid1(VALU_DEP_1)
	v_and_b32_e32 v14, 0x7f800000, v129
	v_cmp_ne_u32_e32 vcc_lo, 0x7f800000, v14
	v_mov_b32_e32 v14, 0x80
	s_and_saveexec_b32 s24, vcc_lo
	s_cbranch_execz .LBB4_3881
; %bb.3874:                             ;   in Loop: Header=BB4_3272 Depth=2
	v_mov_b32_e32 v14, 0
	s_mov_b32 s25, exec_lo
	v_cmpx_ne_u32_e32 0, v129
	s_cbranch_execz .LBB4_3880
; %bb.3875:                             ;   in Loop: Header=BB4_3272 Depth=2
	v_bfe_u32 v14, v129, 23, 8
	s_delay_alu instid0(VALU_DEP_1) | instskip(SKIP_1) | instid1(VALU_DEP_2)
	v_sub_nc_u32_e32 v131, 0x78, v14
	v_cmp_gt_u32_e32 vcc_lo, 0x79, v14
	v_dual_cndmask_b32 v131, 0, v131 :: v_dual_and_b32 v130, 0x7fffff, v129
	s_delay_alu instid0(VALU_DEP_1) | instskip(SKIP_2) | instid1(VALU_DEP_4)
	v_or_b32_e32 v132, 0x800000, v130
	v_cmp_eq_u32_e32 vcc_lo, 0, v14
	v_add_nc_u32_e32 v14, 0xffffff89, v14
	v_cndmask_b32_e64 v131, v131, 0x77, vcc_lo
	s_delay_alu instid0(VALU_DEP_4) | instskip(NEXT) | instid1(VALU_DEP_3)
	v_cndmask_b32_e32 v130, v132, v130, vcc_lo
	v_cndmask_b32_e64 v14, v14, 0xffffff8a, vcc_lo
	s_delay_alu instid0(VALU_DEP_3) | instskip(NEXT) | instid1(VALU_DEP_3)
	v_lshl_add_u32 v132, 0x100000, v131, -1
	v_lshrrev_b32_e32 v133, v131, v130
	v_lshlrev_b32_e64 v135, v131, 0x80000
	s_delay_alu instid0(VALU_DEP_4) | instskip(NEXT) | instid1(VALU_DEP_4)
	v_add_nc_u32_e32 v131, v131, v14
	v_and_b32_e32 v130, v132, v130
	s_delay_alu instid0(VALU_DEP_4) | instskip(NEXT) | instid1(VALU_DEP_2)
	v_bfe_u32 v134, v133, 20, 1
	v_cmp_eq_u32_e64 s7, v130, v135
	s_delay_alu instid0(VALU_DEP_2) | instskip(NEXT) | instid1(VALU_DEP_1)
	v_add_nc_u32_e32 v132, -1, v134
	v_cndmask_b32_e64 v130, 0, v132, s7
	v_lshrrev_b32_e32 v132, 23, v133
	s_mov_b32 s7, exec_lo
	s_delay_alu instid0(VALU_DEP_2) | instskip(NEXT) | instid1(VALU_DEP_2)
	v_add_nc_u32_e32 v130, v130, v133
	v_xor_b32_e32 v132, 1, v132
	s_delay_alu instid0(VALU_DEP_2) | instskip(NEXT) | instid1(VALU_DEP_1)
	v_and_b32_e32 v14, 0xfffff, v130
	v_add_nc_u32_e32 v130, v14, v133
                                        ; implicit-def: $vgpr14
	s_delay_alu instid0(VALU_DEP_3)
	v_cmpx_ne_u32_e64 v131, v132
	s_xor_b32 s7, exec_lo, s7
; %bb.3876:                             ;   in Loop: Header=BB4_3272 Depth=2
	s_delay_alu instid0(VALU_DEP_2) | instskip(SKIP_2) | instid1(VALU_DEP_2)
	v_cmp_lt_u32_e32 vcc_lo, 0xffffff, v130
	v_sub_nc_u32_e32 v14, v131, v132
	v_cndmask_b32_e64 v131, 0, 1, vcc_lo
	v_add_co_ci_u32_e32 v14, vcc_lo, 0, v14, vcc_lo
	s_delay_alu instid0(VALU_DEP_2)
	v_lshrrev_b32_e32 v130, v131, v130
; %bb.3877:                             ;   in Loop: Header=BB4_3272 Depth=2
	s_and_not1_saveexec_b32 s7, s7
; %bb.3878:                             ;   in Loop: Header=BB4_3272 Depth=2
	s_delay_alu instid0(VALU_DEP_1)
	v_bfe_u32 v14, v130, 23, 1
; %bb.3879:                             ;   in Loop: Header=BB4_3272 Depth=2
	s_or_b32 exec_lo, exec_lo, s7
	v_lshrrev_b32_e32 v130, 20, v130
	s_delay_alu instid0(VALU_DEP_2) | instskip(SKIP_2) | instid1(VALU_DEP_2)
	v_cmp_gt_i32_e32 vcc_lo, 16, v14
	v_lshrrev_b32_e32 v129, 24, v129
	v_min_i32_e32 v131, 15, v14
	v_dual_cndmask_b32 v130, 7, v130 :: v_dual_and_b32 v129, 0x80, v129
	s_delay_alu instid0(VALU_DEP_1) | instskip(SKIP_1) | instid1(VALU_DEP_2)
	v_or_b32_e32 v14, v14, v130
	v_and_b32_e32 v132, 7, v130
	v_cmp_ne_u32_e32 vcc_lo, 0, v14
	v_lshlrev_b32_e32 v131, 3, v131
	s_delay_alu instid0(VALU_DEP_1) | instskip(NEXT) | instid1(VALU_DEP_1)
	v_or3_b32 v129, v131, v129, v132
	v_cndmask_b32_e32 v14, 0, v129, vcc_lo
.LBB4_3880:                             ;   in Loop: Header=BB4_3272 Depth=2
	s_or_b32 exec_lo, exec_lo, s25
.LBB4_3881:                             ;   in Loop: Header=BB4_3272 Depth=2
	s_delay_alu instid0(SALU_CYCLE_1)
	s_or_b32 exec_lo, exec_lo, s24
	v_lshrrev_b16 v130, 8, v15
	v_lshrrev_b16 v129, 8, v11
	s_and_not1_b32 vcc_lo, exec_lo, s23
	s_cbranch_vccnz .LBB4_3891
; %bb.3882:                             ;   in Loop: Header=BB4_3272 Depth=2
	s_mov_b32 s7, 0
	s_mov_b32 s25, exec_lo
                                        ; implicit-def: $sgpr24
	v_cmpx_lt_i16_e64 0x7f, v130
	s_xor_b32 s25, exec_lo, s25
	s_cbranch_execnz .LBB4_4534
; %bb.3883:                             ;   in Loop: Header=BB4_3272 Depth=2
	s_or_saveexec_b32 s25, s25
	v_mov_b32_e32 v131, s24
	s_xor_b32 exec_lo, exec_lo, s25
	s_cbranch_execnz .LBB4_4537
.LBB4_3884:                             ;   in Loop: Header=BB4_3272 Depth=2
	s_or_b32 exec_lo, exec_lo, s25
	s_and_saveexec_b32 s24, s7
	s_cbranch_execz .LBB4_3886
.LBB4_3885:                             ;   in Loop: Header=BB4_3272 Depth=2
	v_and_b32_e32 v131, 0xffff, v130
	s_delay_alu instid0(VALU_DEP_1) | instskip(NEXT) | instid1(VALU_DEP_1)
	v_and_b32_e32 v132, 7, v131
	v_clz_i32_u32_e32 v133, v132
	s_delay_alu instid0(VALU_DEP_1) | instskip(NEXT) | instid1(VALU_DEP_1)
	v_min_u32_e32 v133, 32, v133
	v_subrev_nc_u32_e32 v134, 28, v133
	v_sub_nc_u32_e32 v133, 29, v133
	s_delay_alu instid0(VALU_DEP_2) | instskip(SKIP_1) | instid1(VALU_DEP_2)
	v_lshlrev_b32_e32 v134, v134, v131
	v_bfe_u32 v131, v131, 3, 4
	v_and_b32_e32 v134, 7, v134
	s_delay_alu instid0(VALU_DEP_2) | instskip(SKIP_1) | instid1(VALU_DEP_3)
	v_cmp_eq_u32_e32 vcc_lo, 0, v131
	v_cndmask_b32_e32 v131, v131, v133, vcc_lo
	v_dual_cndmask_b32 v132, v132, v134 :: v_dual_lshlrev_b32 v135, 16, v15
	s_delay_alu instid0(VALU_DEP_2) | instskip(NEXT) | instid1(VALU_DEP_2)
	v_lshl_add_u32 v131, v131, 23, 0x3b800000
	v_and_b32_e32 v133, 0x80000000, v135
	s_delay_alu instid0(VALU_DEP_3) | instskip(NEXT) | instid1(VALU_DEP_1)
	v_lshlrev_b32_e32 v132, 20, v132
	v_or3_b32 v131, v133, v131, v132
.LBB4_3886:                             ;   in Loop: Header=BB4_3272 Depth=2
	s_or_b32 exec_lo, exec_lo, s24
	s_mov_b32 s7, 0
	s_mov_b32 s25, exec_lo
                                        ; implicit-def: $sgpr24
	v_cmpx_lt_i16_e64 0x7f, v129
	s_xor_b32 s25, exec_lo, s25
	s_cbranch_execnz .LBB4_4538
; %bb.3887:                             ;   in Loop: Header=BB4_3272 Depth=2
	s_or_saveexec_b32 s25, s25
	v_mov_b32_e32 v132, s24
	s_xor_b32 exec_lo, exec_lo, s25
	s_cbranch_execnz .LBB4_4541
.LBB4_3888:                             ;   in Loop: Header=BB4_3272 Depth=2
	s_or_b32 exec_lo, exec_lo, s25
	s_and_saveexec_b32 s24, s7
	s_cbranch_execz .LBB4_3890
.LBB4_3889:                             ;   in Loop: Header=BB4_3272 Depth=2
	v_and_b32_e32 v132, 0xffff, v129
	v_lshlrev_b32_e32 v144, 16, v11
	s_delay_alu instid0(VALU_DEP_2) | instskip(NEXT) | instid1(VALU_DEP_1)
	v_and_b32_e32 v133, 7, v132
	v_clz_i32_u32_e32 v134, v133
	s_delay_alu instid0(VALU_DEP_1) | instskip(NEXT) | instid1(VALU_DEP_1)
	v_min_u32_e32 v134, 32, v134
	v_subrev_nc_u32_e32 v135, 28, v134
	v_sub_nc_u32_e32 v134, 29, v134
	s_delay_alu instid0(VALU_DEP_2) | instskip(SKIP_1) | instid1(VALU_DEP_2)
	v_lshlrev_b32_e32 v135, v135, v132
	v_bfe_u32 v132, v132, 3, 4
	v_and_b32_e32 v135, 7, v135
	s_delay_alu instid0(VALU_DEP_2) | instskip(NEXT) | instid1(VALU_DEP_2)
	v_cmp_eq_u32_e32 vcc_lo, 0, v132
	v_dual_cndmask_b32 v132, v132, v134 :: v_dual_cndmask_b32 v133, v133, v135
	v_and_b32_e32 v134, 0x80000000, v144
	s_delay_alu instid0(VALU_DEP_2) | instskip(NEXT) | instid1(VALU_DEP_3)
	v_lshl_add_u32 v132, v132, 23, 0x3b800000
	v_lshlrev_b32_e32 v133, 20, v133
	s_delay_alu instid0(VALU_DEP_1)
	v_or3_b32 v132, v134, v132, v133
.LBB4_3890:                             ;   in Loop: Header=BB4_3272 Depth=2
	s_or_b32 exec_lo, exec_lo, s24
	s_delay_alu instid0(VALU_DEP_1) | instskip(SKIP_1) | instid1(VALU_DEP_1)
	v_dual_max_f32 v132, v132, v132 :: v_dual_max_f32 v131, v131, v131
	s_mov_b32 s7, 0
	v_max_f32_e32 v131, v131, v132
	s_branch .LBB4_3892
.LBB4_3891:                             ;   in Loop: Header=BB4_3272 Depth=2
	s_mov_b32 s7, -1
                                        ; implicit-def: $vgpr131
.LBB4_3892:                             ;   in Loop: Header=BB4_3272 Depth=2
	s_delay_alu instid0(SALU_CYCLE_1)
	s_and_b32 vcc_lo, exec_lo, s7
	s_cbranch_vccz .LBB4_3902
; %bb.3893:                             ;   in Loop: Header=BB4_3272 Depth=2
	s_mov_b32 s7, 0
	s_mov_b32 s25, exec_lo
                                        ; implicit-def: $sgpr24
	v_cmpx_lt_i16_e64 0x7f, v130
	s_xor_b32 s25, exec_lo, s25
	s_cbranch_execnz .LBB4_4542
; %bb.3894:                             ;   in Loop: Header=BB4_3272 Depth=2
	s_or_saveexec_b32 s25, s25
	v_mov_b32_e32 v131, s24
	s_xor_b32 exec_lo, exec_lo, s25
	s_cbranch_execnz .LBB4_4545
.LBB4_3895:                             ;   in Loop: Header=BB4_3272 Depth=2
	s_or_b32 exec_lo, exec_lo, s25
	s_and_saveexec_b32 s24, s7
	s_cbranch_execz .LBB4_3897
.LBB4_3896:                             ;   in Loop: Header=BB4_3272 Depth=2
	v_and_b32_e32 v130, 0xffff, v130
	v_lshlrev_b32_e32 v134, 16, v15
	s_delay_alu instid0(VALU_DEP_2) | instskip(NEXT) | instid1(VALU_DEP_1)
	v_and_b32_e32 v131, 7, v130
	v_clz_i32_u32_e32 v132, v131
	s_delay_alu instid0(VALU_DEP_1) | instskip(NEXT) | instid1(VALU_DEP_1)
	v_min_u32_e32 v132, 32, v132
	v_subrev_nc_u32_e32 v133, 28, v132
	v_sub_nc_u32_e32 v132, 29, v132
	s_delay_alu instid0(VALU_DEP_2) | instskip(SKIP_1) | instid1(VALU_DEP_2)
	v_lshlrev_b32_e32 v133, v133, v130
	v_bfe_u32 v130, v130, 3, 4
	v_and_b32_e32 v133, 7, v133
	s_delay_alu instid0(VALU_DEP_2) | instskip(NEXT) | instid1(VALU_DEP_2)
	v_cmp_eq_u32_e32 vcc_lo, 0, v130
	v_dual_cndmask_b32 v130, v130, v132 :: v_dual_cndmask_b32 v131, v131, v133
	v_and_b32_e32 v132, 0x80000000, v134
	s_delay_alu instid0(VALU_DEP_2) | instskip(NEXT) | instid1(VALU_DEP_3)
	v_lshl_add_u32 v130, v130, 23, 0x3b800000
	v_lshlrev_b32_e32 v131, 20, v131
	s_delay_alu instid0(VALU_DEP_1)
	v_or3_b32 v131, v132, v130, v131
.LBB4_3897:                             ;   in Loop: Header=BB4_3272 Depth=2
	s_or_b32 exec_lo, exec_lo, s24
	s_mov_b32 s7, 0
	s_mov_b32 s25, exec_lo
                                        ; implicit-def: $sgpr24
	v_cmpx_lt_i16_e64 0x7f, v129
	s_xor_b32 s25, exec_lo, s25
	s_cbranch_execnz .LBB4_4546
; %bb.3898:                             ;   in Loop: Header=BB4_3272 Depth=2
	s_or_saveexec_b32 s25, s25
	v_mov_b32_e32 v130, s24
	s_xor_b32 exec_lo, exec_lo, s25
	s_cbranch_execnz .LBB4_4549
.LBB4_3899:                             ;   in Loop: Header=BB4_3272 Depth=2
	s_or_b32 exec_lo, exec_lo, s25
	s_and_saveexec_b32 s24, s7
	s_cbranch_execz .LBB4_3901
.LBB4_3900:                             ;   in Loop: Header=BB4_3272 Depth=2
	v_and_b32_e32 v129, 0xffff, v129
	v_lshlrev_b32_e32 v134, 16, v11
	s_delay_alu instid0(VALU_DEP_2) | instskip(NEXT) | instid1(VALU_DEP_1)
	v_and_b32_e32 v130, 7, v129
	v_clz_i32_u32_e32 v132, v130
	s_delay_alu instid0(VALU_DEP_1) | instskip(NEXT) | instid1(VALU_DEP_1)
	v_min_u32_e32 v132, 32, v132
	v_subrev_nc_u32_e32 v133, 28, v132
	v_sub_nc_u32_e32 v132, 29, v132
	s_delay_alu instid0(VALU_DEP_2) | instskip(SKIP_1) | instid1(VALU_DEP_2)
	v_lshlrev_b32_e32 v133, v133, v129
	v_bfe_u32 v129, v129, 3, 4
	v_and_b32_e32 v133, 7, v133
	s_delay_alu instid0(VALU_DEP_2) | instskip(NEXT) | instid1(VALU_DEP_2)
	v_cmp_eq_u32_e32 vcc_lo, 0, v129
	v_dual_cndmask_b32 v129, v129, v132 :: v_dual_cndmask_b32 v130, v130, v133
	v_and_b32_e32 v132, 0x80000000, v134
	s_delay_alu instid0(VALU_DEP_2) | instskip(NEXT) | instid1(VALU_DEP_3)
	v_lshl_add_u32 v129, v129, 23, 0x3b800000
	v_lshlrev_b32_e32 v130, 20, v130
	s_delay_alu instid0(VALU_DEP_1)
	v_or3_b32 v130, v132, v129, v130
.LBB4_3901:                             ;   in Loop: Header=BB4_3272 Depth=2
	s_or_b32 exec_lo, exec_lo, s24
	s_delay_alu instid0(VALU_DEP_1) | instskip(NEXT) | instid1(VALU_DEP_1)
	v_dual_max_f32 v129, v130, v130 :: v_dual_max_f32 v130, v131, v131
	v_min_f32_e32 v131, v130, v129
.LBB4_3902:                             ;   in Loop: Header=BB4_3272 Depth=2
	s_delay_alu instid0(VALU_DEP_1) | instskip(NEXT) | instid1(VALU_DEP_1)
	v_and_b32_e32 v129, 0x7f800000, v131
	v_cmp_ne_u32_e32 vcc_lo, 0x7f800000, v129
	v_mov_b32_e32 v129, 0x80
	s_and_saveexec_b32 s24, vcc_lo
	s_cbranch_execz .LBB4_3910
; %bb.3903:                             ;   in Loop: Header=BB4_3272 Depth=2
	v_mov_b32_e32 v129, 0
	s_mov_b32 s25, exec_lo
	v_cmpx_ne_u32_e32 0, v131
	s_cbranch_execz .LBB4_3909
; %bb.3904:                             ;   in Loop: Header=BB4_3272 Depth=2
	v_bfe_u32 v129, v131, 23, 8
	v_and_b32_e32 v130, 0x7fffff, v131
	s_delay_alu instid0(VALU_DEP_2) | instskip(SKIP_1) | instid1(VALU_DEP_3)
	v_sub_nc_u32_e32 v132, 0x78, v129
	v_cmp_gt_u32_e32 vcc_lo, 0x79, v129
	v_or_b32_e32 v133, 0x800000, v130
	s_delay_alu instid0(VALU_DEP_3) | instskip(SKIP_2) | instid1(VALU_DEP_3)
	v_cndmask_b32_e32 v132, 0, v132, vcc_lo
	v_cmp_eq_u32_e32 vcc_lo, 0, v129
	v_add_nc_u32_e32 v129, 0xffffff89, v129
	v_cndmask_b32_e64 v132, v132, 0x77, vcc_lo
	v_cndmask_b32_e32 v130, v133, v130, vcc_lo
	s_delay_alu instid0(VALU_DEP_3) | instskip(NEXT) | instid1(VALU_DEP_3)
	v_cndmask_b32_e64 v129, v129, 0xffffff8a, vcc_lo
	v_lshl_add_u32 v133, 0x100000, v132, -1
	s_delay_alu instid0(VALU_DEP_3) | instskip(SKIP_1) | instid1(VALU_DEP_4)
	v_lshrrev_b32_e32 v134, v132, v130
	v_lshlrev_b32_e64 v144, v132, 0x80000
	v_add_nc_u32_e32 v132, v132, v129
	s_delay_alu instid0(VALU_DEP_4) | instskip(NEXT) | instid1(VALU_DEP_4)
	v_and_b32_e32 v130, v133, v130
	v_bfe_u32 v135, v134, 20, 1
	s_delay_alu instid0(VALU_DEP_2) | instskip(NEXT) | instid1(VALU_DEP_2)
	v_cmp_eq_u32_e64 s7, v130, v144
	v_add_nc_u32_e32 v133, -1, v135
	s_delay_alu instid0(VALU_DEP_1) | instskip(SKIP_2) | instid1(VALU_DEP_2)
	v_cndmask_b32_e64 v130, 0, v133, s7
	v_lshrrev_b32_e32 v133, 23, v134
	s_mov_b32 s7, exec_lo
	v_add_nc_u32_e32 v130, v130, v134
	s_delay_alu instid0(VALU_DEP_2) | instskip(NEXT) | instid1(VALU_DEP_2)
	v_xor_b32_e32 v133, 1, v133
	v_and_b32_e32 v129, 0xfffff, v130
	s_delay_alu instid0(VALU_DEP_1) | instskip(NEXT) | instid1(VALU_DEP_3)
	v_add_nc_u32_e32 v130, v129, v134
                                        ; implicit-def: $vgpr129
	v_cmpx_ne_u32_e64 v132, v133
	s_xor_b32 s7, exec_lo, s7
; %bb.3905:                             ;   in Loop: Header=BB4_3272 Depth=2
	s_delay_alu instid0(VALU_DEP_2) | instskip(SKIP_2) | instid1(VALU_DEP_2)
	v_cmp_lt_u32_e32 vcc_lo, 0xffffff, v130
	v_sub_nc_u32_e32 v129, v132, v133
	v_cndmask_b32_e64 v132, 0, 1, vcc_lo
	v_add_co_ci_u32_e32 v129, vcc_lo, 0, v129, vcc_lo
	s_delay_alu instid0(VALU_DEP_2)
	v_lshrrev_b32_e32 v130, v132, v130
; %bb.3906:                             ;   in Loop: Header=BB4_3272 Depth=2
	s_and_not1_saveexec_b32 s7, s7
; %bb.3907:                             ;   in Loop: Header=BB4_3272 Depth=2
	s_delay_alu instid0(VALU_DEP_1)
	v_bfe_u32 v129, v130, 23, 1
; %bb.3908:                             ;   in Loop: Header=BB4_3272 Depth=2
	s_or_b32 exec_lo, exec_lo, s7
	v_lshrrev_b32_e32 v130, 20, v130
	s_delay_alu instid0(VALU_DEP_2) | instskip(SKIP_2) | instid1(VALU_DEP_2)
	v_cmp_gt_i32_e32 vcc_lo, 16, v129
	v_lshrrev_b32_e32 v131, 24, v131
	v_min_i32_e32 v132, 15, v129
	v_dual_cndmask_b32 v130, 7, v130 :: v_dual_and_b32 v131, 0x80, v131
	s_delay_alu instid0(VALU_DEP_1) | instskip(SKIP_1) | instid1(VALU_DEP_2)
	v_or_b32_e32 v129, v129, v130
	v_and_b32_e32 v133, 7, v130
	v_cmp_ne_u32_e32 vcc_lo, 0, v129
	v_lshlrev_b32_e32 v132, 3, v132
	s_delay_alu instid0(VALU_DEP_1) | instskip(NEXT) | instid1(VALU_DEP_1)
	v_or3_b32 v130, v132, v131, v133
	v_cndmask_b32_e32 v129, 0, v130, vcc_lo
.LBB4_3909:                             ;   in Loop: Header=BB4_3272 Depth=2
	s_or_b32 exec_lo, exec_lo, s25
.LBB4_3910:                             ;   in Loop: Header=BB4_3272 Depth=2
	s_delay_alu instid0(SALU_CYCLE_1)
	s_or_b32 exec_lo, exec_lo, s24
	v_lshrrev_b32_e32 v131, 16, v15
	v_lshrrev_b32_e32 v130, 16, v11
	s_and_not1_b32 vcc_lo, exec_lo, s23
	s_cbranch_vccnz .LBB4_3920
; %bb.3911:                             ;   in Loop: Header=BB4_3272 Depth=2
	s_delay_alu instid0(VALU_DEP_2) | instskip(SKIP_2) | instid1(VALU_DEP_1)
	v_and_b32_e32 v133, 0xff, v131
	s_mov_b32 s7, 0
	s_mov_b32 s25, exec_lo
                                        ; implicit-def: $sgpr24
	v_cmpx_lt_i16_e64 0x7f, v133
	s_xor_b32 s25, exec_lo, s25
	s_cbranch_execnz .LBB4_4550
; %bb.3912:                             ;   in Loop: Header=BB4_3272 Depth=2
	s_or_saveexec_b32 s25, s25
	v_mov_b32_e32 v132, s24
	s_xor_b32 exec_lo, exec_lo, s25
	s_cbranch_execnz .LBB4_4553
.LBB4_3913:                             ;   in Loop: Header=BB4_3272 Depth=2
	s_or_b32 exec_lo, exec_lo, s25
	s_and_saveexec_b32 s24, s7
	s_cbranch_execz .LBB4_3915
.LBB4_3914:                             ;   in Loop: Header=BB4_3272 Depth=2
	v_bfe_u32 v132, v15, 16, 3
	v_bfe_u32 v135, v15, 19, 4
	v_lshlrev_b32_e32 v144, 24, v131
	s_delay_alu instid0(VALU_DEP_3) | instskip(NEXT) | instid1(VALU_DEP_3)
	v_clz_i32_u32_e32 v133, v132
	v_cmp_eq_u32_e32 vcc_lo, 0, v135
	s_delay_alu instid0(VALU_DEP_2) | instskip(NEXT) | instid1(VALU_DEP_1)
	v_min_u32_e32 v133, 32, v133
	v_subrev_nc_u32_e32 v134, 28, v133
	v_sub_nc_u32_e32 v133, 29, v133
	s_delay_alu instid0(VALU_DEP_1) | instskip(NEXT) | instid1(VALU_DEP_1)
	v_dual_cndmask_b32 v133, v135, v133 :: v_dual_lshlrev_b32 v134, v134, v131
	v_and_b32_e32 v134, 7, v134
	s_delay_alu instid0(VALU_DEP_2) | instskip(NEXT) | instid1(VALU_DEP_2)
	v_lshl_add_u32 v133, v133, 23, 0x3b800000
	v_cndmask_b32_e32 v132, v132, v134, vcc_lo
	v_and_b32_e32 v134, 0x80000000, v144
	s_delay_alu instid0(VALU_DEP_2) | instskip(NEXT) | instid1(VALU_DEP_1)
	v_lshlrev_b32_e32 v132, 20, v132
	v_or3_b32 v132, v134, v133, v132
.LBB4_3915:                             ;   in Loop: Header=BB4_3272 Depth=2
	s_or_b32 exec_lo, exec_lo, s24
	v_and_b32_e32 v134, 0xff, v130
	s_mov_b32 s7, 0
	s_mov_b32 s25, exec_lo
                                        ; implicit-def: $sgpr24
	s_delay_alu instid0(VALU_DEP_1)
	v_cmpx_lt_i16_e64 0x7f, v134
	s_xor_b32 s25, exec_lo, s25
	s_cbranch_execnz .LBB4_4554
; %bb.3916:                             ;   in Loop: Header=BB4_3272 Depth=2
	s_or_saveexec_b32 s25, s25
	v_mov_b32_e32 v133, s24
	s_xor_b32 exec_lo, exec_lo, s25
	s_cbranch_execnz .LBB4_4557
.LBB4_3917:                             ;   in Loop: Header=BB4_3272 Depth=2
	s_or_b32 exec_lo, exec_lo, s25
	s_and_saveexec_b32 s24, s7
	s_cbranch_execz .LBB4_3919
.LBB4_3918:                             ;   in Loop: Header=BB4_3272 Depth=2
	v_bfe_u32 v133, v11, 16, 3
	v_bfe_u32 v144, v11, 19, 4
	v_lshlrev_b32_e32 v145, 24, v130
	s_delay_alu instid0(VALU_DEP_3) | instskip(NEXT) | instid1(VALU_DEP_3)
	v_clz_i32_u32_e32 v134, v133
	v_cmp_eq_u32_e32 vcc_lo, 0, v144
	s_delay_alu instid0(VALU_DEP_2) | instskip(NEXT) | instid1(VALU_DEP_1)
	v_min_u32_e32 v134, 32, v134
	v_subrev_nc_u32_e32 v135, 28, v134
	v_sub_nc_u32_e32 v134, 29, v134
	s_delay_alu instid0(VALU_DEP_2) | instskip(NEXT) | instid1(VALU_DEP_1)
	v_lshlrev_b32_e32 v135, v135, v130
	v_dual_cndmask_b32 v134, v144, v134 :: v_dual_and_b32 v135, 7, v135
	s_delay_alu instid0(VALU_DEP_1) | instskip(NEXT) | instid1(VALU_DEP_2)
	v_lshl_add_u32 v134, v134, 23, 0x3b800000
	v_cndmask_b32_e32 v133, v133, v135, vcc_lo
	v_and_b32_e32 v135, 0x80000000, v145
	s_delay_alu instid0(VALU_DEP_2) | instskip(NEXT) | instid1(VALU_DEP_1)
	v_lshlrev_b32_e32 v133, 20, v133
	v_or3_b32 v133, v135, v134, v133
.LBB4_3919:                             ;   in Loop: Header=BB4_3272 Depth=2
	s_or_b32 exec_lo, exec_lo, s24
	s_delay_alu instid0(VALU_DEP_1) | instskip(SKIP_1) | instid1(VALU_DEP_1)
	v_dual_max_f32 v133, v133, v133 :: v_dual_max_f32 v132, v132, v132
	s_mov_b32 s7, 0
	v_max_f32_e32 v132, v132, v133
	s_branch .LBB4_3921
.LBB4_3920:                             ;   in Loop: Header=BB4_3272 Depth=2
	s_mov_b32 s7, -1
                                        ; implicit-def: $vgpr132
.LBB4_3921:                             ;   in Loop: Header=BB4_3272 Depth=2
	s_delay_alu instid0(SALU_CYCLE_1)
	s_and_b32 vcc_lo, exec_lo, s7
	s_cbranch_vccz .LBB4_3931
; %bb.3922:                             ;   in Loop: Header=BB4_3272 Depth=2
	v_and_b32_e32 v133, 0xff, v131
	s_mov_b32 s7, 0
	s_mov_b32 s25, exec_lo
                                        ; implicit-def: $sgpr24
	s_delay_alu instid0(VALU_DEP_1)
	v_cmpx_lt_i16_e64 0x7f, v133
	s_xor_b32 s25, exec_lo, s25
	s_cbranch_execnz .LBB4_4558
; %bb.3923:                             ;   in Loop: Header=BB4_3272 Depth=2
	s_or_saveexec_b32 s25, s25
	v_mov_b32_e32 v132, s24
	s_xor_b32 exec_lo, exec_lo, s25
	s_cbranch_execnz .LBB4_4561
.LBB4_3924:                             ;   in Loop: Header=BB4_3272 Depth=2
	s_or_b32 exec_lo, exec_lo, s25
	s_and_saveexec_b32 s24, s7
	s_cbranch_execz .LBB4_3926
.LBB4_3925:                             ;   in Loop: Header=BB4_3272 Depth=2
	v_bfe_u32 v132, v15, 16, 3
	v_bfe_u32 v135, v15, 19, 4
	s_delay_alu instid0(VALU_DEP_2) | instskip(NEXT) | instid1(VALU_DEP_2)
	v_clz_i32_u32_e32 v133, v132
	v_cmp_eq_u32_e32 vcc_lo, 0, v135
	s_delay_alu instid0(VALU_DEP_2) | instskip(NEXT) | instid1(VALU_DEP_1)
	v_min_u32_e32 v133, 32, v133
	v_subrev_nc_u32_e32 v134, 28, v133
	v_sub_nc_u32_e32 v133, 29, v133
	s_delay_alu instid0(VALU_DEP_1) | instskip(NEXT) | instid1(VALU_DEP_1)
	v_dual_cndmask_b32 v133, v135, v133 :: v_dual_lshlrev_b32 v134, v134, v131
	v_and_b32_e32 v134, 7, v134
	v_lshlrev_b32_e32 v131, 24, v131
	s_delay_alu instid0(VALU_DEP_3) | instskip(NEXT) | instid1(VALU_DEP_2)
	v_lshl_add_u32 v133, v133, 23, 0x3b800000
	v_dual_cndmask_b32 v132, v132, v134 :: v_dual_and_b32 v131, 0x80000000, v131
	s_delay_alu instid0(VALU_DEP_1) | instskip(NEXT) | instid1(VALU_DEP_1)
	v_lshlrev_b32_e32 v132, 20, v132
	v_or3_b32 v132, v131, v133, v132
.LBB4_3926:                             ;   in Loop: Header=BB4_3272 Depth=2
	s_or_b32 exec_lo, exec_lo, s24
	v_and_b32_e32 v133, 0xff, v130
	s_mov_b32 s7, 0
	s_mov_b32 s25, exec_lo
                                        ; implicit-def: $sgpr24
	s_delay_alu instid0(VALU_DEP_1)
	v_cmpx_lt_i16_e64 0x7f, v133
	s_xor_b32 s25, exec_lo, s25
	s_cbranch_execnz .LBB4_4562
; %bb.3927:                             ;   in Loop: Header=BB4_3272 Depth=2
	s_or_saveexec_b32 s25, s25
	v_mov_b32_e32 v131, s24
	s_xor_b32 exec_lo, exec_lo, s25
	s_cbranch_execnz .LBB4_4565
.LBB4_3928:                             ;   in Loop: Header=BB4_3272 Depth=2
	s_or_b32 exec_lo, exec_lo, s25
	s_and_saveexec_b32 s24, s7
	s_cbranch_execz .LBB4_3930
.LBB4_3929:                             ;   in Loop: Header=BB4_3272 Depth=2
	v_bfe_u32 v131, v11, 16, 3
	v_bfe_u32 v135, v11, 19, 4
	s_delay_alu instid0(VALU_DEP_2) | instskip(NEXT) | instid1(VALU_DEP_2)
	v_clz_i32_u32_e32 v133, v131
	v_cmp_eq_u32_e32 vcc_lo, 0, v135
	s_delay_alu instid0(VALU_DEP_2) | instskip(NEXT) | instid1(VALU_DEP_1)
	v_min_u32_e32 v133, 32, v133
	v_subrev_nc_u32_e32 v134, 28, v133
	v_sub_nc_u32_e32 v133, 29, v133
	s_delay_alu instid0(VALU_DEP_1) | instskip(SKIP_1) | instid1(VALU_DEP_2)
	v_dual_cndmask_b32 v133, v135, v133 :: v_dual_lshlrev_b32 v134, v134, v130
	v_lshlrev_b32_e32 v130, 24, v130
	v_and_b32_e32 v134, 7, v134
	s_delay_alu instid0(VALU_DEP_3) | instskip(NEXT) | instid1(VALU_DEP_3)
	v_lshl_add_u32 v133, v133, 23, 0x3b800000
	v_and_b32_e32 v130, 0x80000000, v130
	s_delay_alu instid0(VALU_DEP_3) | instskip(NEXT) | instid1(VALU_DEP_1)
	v_cndmask_b32_e32 v131, v131, v134, vcc_lo
	v_lshlrev_b32_e32 v131, 20, v131
	s_delay_alu instid0(VALU_DEP_1)
	v_or3_b32 v131, v130, v133, v131
.LBB4_3930:                             ;   in Loop: Header=BB4_3272 Depth=2
	s_or_b32 exec_lo, exec_lo, s24
	s_delay_alu instid0(VALU_DEP_1) | instskip(NEXT) | instid1(VALU_DEP_1)
	v_dual_max_f32 v130, v131, v131 :: v_dual_max_f32 v131, v132, v132
	v_min_f32_e32 v132, v131, v130
.LBB4_3931:                             ;   in Loop: Header=BB4_3272 Depth=2
	s_delay_alu instid0(VALU_DEP_1) | instskip(NEXT) | instid1(VALU_DEP_1)
	v_and_b32_e32 v130, 0x7f800000, v132
	v_cmp_ne_u32_e32 vcc_lo, 0x7f800000, v130
	v_mov_b32_e32 v130, 0x80
	s_and_saveexec_b32 s24, vcc_lo
	s_cbranch_execz .LBB4_3939
; %bb.3932:                             ;   in Loop: Header=BB4_3272 Depth=2
	v_mov_b32_e32 v130, 0
	s_mov_b32 s25, exec_lo
	v_cmpx_ne_u32_e32 0, v132
	s_cbranch_execz .LBB4_3938
; %bb.3933:                             ;   in Loop: Header=BB4_3272 Depth=2
	v_bfe_u32 v130, v132, 23, 8
	v_and_b32_e32 v131, 0x7fffff, v132
	s_delay_alu instid0(VALU_DEP_2) | instskip(SKIP_1) | instid1(VALU_DEP_3)
	v_sub_nc_u32_e32 v133, 0x78, v130
	v_cmp_gt_u32_e32 vcc_lo, 0x79, v130
	v_or_b32_e32 v134, 0x800000, v131
	s_delay_alu instid0(VALU_DEP_3) | instskip(SKIP_2) | instid1(VALU_DEP_3)
	v_cndmask_b32_e32 v133, 0, v133, vcc_lo
	v_cmp_eq_u32_e32 vcc_lo, 0, v130
	v_add_nc_u32_e32 v130, 0xffffff89, v130
	v_cndmask_b32_e64 v133, v133, 0x77, vcc_lo
	v_cndmask_b32_e32 v131, v134, v131, vcc_lo
	s_delay_alu instid0(VALU_DEP_3) | instskip(NEXT) | instid1(VALU_DEP_3)
	v_cndmask_b32_e64 v130, v130, 0xffffff8a, vcc_lo
	v_lshl_add_u32 v134, 0x100000, v133, -1
	s_delay_alu instid0(VALU_DEP_3) | instskip(SKIP_1) | instid1(VALU_DEP_4)
	v_lshrrev_b32_e32 v135, v133, v131
	v_lshlrev_b32_e64 v145, v133, 0x80000
	v_add_nc_u32_e32 v133, v133, v130
	s_delay_alu instid0(VALU_DEP_4) | instskip(NEXT) | instid1(VALU_DEP_4)
	v_and_b32_e32 v131, v134, v131
	v_bfe_u32 v144, v135, 20, 1
	s_delay_alu instid0(VALU_DEP_2) | instskip(NEXT) | instid1(VALU_DEP_2)
	v_cmp_eq_u32_e64 s7, v131, v145
	v_add_nc_u32_e32 v134, -1, v144
	s_delay_alu instid0(VALU_DEP_1) | instskip(SKIP_2) | instid1(VALU_DEP_2)
	v_cndmask_b32_e64 v131, 0, v134, s7
	v_lshrrev_b32_e32 v134, 23, v135
	s_mov_b32 s7, exec_lo
	v_add_nc_u32_e32 v131, v131, v135
	s_delay_alu instid0(VALU_DEP_2) | instskip(NEXT) | instid1(VALU_DEP_2)
	v_xor_b32_e32 v134, 1, v134
	v_and_b32_e32 v130, 0xfffff, v131
	s_delay_alu instid0(VALU_DEP_1) | instskip(NEXT) | instid1(VALU_DEP_3)
	v_add_nc_u32_e32 v131, v130, v135
                                        ; implicit-def: $vgpr130
	v_cmpx_ne_u32_e64 v133, v134
	s_xor_b32 s7, exec_lo, s7
; %bb.3934:                             ;   in Loop: Header=BB4_3272 Depth=2
	s_delay_alu instid0(VALU_DEP_2) | instskip(SKIP_2) | instid1(VALU_DEP_2)
	v_cmp_lt_u32_e32 vcc_lo, 0xffffff, v131
	v_sub_nc_u32_e32 v130, v133, v134
	v_cndmask_b32_e64 v133, 0, 1, vcc_lo
	v_add_co_ci_u32_e32 v130, vcc_lo, 0, v130, vcc_lo
	s_delay_alu instid0(VALU_DEP_2)
	v_lshrrev_b32_e32 v131, v133, v131
; %bb.3935:                             ;   in Loop: Header=BB4_3272 Depth=2
	s_and_not1_saveexec_b32 s7, s7
; %bb.3936:                             ;   in Loop: Header=BB4_3272 Depth=2
	s_delay_alu instid0(VALU_DEP_1)
	v_bfe_u32 v130, v131, 23, 1
; %bb.3937:                             ;   in Loop: Header=BB4_3272 Depth=2
	s_or_b32 exec_lo, exec_lo, s7
	v_lshrrev_b32_e32 v131, 20, v131
	s_delay_alu instid0(VALU_DEP_2) | instskip(SKIP_2) | instid1(VALU_DEP_2)
	v_cmp_gt_i32_e32 vcc_lo, 16, v130
	v_lshrrev_b32_e32 v132, 24, v132
	v_min_i32_e32 v133, 15, v130
	v_dual_cndmask_b32 v131, 7, v131 :: v_dual_and_b32 v132, 0x80, v132
	s_delay_alu instid0(VALU_DEP_1) | instskip(SKIP_1) | instid1(VALU_DEP_2)
	v_or_b32_e32 v130, v130, v131
	v_and_b32_e32 v134, 7, v131
	v_cmp_ne_u32_e32 vcc_lo, 0, v130
	v_lshlrev_b32_e32 v133, 3, v133
	s_delay_alu instid0(VALU_DEP_1) | instskip(NEXT) | instid1(VALU_DEP_1)
	v_and_b32_e32 v133, 0xf8, v133
	v_or3_b32 v131, v133, v132, v134
	s_delay_alu instid0(VALU_DEP_1)
	v_cndmask_b32_e32 v130, 0, v131, vcc_lo
.LBB4_3938:                             ;   in Loop: Header=BB4_3272 Depth=2
	s_or_b32 exec_lo, exec_lo, s25
.LBB4_3939:                             ;   in Loop: Header=BB4_3272 Depth=2
	s_delay_alu instid0(SALU_CYCLE_1)
	s_or_b32 exec_lo, exec_lo, s24
	v_lshrrev_b32_e32 v132, 24, v15
	v_lshrrev_b32_e32 v131, 24, v11
	s_and_not1_b32 vcc_lo, exec_lo, s23
	s_cbranch_vccnz .LBB4_3949
; %bb.3940:                             ;   in Loop: Header=BB4_3272 Depth=2
	s_mov_b32 s7, 0
	s_mov_b32 s25, exec_lo
                                        ; implicit-def: $sgpr24
	v_cmpx_lt_i16_e64 0x7f, v132
	s_xor_b32 s25, exec_lo, s25
	s_cbranch_execnz .LBB4_4566
; %bb.3941:                             ;   in Loop: Header=BB4_3272 Depth=2
	s_or_saveexec_b32 s25, s25
	v_mov_b32_e32 v133, s24
	s_xor_b32 exec_lo, exec_lo, s25
	s_cbranch_execnz .LBB4_4569
.LBB4_3942:                             ;   in Loop: Header=BB4_3272 Depth=2
	s_or_b32 exec_lo, exec_lo, s25
	s_and_saveexec_b32 s24, s7
	s_cbranch_execz .LBB4_3944
.LBB4_3943:                             ;   in Loop: Header=BB4_3272 Depth=2
	v_bfe_u32 v133, v15, 24, 3
	v_bfe_u32 v144, v15, 27, 4
	s_delay_alu instid0(VALU_DEP_2) | instskip(NEXT) | instid1(VALU_DEP_2)
	v_clz_i32_u32_e32 v134, v133
	v_cmp_eq_u32_e32 vcc_lo, 0, v144
	s_delay_alu instid0(VALU_DEP_2) | instskip(NEXT) | instid1(VALU_DEP_1)
	v_min_u32_e32 v134, 32, v134
	v_subrev_nc_u32_e32 v135, 28, v134
	v_sub_nc_u32_e32 v134, 29, v134
	s_delay_alu instid0(VALU_DEP_1) | instskip(NEXT) | instid1(VALU_DEP_1)
	v_dual_cndmask_b32 v134, v144, v134 :: v_dual_lshlrev_b32 v135, v135, v132
	v_and_b32_e32 v135, 7, v135
	s_delay_alu instid0(VALU_DEP_2) | instskip(NEXT) | instid1(VALU_DEP_2)
	v_lshl_add_u32 v134, v134, 23, 0x3b800000
	v_cndmask_b32_e32 v133, v133, v135, vcc_lo
	v_and_b32_e32 v135, 0x80000000, v15
	s_delay_alu instid0(VALU_DEP_2) | instskip(NEXT) | instid1(VALU_DEP_1)
	v_lshlrev_b32_e32 v133, 20, v133
	v_or3_b32 v133, v135, v134, v133
.LBB4_3944:                             ;   in Loop: Header=BB4_3272 Depth=2
	s_or_b32 exec_lo, exec_lo, s24
	s_mov_b32 s7, 0
	s_mov_b32 s25, exec_lo
                                        ; implicit-def: $sgpr24
	v_cmpx_lt_i16_e64 0x7f, v131
	s_xor_b32 s25, exec_lo, s25
	s_cbranch_execnz .LBB4_4570
; %bb.3945:                             ;   in Loop: Header=BB4_3272 Depth=2
	s_or_saveexec_b32 s25, s25
	v_mov_b32_e32 v134, s24
	s_xor_b32 exec_lo, exec_lo, s25
	s_cbranch_execnz .LBB4_4573
.LBB4_3946:                             ;   in Loop: Header=BB4_3272 Depth=2
	s_or_b32 exec_lo, exec_lo, s25
	s_and_saveexec_b32 s24, s7
	s_cbranch_execz .LBB4_3948
.LBB4_3947:                             ;   in Loop: Header=BB4_3272 Depth=2
	v_bfe_u32 v134, v11, 24, 3
	v_bfe_u32 v145, v11, 27, 4
	s_delay_alu instid0(VALU_DEP_2) | instskip(NEXT) | instid1(VALU_DEP_2)
	v_clz_i32_u32_e32 v135, v134
	v_cmp_eq_u32_e32 vcc_lo, 0, v145
	s_delay_alu instid0(VALU_DEP_2) | instskip(NEXT) | instid1(VALU_DEP_1)
	v_min_u32_e32 v135, 32, v135
	v_subrev_nc_u32_e32 v144, 28, v135
	v_sub_nc_u32_e32 v135, 29, v135
	s_delay_alu instid0(VALU_DEP_2) | instskip(NEXT) | instid1(VALU_DEP_1)
	v_lshlrev_b32_e32 v144, v144, v131
	v_dual_cndmask_b32 v135, v145, v135 :: v_dual_and_b32 v144, 7, v144
	s_delay_alu instid0(VALU_DEP_1) | instskip(NEXT) | instid1(VALU_DEP_2)
	v_lshl_add_u32 v135, v135, 23, 0x3b800000
	v_cndmask_b32_e32 v134, v134, v144, vcc_lo
	v_and_b32_e32 v144, 0x80000000, v11
	s_delay_alu instid0(VALU_DEP_2) | instskip(NEXT) | instid1(VALU_DEP_1)
	v_lshlrev_b32_e32 v134, 20, v134
	v_or3_b32 v134, v144, v135, v134
.LBB4_3948:                             ;   in Loop: Header=BB4_3272 Depth=2
	s_or_b32 exec_lo, exec_lo, s24
	s_delay_alu instid0(VALU_DEP_1) | instskip(SKIP_1) | instid1(VALU_DEP_1)
	v_dual_max_f32 v134, v134, v134 :: v_dual_max_f32 v133, v133, v133
	s_mov_b32 s7, 0
	v_max_f32_e32 v133, v133, v134
	s_branch .LBB4_3950
.LBB4_3949:                             ;   in Loop: Header=BB4_3272 Depth=2
	s_mov_b32 s7, -1
                                        ; implicit-def: $vgpr133
.LBB4_3950:                             ;   in Loop: Header=BB4_3272 Depth=2
	s_delay_alu instid0(SALU_CYCLE_1)
	s_and_b32 vcc_lo, exec_lo, s7
	s_cbranch_vccz .LBB4_3960
; %bb.3951:                             ;   in Loop: Header=BB4_3272 Depth=2
	s_mov_b32 s7, 0
	s_mov_b32 s25, exec_lo
                                        ; implicit-def: $sgpr24
	v_cmpx_lt_i16_e64 0x7f, v132
	s_xor_b32 s25, exec_lo, s25
	s_cbranch_execnz .LBB4_4574
; %bb.3952:                             ;   in Loop: Header=BB4_3272 Depth=2
	s_or_saveexec_b32 s25, s25
	v_mov_b32_e32 v133, s24
	s_xor_b32 exec_lo, exec_lo, s25
	s_cbranch_execnz .LBB4_4577
.LBB4_3953:                             ;   in Loop: Header=BB4_3272 Depth=2
	s_or_b32 exec_lo, exec_lo, s25
	s_and_saveexec_b32 s24, s7
	s_cbranch_execz .LBB4_3955
.LBB4_3954:                             ;   in Loop: Header=BB4_3272 Depth=2
	v_bfe_u32 v133, v15, 24, 3
	s_delay_alu instid0(VALU_DEP_1) | instskip(NEXT) | instid1(VALU_DEP_1)
	v_clz_i32_u32_e32 v134, v133
	v_min_u32_e32 v134, 32, v134
	s_delay_alu instid0(VALU_DEP_1) | instskip(SKIP_1) | instid1(VALU_DEP_2)
	v_subrev_nc_u32_e32 v135, 28, v134
	v_sub_nc_u32_e32 v134, 29, v134
	v_lshlrev_b32_e32 v132, v135, v132
	v_bfe_u32 v135, v15, 27, 4
	v_and_b32_e32 v15, 0x80000000, v15
	s_delay_alu instid0(VALU_DEP_3) | instskip(NEXT) | instid1(VALU_DEP_3)
	v_and_b32_e32 v132, 7, v132
	v_cmp_eq_u32_e32 vcc_lo, 0, v135
	v_cndmask_b32_e32 v134, v135, v134, vcc_lo
	s_delay_alu instid0(VALU_DEP_3) | instskip(NEXT) | instid1(VALU_DEP_2)
	v_cndmask_b32_e32 v132, v133, v132, vcc_lo
	v_lshl_add_u32 v133, v134, 23, 0x3b800000
	s_delay_alu instid0(VALU_DEP_2) | instskip(NEXT) | instid1(VALU_DEP_1)
	v_lshlrev_b32_e32 v132, 20, v132
	v_or3_b32 v133, v15, v133, v132
.LBB4_3955:                             ;   in Loop: Header=BB4_3272 Depth=2
	s_or_b32 exec_lo, exec_lo, s24
	s_mov_b32 s7, 0
	s_mov_b32 s25, exec_lo
                                        ; implicit-def: $sgpr24
	v_cmpx_lt_i16_e64 0x7f, v131
	s_xor_b32 s25, exec_lo, s25
	s_cbranch_execnz .LBB4_4578
; %bb.3956:                             ;   in Loop: Header=BB4_3272 Depth=2
	s_or_saveexec_b32 s25, s25
	v_mov_b32_e32 v15, s24
	s_xor_b32 exec_lo, exec_lo, s25
	s_cbranch_execnz .LBB4_4581
.LBB4_3957:                             ;   in Loop: Header=BB4_3272 Depth=2
	s_or_b32 exec_lo, exec_lo, s25
	s_and_saveexec_b32 s24, s7
	s_cbranch_execz .LBB4_3959
.LBB4_3958:                             ;   in Loop: Header=BB4_3272 Depth=2
	v_bfe_u32 v15, v11, 24, 3
	s_delay_alu instid0(VALU_DEP_1) | instskip(NEXT) | instid1(VALU_DEP_1)
	v_clz_i32_u32_e32 v132, v15
	v_min_u32_e32 v132, 32, v132
	s_delay_alu instid0(VALU_DEP_1) | instskip(SKIP_1) | instid1(VALU_DEP_2)
	v_subrev_nc_u32_e32 v134, 28, v132
	v_sub_nc_u32_e32 v132, 29, v132
	v_lshlrev_b32_e32 v131, v134, v131
	v_bfe_u32 v134, v11, 27, 4
	v_and_b32_e32 v11, 0x80000000, v11
	s_delay_alu instid0(VALU_DEP_2) | instskip(NEXT) | instid1(VALU_DEP_4)
	v_cmp_eq_u32_e32 vcc_lo, 0, v134
	v_dual_cndmask_b32 v132, v134, v132 :: v_dual_and_b32 v131, 7, v131
	s_delay_alu instid0(VALU_DEP_1) | instskip(NEXT) | instid1(VALU_DEP_2)
	v_cndmask_b32_e32 v15, v15, v131, vcc_lo
	v_lshl_add_u32 v131, v132, 23, 0x3b800000
	s_delay_alu instid0(VALU_DEP_2) | instskip(NEXT) | instid1(VALU_DEP_1)
	v_lshlrev_b32_e32 v15, 20, v15
	v_or3_b32 v15, v11, v131, v15
.LBB4_3959:                             ;   in Loop: Header=BB4_3272 Depth=2
	s_or_b32 exec_lo, exec_lo, s24
	s_delay_alu instid0(VALU_DEP_1) | instskip(SKIP_1) | instid1(VALU_DEP_1)
	v_max_f32_e32 v11, v15, v15
	v_max_f32_e32 v15, v133, v133
	v_min_f32_e32 v133, v15, v11
.LBB4_3960:                             ;   in Loop: Header=BB4_3272 Depth=2
	s_delay_alu instid0(VALU_DEP_1) | instskip(NEXT) | instid1(VALU_DEP_1)
	v_and_b32_e32 v11, 0x7f800000, v133
	v_cmp_ne_u32_e32 vcc_lo, 0x7f800000, v11
	v_mov_b32_e32 v11, 0x8000
	s_and_saveexec_b32 s24, vcc_lo
	s_cbranch_execz .LBB4_3968
; %bb.3961:                             ;   in Loop: Header=BB4_3272 Depth=2
	v_mov_b32_e32 v11, 0
	s_mov_b32 s25, exec_lo
	v_cmpx_ne_u32_e32 0, v133
	s_cbranch_execz .LBB4_3967
; %bb.3962:                             ;   in Loop: Header=BB4_3272 Depth=2
	v_bfe_u32 v11, v133, 23, 8
	v_and_b32_e32 v15, 0x7fffff, v133
	s_delay_alu instid0(VALU_DEP_2) | instskip(SKIP_1) | instid1(VALU_DEP_3)
	v_sub_nc_u32_e32 v131, 0x78, v11
	v_cmp_gt_u32_e32 vcc_lo, 0x79, v11
	v_or_b32_e32 v132, 0x800000, v15
	s_delay_alu instid0(VALU_DEP_3) | instskip(SKIP_2) | instid1(VALU_DEP_3)
	v_cndmask_b32_e32 v131, 0, v131, vcc_lo
	v_cmp_eq_u32_e32 vcc_lo, 0, v11
	v_add_nc_u32_e32 v11, 0xffffff89, v11
	v_cndmask_b32_e64 v131, v131, 0x77, vcc_lo
	v_cndmask_b32_e32 v15, v132, v15, vcc_lo
	s_delay_alu instid0(VALU_DEP_3) | instskip(NEXT) | instid1(VALU_DEP_3)
	v_cndmask_b32_e64 v11, v11, 0xffffff8a, vcc_lo
	v_lshl_add_u32 v132, 0x100000, v131, -1
	s_delay_alu instid0(VALU_DEP_3) | instskip(SKIP_1) | instid1(VALU_DEP_4)
	v_lshrrev_b32_e32 v134, v131, v15
	v_lshlrev_b32_e64 v144, v131, 0x80000
	v_add_nc_u32_e32 v131, v131, v11
	s_delay_alu instid0(VALU_DEP_4) | instskip(NEXT) | instid1(VALU_DEP_4)
	v_and_b32_e32 v15, v132, v15
	v_bfe_u32 v135, v134, 20, 1
	s_delay_alu instid0(VALU_DEP_2) | instskip(NEXT) | instid1(VALU_DEP_2)
	v_cmp_eq_u32_e64 s7, v15, v144
	v_add_nc_u32_e32 v132, -1, v135
	s_delay_alu instid0(VALU_DEP_1) | instskip(SKIP_2) | instid1(VALU_DEP_2)
	v_cndmask_b32_e64 v15, 0, v132, s7
	v_lshrrev_b32_e32 v132, 23, v134
	s_mov_b32 s7, exec_lo
	v_add_nc_u32_e32 v15, v15, v134
	s_delay_alu instid0(VALU_DEP_2) | instskip(NEXT) | instid1(VALU_DEP_2)
	v_xor_b32_e32 v132, 1, v132
	v_and_b32_e32 v11, 0xfffff, v15
	s_delay_alu instid0(VALU_DEP_1) | instskip(NEXT) | instid1(VALU_DEP_3)
	v_add_nc_u32_e32 v15, v11, v134
                                        ; implicit-def: $vgpr11
	v_cmpx_ne_u32_e64 v131, v132
	s_xor_b32 s7, exec_lo, s7
; %bb.3963:                             ;   in Loop: Header=BB4_3272 Depth=2
	s_delay_alu instid0(VALU_DEP_2) | instskip(SKIP_2) | instid1(VALU_DEP_2)
	v_cmp_lt_u32_e32 vcc_lo, 0xffffff, v15
	v_sub_nc_u32_e32 v11, v131, v132
	v_cndmask_b32_e64 v131, 0, 1, vcc_lo
	v_add_co_ci_u32_e32 v11, vcc_lo, 0, v11, vcc_lo
	s_delay_alu instid0(VALU_DEP_2)
	v_lshrrev_b32_e32 v15, v131, v15
; %bb.3964:                             ;   in Loop: Header=BB4_3272 Depth=2
	s_and_not1_saveexec_b32 s7, s7
; %bb.3965:                             ;   in Loop: Header=BB4_3272 Depth=2
	s_delay_alu instid0(VALU_DEP_1)
	v_bfe_u32 v11, v15, 23, 1
; %bb.3966:                             ;   in Loop: Header=BB4_3272 Depth=2
	s_or_b32 exec_lo, exec_lo, s7
	v_lshrrev_b32_e32 v15, 20, v15
	s_delay_alu instid0(VALU_DEP_2) | instskip(SKIP_2) | instid1(VALU_DEP_3)
	v_min_i32_e32 v131, 15, v11
	v_cmp_gt_i32_e32 vcc_lo, 16, v11
	v_lshrrev_b32_e32 v132, 24, v133
	v_lshlrev_b32_e32 v131, 3, v131
	s_delay_alu instid0(VALU_DEP_2) | instskip(NEXT) | instid1(VALU_DEP_2)
	v_dual_cndmask_b32 v15, 7, v15 :: v_dual_and_b32 v132, 0x80, v132
	v_and_b32_e32 v131, 0xf8, v131
	s_delay_alu instid0(VALU_DEP_2) | instskip(SKIP_1) | instid1(VALU_DEP_2)
	v_and_b32_e32 v133, 7, v15
	v_or_b32_e32 v11, v11, v15
	v_or3_b32 v131, v132, v131, v133
	s_delay_alu instid0(VALU_DEP_2) | instskip(NEXT) | instid1(VALU_DEP_2)
	v_cmp_ne_u32_e32 vcc_lo, 0, v11
	v_lshlrev_b32_e32 v15, 8, v131
	s_delay_alu instid0(VALU_DEP_1)
	v_cndmask_b32_e32 v11, 0, v15, vcc_lo
.LBB4_3967:                             ;   in Loop: Header=BB4_3272 Depth=2
	s_or_b32 exec_lo, exec_lo, s25
.LBB4_3968:                             ;   in Loop: Header=BB4_3272 Depth=2
	s_delay_alu instid0(SALU_CYCLE_1) | instskip(NEXT) | instid1(SALU_CYCLE_1)
	s_or_b32 exec_lo, exec_lo, s24
	s_and_not1_b32 vcc_lo, exec_lo, s23
	s_cbranch_vccnz .LBB4_3978
; %bb.3969:                             ;   in Loop: Header=BB4_3272 Depth=2
	v_and_b32_e32 v131, 0xff, v16
	s_mov_b32 s7, 0
	s_mov_b32 s25, exec_lo
                                        ; implicit-def: $sgpr24
	s_delay_alu instid0(VALU_DEP_1)
	v_cmpx_lt_i16_e64 0x7f, v131
	s_xor_b32 s25, exec_lo, s25
	s_cbranch_execnz .LBB4_4582
; %bb.3970:                             ;   in Loop: Header=BB4_3272 Depth=2
	s_or_saveexec_b32 s25, s25
	v_mov_b32_e32 v15, s24
	s_xor_b32 exec_lo, exec_lo, s25
	s_cbranch_execnz .LBB4_4585
.LBB4_3971:                             ;   in Loop: Header=BB4_3272 Depth=2
	s_or_b32 exec_lo, exec_lo, s25
	s_and_saveexec_b32 s24, s7
	s_cbranch_execz .LBB4_3973
.LBB4_3972:                             ;   in Loop: Header=BB4_3272 Depth=2
	v_and_b32_e32 v15, 7, v16
	v_bfe_u32 v133, v16, 3, 4
	v_lshlrev_b32_e32 v134, 24, v16
	s_delay_alu instid0(VALU_DEP_3) | instskip(NEXT) | instid1(VALU_DEP_3)
	v_clz_i32_u32_e32 v131, v15
	v_cmp_eq_u32_e32 vcc_lo, 0, v133
	s_delay_alu instid0(VALU_DEP_2) | instskip(NEXT) | instid1(VALU_DEP_1)
	v_min_u32_e32 v131, 32, v131
	v_subrev_nc_u32_e32 v132, 28, v131
	v_sub_nc_u32_e32 v131, 29, v131
	s_delay_alu instid0(VALU_DEP_1) | instskip(NEXT) | instid1(VALU_DEP_1)
	v_dual_cndmask_b32 v131, v133, v131 :: v_dual_lshlrev_b32 v132, v132, v16
	v_and_b32_e32 v132, 7, v132
	s_delay_alu instid0(VALU_DEP_2) | instskip(NEXT) | instid1(VALU_DEP_2)
	v_lshl_add_u32 v131, v131, 23, 0x3b800000
	v_dual_cndmask_b32 v15, v15, v132 :: v_dual_and_b32 v132, 0x80000000, v134
	s_delay_alu instid0(VALU_DEP_1) | instskip(NEXT) | instid1(VALU_DEP_1)
	v_lshlrev_b32_e32 v15, 20, v15
	v_or3_b32 v15, v132, v131, v15
.LBB4_3973:                             ;   in Loop: Header=BB4_3272 Depth=2
	s_or_b32 exec_lo, exec_lo, s24
	v_and_b32_e32 v132, 0xff, v12
	s_mov_b32 s7, 0
	s_mov_b32 s25, exec_lo
                                        ; implicit-def: $sgpr24
	s_delay_alu instid0(VALU_DEP_1)
	v_cmpx_lt_i16_e64 0x7f, v132
	s_xor_b32 s25, exec_lo, s25
	s_cbranch_execnz .LBB4_4586
; %bb.3974:                             ;   in Loop: Header=BB4_3272 Depth=2
	s_or_saveexec_b32 s25, s25
	v_mov_b32_e32 v131, s24
	s_xor_b32 exec_lo, exec_lo, s25
	s_cbranch_execnz .LBB4_4589
.LBB4_3975:                             ;   in Loop: Header=BB4_3272 Depth=2
	s_or_b32 exec_lo, exec_lo, s25
	s_and_saveexec_b32 s24, s7
	s_cbranch_execz .LBB4_3977
.LBB4_3976:                             ;   in Loop: Header=BB4_3272 Depth=2
	v_and_b32_e32 v131, 7, v12
	v_bfe_u32 v134, v12, 3, 4
	v_lshlrev_b32_e32 v135, 24, v12
	s_delay_alu instid0(VALU_DEP_3) | instskip(NEXT) | instid1(VALU_DEP_3)
	v_clz_i32_u32_e32 v132, v131
	v_cmp_eq_u32_e32 vcc_lo, 0, v134
	s_delay_alu instid0(VALU_DEP_2) | instskip(NEXT) | instid1(VALU_DEP_1)
	v_min_u32_e32 v132, 32, v132
	v_subrev_nc_u32_e32 v133, 28, v132
	v_sub_nc_u32_e32 v132, 29, v132
	s_delay_alu instid0(VALU_DEP_2) | instskip(NEXT) | instid1(VALU_DEP_1)
	v_lshlrev_b32_e32 v133, v133, v12
	v_dual_cndmask_b32 v132, v134, v132 :: v_dual_and_b32 v133, 7, v133
	s_delay_alu instid0(VALU_DEP_1) | instskip(NEXT) | instid1(VALU_DEP_2)
	v_lshl_add_u32 v132, v132, 23, 0x3b800000
	v_cndmask_b32_e32 v131, v131, v133, vcc_lo
	v_and_b32_e32 v133, 0x80000000, v135
	s_delay_alu instid0(VALU_DEP_2) | instskip(NEXT) | instid1(VALU_DEP_1)
	v_lshlrev_b32_e32 v131, 20, v131
	v_or3_b32 v131, v133, v132, v131
.LBB4_3977:                             ;   in Loop: Header=BB4_3272 Depth=2
	s_or_b32 exec_lo, exec_lo, s24
	s_delay_alu instid0(VALU_DEP_1) | instskip(SKIP_2) | instid1(VALU_DEP_1)
	v_max_f32_e32 v131, v131, v131
	v_max_f32_e32 v15, v15, v15
	s_mov_b32 s7, 0
	v_max_f32_e32 v131, v15, v131
	s_branch .LBB4_3979
.LBB4_3978:                             ;   in Loop: Header=BB4_3272 Depth=2
	s_mov_b32 s7, -1
                                        ; implicit-def: $vgpr131
.LBB4_3979:                             ;   in Loop: Header=BB4_3272 Depth=2
	s_delay_alu instid0(SALU_CYCLE_1)
	s_and_b32 vcc_lo, exec_lo, s7
	s_cbranch_vccz .LBB4_3989
; %bb.3980:                             ;   in Loop: Header=BB4_3272 Depth=2
	v_and_b32_e32 v131, 0xff, v16
	s_mov_b32 s7, 0
	s_mov_b32 s25, exec_lo
                                        ; implicit-def: $sgpr24
	s_delay_alu instid0(VALU_DEP_1)
	v_cmpx_lt_i16_e64 0x7f, v131
	s_xor_b32 s25, exec_lo, s25
	s_cbranch_execnz .LBB4_4590
; %bb.3981:                             ;   in Loop: Header=BB4_3272 Depth=2
	s_or_saveexec_b32 s25, s25
	v_mov_b32_e32 v15, s24
	s_xor_b32 exec_lo, exec_lo, s25
	s_cbranch_execnz .LBB4_4593
.LBB4_3982:                             ;   in Loop: Header=BB4_3272 Depth=2
	s_or_b32 exec_lo, exec_lo, s25
	s_and_saveexec_b32 s24, s7
	s_cbranch_execz .LBB4_3984
.LBB4_3983:                             ;   in Loop: Header=BB4_3272 Depth=2
	v_and_b32_e32 v15, 7, v16
	v_bfe_u32 v133, v16, 3, 4
	v_lshlrev_b32_e32 v134, 24, v16
	s_delay_alu instid0(VALU_DEP_3) | instskip(NEXT) | instid1(VALU_DEP_3)
	v_clz_i32_u32_e32 v131, v15
	v_cmp_eq_u32_e32 vcc_lo, 0, v133
	s_delay_alu instid0(VALU_DEP_2) | instskip(NEXT) | instid1(VALU_DEP_1)
	v_min_u32_e32 v131, 32, v131
	v_subrev_nc_u32_e32 v132, 28, v131
	v_sub_nc_u32_e32 v131, 29, v131
	s_delay_alu instid0(VALU_DEP_1) | instskip(NEXT) | instid1(VALU_DEP_1)
	v_dual_cndmask_b32 v131, v133, v131 :: v_dual_lshlrev_b32 v132, v132, v16
	v_and_b32_e32 v132, 7, v132
	s_delay_alu instid0(VALU_DEP_2) | instskip(NEXT) | instid1(VALU_DEP_2)
	v_lshl_add_u32 v131, v131, 23, 0x3b800000
	v_dual_cndmask_b32 v15, v15, v132 :: v_dual_and_b32 v132, 0x80000000, v134
	s_delay_alu instid0(VALU_DEP_1) | instskip(NEXT) | instid1(VALU_DEP_1)
	v_lshlrev_b32_e32 v15, 20, v15
	v_or3_b32 v15, v132, v131, v15
.LBB4_3984:                             ;   in Loop: Header=BB4_3272 Depth=2
	s_or_b32 exec_lo, exec_lo, s24
	v_and_b32_e32 v132, 0xff, v12
	s_mov_b32 s7, 0
	s_mov_b32 s25, exec_lo
                                        ; implicit-def: $sgpr24
	s_delay_alu instid0(VALU_DEP_1)
	v_cmpx_lt_i16_e64 0x7f, v132
	s_xor_b32 s25, exec_lo, s25
	s_cbranch_execnz .LBB4_4594
; %bb.3985:                             ;   in Loop: Header=BB4_3272 Depth=2
	s_or_saveexec_b32 s25, s25
	v_mov_b32_e32 v131, s24
	s_xor_b32 exec_lo, exec_lo, s25
	s_cbranch_execnz .LBB4_4597
.LBB4_3986:                             ;   in Loop: Header=BB4_3272 Depth=2
	s_or_b32 exec_lo, exec_lo, s25
	s_and_saveexec_b32 s24, s7
	s_cbranch_execz .LBB4_3988
.LBB4_3987:                             ;   in Loop: Header=BB4_3272 Depth=2
	v_and_b32_e32 v131, 7, v12
	v_bfe_u32 v134, v12, 3, 4
	v_lshlrev_b32_e32 v135, 24, v12
	s_delay_alu instid0(VALU_DEP_3) | instskip(NEXT) | instid1(VALU_DEP_3)
	v_clz_i32_u32_e32 v132, v131
	v_cmp_eq_u32_e32 vcc_lo, 0, v134
	s_delay_alu instid0(VALU_DEP_2) | instskip(NEXT) | instid1(VALU_DEP_1)
	v_min_u32_e32 v132, 32, v132
	v_subrev_nc_u32_e32 v133, 28, v132
	v_sub_nc_u32_e32 v132, 29, v132
	s_delay_alu instid0(VALU_DEP_2) | instskip(NEXT) | instid1(VALU_DEP_1)
	v_lshlrev_b32_e32 v133, v133, v12
	v_dual_cndmask_b32 v132, v134, v132 :: v_dual_and_b32 v133, 7, v133
	s_delay_alu instid0(VALU_DEP_1) | instskip(NEXT) | instid1(VALU_DEP_2)
	v_lshl_add_u32 v132, v132, 23, 0x3b800000
	v_cndmask_b32_e32 v131, v131, v133, vcc_lo
	v_and_b32_e32 v133, 0x80000000, v135
	s_delay_alu instid0(VALU_DEP_2) | instskip(NEXT) | instid1(VALU_DEP_1)
	v_lshlrev_b32_e32 v131, 20, v131
	v_or3_b32 v131, v133, v132, v131
.LBB4_3988:                             ;   in Loop: Header=BB4_3272 Depth=2
	s_or_b32 exec_lo, exec_lo, s24
	s_delay_alu instid0(VALU_DEP_1) | instskip(SKIP_1) | instid1(VALU_DEP_1)
	v_max_f32_e32 v131, v131, v131
	v_max_f32_e32 v15, v15, v15
	v_min_f32_e32 v131, v15, v131
.LBB4_3989:                             ;   in Loop: Header=BB4_3272 Depth=2
	s_delay_alu instid0(VALU_DEP_1) | instskip(NEXT) | instid1(VALU_DEP_1)
	v_and_b32_e32 v15, 0x7f800000, v131
	v_cmp_ne_u32_e32 vcc_lo, 0x7f800000, v15
	v_mov_b32_e32 v15, 0x80
	s_and_saveexec_b32 s24, vcc_lo
	s_cbranch_execz .LBB4_3997
; %bb.3990:                             ;   in Loop: Header=BB4_3272 Depth=2
	v_mov_b32_e32 v15, 0
	s_mov_b32 s25, exec_lo
	v_cmpx_ne_u32_e32 0, v131
	s_cbranch_execz .LBB4_3996
; %bb.3991:                             ;   in Loop: Header=BB4_3272 Depth=2
	v_bfe_u32 v15, v131, 23, 8
	s_delay_alu instid0(VALU_DEP_1) | instskip(SKIP_1) | instid1(VALU_DEP_2)
	v_sub_nc_u32_e32 v133, 0x78, v15
	v_cmp_gt_u32_e32 vcc_lo, 0x79, v15
	v_dual_cndmask_b32 v133, 0, v133 :: v_dual_and_b32 v132, 0x7fffff, v131
	s_delay_alu instid0(VALU_DEP_1) | instskip(SKIP_2) | instid1(VALU_DEP_4)
	v_or_b32_e32 v134, 0x800000, v132
	v_cmp_eq_u32_e32 vcc_lo, 0, v15
	v_add_nc_u32_e32 v15, 0xffffff89, v15
	v_cndmask_b32_e64 v133, v133, 0x77, vcc_lo
	s_delay_alu instid0(VALU_DEP_4) | instskip(NEXT) | instid1(VALU_DEP_3)
	v_cndmask_b32_e32 v132, v134, v132, vcc_lo
	v_cndmask_b32_e64 v15, v15, 0xffffff8a, vcc_lo
	s_delay_alu instid0(VALU_DEP_3) | instskip(NEXT) | instid1(VALU_DEP_3)
	v_lshl_add_u32 v134, 0x100000, v133, -1
	v_lshrrev_b32_e32 v135, v133, v132
	v_lshlrev_b32_e64 v145, v133, 0x80000
	s_delay_alu instid0(VALU_DEP_4) | instskip(NEXT) | instid1(VALU_DEP_4)
	v_add_nc_u32_e32 v133, v133, v15
	v_and_b32_e32 v132, v134, v132
	s_delay_alu instid0(VALU_DEP_4) | instskip(NEXT) | instid1(VALU_DEP_2)
	v_bfe_u32 v144, v135, 20, 1
	v_cmp_eq_u32_e64 s7, v132, v145
	s_delay_alu instid0(VALU_DEP_2) | instskip(NEXT) | instid1(VALU_DEP_1)
	v_add_nc_u32_e32 v134, -1, v144
	v_cndmask_b32_e64 v132, 0, v134, s7
	v_lshrrev_b32_e32 v134, 23, v135
	s_mov_b32 s7, exec_lo
	s_delay_alu instid0(VALU_DEP_2) | instskip(NEXT) | instid1(VALU_DEP_2)
	v_add_nc_u32_e32 v132, v132, v135
	v_xor_b32_e32 v134, 1, v134
	s_delay_alu instid0(VALU_DEP_2) | instskip(NEXT) | instid1(VALU_DEP_1)
	v_and_b32_e32 v15, 0xfffff, v132
	v_add_nc_u32_e32 v132, v15, v135
                                        ; implicit-def: $vgpr15
	s_delay_alu instid0(VALU_DEP_3)
	v_cmpx_ne_u32_e64 v133, v134
	s_xor_b32 s7, exec_lo, s7
; %bb.3992:                             ;   in Loop: Header=BB4_3272 Depth=2
	s_delay_alu instid0(VALU_DEP_2) | instskip(SKIP_2) | instid1(VALU_DEP_2)
	v_cmp_lt_u32_e32 vcc_lo, 0xffffff, v132
	v_sub_nc_u32_e32 v15, v133, v134
	v_cndmask_b32_e64 v133, 0, 1, vcc_lo
	v_add_co_ci_u32_e32 v15, vcc_lo, 0, v15, vcc_lo
	s_delay_alu instid0(VALU_DEP_2)
	v_lshrrev_b32_e32 v132, v133, v132
; %bb.3993:                             ;   in Loop: Header=BB4_3272 Depth=2
	s_and_not1_saveexec_b32 s7, s7
; %bb.3994:                             ;   in Loop: Header=BB4_3272 Depth=2
	s_delay_alu instid0(VALU_DEP_1)
	v_bfe_u32 v15, v132, 23, 1
; %bb.3995:                             ;   in Loop: Header=BB4_3272 Depth=2
	s_or_b32 exec_lo, exec_lo, s7
	v_lshrrev_b32_e32 v132, 20, v132
	s_delay_alu instid0(VALU_DEP_2) | instskip(SKIP_2) | instid1(VALU_DEP_2)
	v_cmp_gt_i32_e32 vcc_lo, 16, v15
	v_lshrrev_b32_e32 v131, 24, v131
	v_min_i32_e32 v133, 15, v15
	v_dual_cndmask_b32 v132, 7, v132 :: v_dual_and_b32 v131, 0x80, v131
	s_delay_alu instid0(VALU_DEP_2) | instskip(NEXT) | instid1(VALU_DEP_2)
	v_lshlrev_b32_e32 v133, 3, v133
	v_or_b32_e32 v15, v15, v132
	s_delay_alu instid0(VALU_DEP_1) | instskip(SKIP_1) | instid1(VALU_DEP_1)
	v_cmp_ne_u32_e32 vcc_lo, 0, v15
	v_and_b32_e32 v134, 7, v132
	v_or3_b32 v131, v133, v131, v134
	s_delay_alu instid0(VALU_DEP_1)
	v_cndmask_b32_e32 v15, 0, v131, vcc_lo
.LBB4_3996:                             ;   in Loop: Header=BB4_3272 Depth=2
	s_or_b32 exec_lo, exec_lo, s25
.LBB4_3997:                             ;   in Loop: Header=BB4_3272 Depth=2
	s_delay_alu instid0(SALU_CYCLE_1)
	s_or_b32 exec_lo, exec_lo, s24
	v_lshrrev_b16 v132, 8, v16
	v_lshrrev_b16 v131, 8, v12
	s_and_not1_b32 vcc_lo, exec_lo, s23
	s_cbranch_vccnz .LBB4_4007
; %bb.3998:                             ;   in Loop: Header=BB4_3272 Depth=2
	s_mov_b32 s7, 0
	s_mov_b32 s25, exec_lo
                                        ; implicit-def: $sgpr24
	v_cmpx_lt_i16_e64 0x7f, v132
	s_xor_b32 s25, exec_lo, s25
	s_cbranch_execnz .LBB4_4598
; %bb.3999:                             ;   in Loop: Header=BB4_3272 Depth=2
	s_or_saveexec_b32 s25, s25
	v_mov_b32_e32 v133, s24
	s_xor_b32 exec_lo, exec_lo, s25
	s_cbranch_execnz .LBB4_4601
.LBB4_4000:                             ;   in Loop: Header=BB4_3272 Depth=2
	s_or_b32 exec_lo, exec_lo, s25
	s_and_saveexec_b32 s24, s7
	s_cbranch_execz .LBB4_4002
.LBB4_4001:                             ;   in Loop: Header=BB4_3272 Depth=2
	v_and_b32_e32 v133, 0xffff, v132
	v_lshlrev_b32_e32 v145, 16, v16
	s_delay_alu instid0(VALU_DEP_2) | instskip(NEXT) | instid1(VALU_DEP_1)
	v_and_b32_e32 v134, 7, v133
	v_clz_i32_u32_e32 v135, v134
	s_delay_alu instid0(VALU_DEP_1) | instskip(NEXT) | instid1(VALU_DEP_1)
	v_min_u32_e32 v135, 32, v135
	v_subrev_nc_u32_e32 v144, 28, v135
	v_sub_nc_u32_e32 v135, 29, v135
	s_delay_alu instid0(VALU_DEP_2) | instskip(SKIP_1) | instid1(VALU_DEP_2)
	v_lshlrev_b32_e32 v144, v144, v133
	v_bfe_u32 v133, v133, 3, 4
	v_and_b32_e32 v144, 7, v144
	s_delay_alu instid0(VALU_DEP_2) | instskip(NEXT) | instid1(VALU_DEP_2)
	v_cmp_eq_u32_e32 vcc_lo, 0, v133
	v_dual_cndmask_b32 v133, v133, v135 :: v_dual_cndmask_b32 v134, v134, v144
	v_and_b32_e32 v135, 0x80000000, v145
	s_delay_alu instid0(VALU_DEP_2) | instskip(NEXT) | instid1(VALU_DEP_3)
	v_lshl_add_u32 v133, v133, 23, 0x3b800000
	v_lshlrev_b32_e32 v134, 20, v134
	s_delay_alu instid0(VALU_DEP_1)
	v_or3_b32 v133, v135, v133, v134
.LBB4_4002:                             ;   in Loop: Header=BB4_3272 Depth=2
	s_or_b32 exec_lo, exec_lo, s24
	s_mov_b32 s7, 0
	s_mov_b32 s25, exec_lo
                                        ; implicit-def: $sgpr24
	v_cmpx_lt_i16_e64 0x7f, v131
	s_xor_b32 s25, exec_lo, s25
	s_cbranch_execnz .LBB4_4602
; %bb.4003:                             ;   in Loop: Header=BB4_3272 Depth=2
	s_or_saveexec_b32 s25, s25
	v_mov_b32_e32 v134, s24
	s_xor_b32 exec_lo, exec_lo, s25
	s_cbranch_execnz .LBB4_4605
.LBB4_4004:                             ;   in Loop: Header=BB4_3272 Depth=2
	s_or_b32 exec_lo, exec_lo, s25
	s_and_saveexec_b32 s24, s7
	s_cbranch_execz .LBB4_4006
.LBB4_4005:                             ;   in Loop: Header=BB4_3272 Depth=2
	v_and_b32_e32 v134, 0xffff, v131
	v_lshlrev_b32_e32 v146, 16, v12
	s_delay_alu instid0(VALU_DEP_2) | instskip(NEXT) | instid1(VALU_DEP_1)
	v_and_b32_e32 v135, 7, v134
	v_clz_i32_u32_e32 v144, v135
	s_delay_alu instid0(VALU_DEP_1) | instskip(NEXT) | instid1(VALU_DEP_1)
	v_min_u32_e32 v144, 32, v144
	v_subrev_nc_u32_e32 v145, 28, v144
	v_sub_nc_u32_e32 v144, 29, v144
	s_delay_alu instid0(VALU_DEP_2) | instskip(SKIP_1) | instid1(VALU_DEP_2)
	v_lshlrev_b32_e32 v145, v145, v134
	v_bfe_u32 v134, v134, 3, 4
	v_and_b32_e32 v145, 7, v145
	s_delay_alu instid0(VALU_DEP_2) | instskip(NEXT) | instid1(VALU_DEP_2)
	v_cmp_eq_u32_e32 vcc_lo, 0, v134
	v_dual_cndmask_b32 v134, v134, v144 :: v_dual_cndmask_b32 v135, v135, v145
	v_and_b32_e32 v144, 0x80000000, v146
	s_delay_alu instid0(VALU_DEP_2) | instskip(NEXT) | instid1(VALU_DEP_3)
	v_lshl_add_u32 v134, v134, 23, 0x3b800000
	v_lshlrev_b32_e32 v135, 20, v135
	s_delay_alu instid0(VALU_DEP_1)
	v_or3_b32 v134, v144, v134, v135
.LBB4_4006:                             ;   in Loop: Header=BB4_3272 Depth=2
	s_or_b32 exec_lo, exec_lo, s24
	s_delay_alu instid0(VALU_DEP_1) | instskip(SKIP_1) | instid1(VALU_DEP_1)
	v_dual_max_f32 v134, v134, v134 :: v_dual_max_f32 v133, v133, v133
	s_mov_b32 s7, 0
	v_max_f32_e32 v133, v133, v134
	s_branch .LBB4_4008
.LBB4_4007:                             ;   in Loop: Header=BB4_3272 Depth=2
	s_mov_b32 s7, -1
                                        ; implicit-def: $vgpr133
.LBB4_4008:                             ;   in Loop: Header=BB4_3272 Depth=2
	s_delay_alu instid0(SALU_CYCLE_1)
	s_and_b32 vcc_lo, exec_lo, s7
	s_cbranch_vccz .LBB4_4018
; %bb.4009:                             ;   in Loop: Header=BB4_3272 Depth=2
	s_mov_b32 s7, 0
	s_mov_b32 s25, exec_lo
                                        ; implicit-def: $sgpr24
	v_cmpx_lt_i16_e64 0x7f, v132
	s_xor_b32 s25, exec_lo, s25
	s_cbranch_execnz .LBB4_4606
; %bb.4010:                             ;   in Loop: Header=BB4_3272 Depth=2
	s_or_saveexec_b32 s25, s25
	v_mov_b32_e32 v133, s24
	s_xor_b32 exec_lo, exec_lo, s25
	s_cbranch_execnz .LBB4_4609
.LBB4_4011:                             ;   in Loop: Header=BB4_3272 Depth=2
	s_or_b32 exec_lo, exec_lo, s25
	s_and_saveexec_b32 s24, s7
	s_cbranch_execz .LBB4_4013
.LBB4_4012:                             ;   in Loop: Header=BB4_3272 Depth=2
	v_and_b32_e32 v132, 0xffff, v132
	v_lshlrev_b32_e32 v144, 16, v16
	s_delay_alu instid0(VALU_DEP_2) | instskip(NEXT) | instid1(VALU_DEP_1)
	v_and_b32_e32 v133, 7, v132
	v_clz_i32_u32_e32 v134, v133
	s_delay_alu instid0(VALU_DEP_1) | instskip(NEXT) | instid1(VALU_DEP_1)
	v_min_u32_e32 v134, 32, v134
	v_subrev_nc_u32_e32 v135, 28, v134
	v_sub_nc_u32_e32 v134, 29, v134
	s_delay_alu instid0(VALU_DEP_2) | instskip(SKIP_1) | instid1(VALU_DEP_2)
	v_lshlrev_b32_e32 v135, v135, v132
	v_bfe_u32 v132, v132, 3, 4
	v_and_b32_e32 v135, 7, v135
	s_delay_alu instid0(VALU_DEP_2) | instskip(NEXT) | instid1(VALU_DEP_2)
	v_cmp_eq_u32_e32 vcc_lo, 0, v132
	v_dual_cndmask_b32 v132, v132, v134 :: v_dual_cndmask_b32 v133, v133, v135
	v_and_b32_e32 v134, 0x80000000, v144
	s_delay_alu instid0(VALU_DEP_2) | instskip(NEXT) | instid1(VALU_DEP_3)
	v_lshl_add_u32 v132, v132, 23, 0x3b800000
	v_lshlrev_b32_e32 v133, 20, v133
	s_delay_alu instid0(VALU_DEP_1)
	v_or3_b32 v133, v134, v132, v133
.LBB4_4013:                             ;   in Loop: Header=BB4_3272 Depth=2
	s_or_b32 exec_lo, exec_lo, s24
	s_mov_b32 s7, 0
	s_mov_b32 s25, exec_lo
                                        ; implicit-def: $sgpr24
	v_cmpx_lt_i16_e64 0x7f, v131
	s_xor_b32 s25, exec_lo, s25
	s_cbranch_execnz .LBB4_4610
; %bb.4014:                             ;   in Loop: Header=BB4_3272 Depth=2
	s_or_saveexec_b32 s25, s25
	v_mov_b32_e32 v132, s24
	s_xor_b32 exec_lo, exec_lo, s25
	s_cbranch_execnz .LBB4_4613
.LBB4_4015:                             ;   in Loop: Header=BB4_3272 Depth=2
	s_or_b32 exec_lo, exec_lo, s25
	s_and_saveexec_b32 s24, s7
	s_cbranch_execz .LBB4_4017
.LBB4_4016:                             ;   in Loop: Header=BB4_3272 Depth=2
	v_and_b32_e32 v131, 0xffff, v131
	v_lshlrev_b32_e32 v144, 16, v12
	s_delay_alu instid0(VALU_DEP_2) | instskip(NEXT) | instid1(VALU_DEP_1)
	v_and_b32_e32 v132, 7, v131
	v_clz_i32_u32_e32 v134, v132
	s_delay_alu instid0(VALU_DEP_1) | instskip(NEXT) | instid1(VALU_DEP_1)
	v_min_u32_e32 v134, 32, v134
	v_subrev_nc_u32_e32 v135, 28, v134
	v_sub_nc_u32_e32 v134, 29, v134
	s_delay_alu instid0(VALU_DEP_2) | instskip(SKIP_1) | instid1(VALU_DEP_2)
	v_lshlrev_b32_e32 v135, v135, v131
	v_bfe_u32 v131, v131, 3, 4
	v_and_b32_e32 v135, 7, v135
	s_delay_alu instid0(VALU_DEP_2) | instskip(NEXT) | instid1(VALU_DEP_2)
	v_cmp_eq_u32_e32 vcc_lo, 0, v131
	v_dual_cndmask_b32 v131, v131, v134 :: v_dual_cndmask_b32 v132, v132, v135
	v_and_b32_e32 v134, 0x80000000, v144
	s_delay_alu instid0(VALU_DEP_2) | instskip(NEXT) | instid1(VALU_DEP_3)
	v_lshl_add_u32 v131, v131, 23, 0x3b800000
	v_lshlrev_b32_e32 v132, 20, v132
	s_delay_alu instid0(VALU_DEP_1)
	v_or3_b32 v132, v134, v131, v132
.LBB4_4017:                             ;   in Loop: Header=BB4_3272 Depth=2
	s_or_b32 exec_lo, exec_lo, s24
	s_delay_alu instid0(VALU_DEP_1) | instskip(NEXT) | instid1(VALU_DEP_1)
	v_dual_max_f32 v131, v132, v132 :: v_dual_max_f32 v132, v133, v133
	v_min_f32_e32 v133, v132, v131
.LBB4_4018:                             ;   in Loop: Header=BB4_3272 Depth=2
	s_delay_alu instid0(VALU_DEP_1) | instskip(NEXT) | instid1(VALU_DEP_1)
	v_and_b32_e32 v131, 0x7f800000, v133
	v_cmp_ne_u32_e32 vcc_lo, 0x7f800000, v131
	v_mov_b32_e32 v131, 0x80
	s_and_saveexec_b32 s24, vcc_lo
	s_cbranch_execz .LBB4_4026
; %bb.4019:                             ;   in Loop: Header=BB4_3272 Depth=2
	v_mov_b32_e32 v131, 0
	s_mov_b32 s25, exec_lo
	v_cmpx_ne_u32_e32 0, v133
	s_cbranch_execz .LBB4_4025
; %bb.4020:                             ;   in Loop: Header=BB4_3272 Depth=2
	v_bfe_u32 v131, v133, 23, 8
	v_and_b32_e32 v132, 0x7fffff, v133
	s_delay_alu instid0(VALU_DEP_2) | instskip(SKIP_1) | instid1(VALU_DEP_3)
	v_sub_nc_u32_e32 v134, 0x78, v131
	v_cmp_gt_u32_e32 vcc_lo, 0x79, v131
	v_or_b32_e32 v135, 0x800000, v132
	s_delay_alu instid0(VALU_DEP_3) | instskip(SKIP_2) | instid1(VALU_DEP_3)
	v_cndmask_b32_e32 v134, 0, v134, vcc_lo
	v_cmp_eq_u32_e32 vcc_lo, 0, v131
	v_add_nc_u32_e32 v131, 0xffffff89, v131
	v_cndmask_b32_e64 v134, v134, 0x77, vcc_lo
	v_cndmask_b32_e32 v132, v135, v132, vcc_lo
	s_delay_alu instid0(VALU_DEP_3) | instskip(NEXT) | instid1(VALU_DEP_3)
	v_cndmask_b32_e64 v131, v131, 0xffffff8a, vcc_lo
	v_lshl_add_u32 v135, 0x100000, v134, -1
	s_delay_alu instid0(VALU_DEP_3) | instskip(SKIP_1) | instid1(VALU_DEP_4)
	v_lshrrev_b32_e32 v144, v134, v132
	v_lshlrev_b32_e64 v146, v134, 0x80000
	v_add_nc_u32_e32 v134, v134, v131
	s_delay_alu instid0(VALU_DEP_4) | instskip(NEXT) | instid1(VALU_DEP_4)
	v_and_b32_e32 v132, v135, v132
	v_bfe_u32 v145, v144, 20, 1
	s_delay_alu instid0(VALU_DEP_2) | instskip(NEXT) | instid1(VALU_DEP_2)
	v_cmp_eq_u32_e64 s7, v132, v146
	v_add_nc_u32_e32 v135, -1, v145
	s_delay_alu instid0(VALU_DEP_1) | instskip(SKIP_2) | instid1(VALU_DEP_2)
	v_cndmask_b32_e64 v132, 0, v135, s7
	v_lshrrev_b32_e32 v135, 23, v144
	s_mov_b32 s7, exec_lo
	v_add_nc_u32_e32 v132, v132, v144
	s_delay_alu instid0(VALU_DEP_2) | instskip(NEXT) | instid1(VALU_DEP_2)
	v_xor_b32_e32 v135, 1, v135
	v_and_b32_e32 v131, 0xfffff, v132
	s_delay_alu instid0(VALU_DEP_1) | instskip(NEXT) | instid1(VALU_DEP_3)
	v_add_nc_u32_e32 v132, v131, v144
                                        ; implicit-def: $vgpr131
	v_cmpx_ne_u32_e64 v134, v135
	s_xor_b32 s7, exec_lo, s7
; %bb.4021:                             ;   in Loop: Header=BB4_3272 Depth=2
	s_delay_alu instid0(VALU_DEP_2) | instskip(SKIP_2) | instid1(VALU_DEP_2)
	v_cmp_lt_u32_e32 vcc_lo, 0xffffff, v132
	v_sub_nc_u32_e32 v131, v134, v135
	v_cndmask_b32_e64 v134, 0, 1, vcc_lo
	v_add_co_ci_u32_e32 v131, vcc_lo, 0, v131, vcc_lo
	s_delay_alu instid0(VALU_DEP_2)
	v_lshrrev_b32_e32 v132, v134, v132
; %bb.4022:                             ;   in Loop: Header=BB4_3272 Depth=2
	s_and_not1_saveexec_b32 s7, s7
; %bb.4023:                             ;   in Loop: Header=BB4_3272 Depth=2
	s_delay_alu instid0(VALU_DEP_1)
	v_bfe_u32 v131, v132, 23, 1
; %bb.4024:                             ;   in Loop: Header=BB4_3272 Depth=2
	s_or_b32 exec_lo, exec_lo, s7
	v_lshrrev_b32_e32 v132, 20, v132
	s_delay_alu instid0(VALU_DEP_2) | instskip(SKIP_2) | instid1(VALU_DEP_2)
	v_cmp_gt_i32_e32 vcc_lo, 16, v131
	v_lshrrev_b32_e32 v133, 24, v133
	v_min_i32_e32 v134, 15, v131
	v_dual_cndmask_b32 v132, 7, v132 :: v_dual_and_b32 v133, 0x80, v133
	s_delay_alu instid0(VALU_DEP_1) | instskip(SKIP_1) | instid1(VALU_DEP_2)
	v_or_b32_e32 v131, v131, v132
	v_and_b32_e32 v135, 7, v132
	v_cmp_ne_u32_e32 vcc_lo, 0, v131
	v_lshlrev_b32_e32 v134, 3, v134
	s_delay_alu instid0(VALU_DEP_1) | instskip(NEXT) | instid1(VALU_DEP_1)
	v_or3_b32 v132, v134, v133, v135
	v_cndmask_b32_e32 v131, 0, v132, vcc_lo
.LBB4_4025:                             ;   in Loop: Header=BB4_3272 Depth=2
	s_or_b32 exec_lo, exec_lo, s25
.LBB4_4026:                             ;   in Loop: Header=BB4_3272 Depth=2
	s_delay_alu instid0(SALU_CYCLE_1)
	s_or_b32 exec_lo, exec_lo, s24
	v_lshrrev_b32_e32 v133, 16, v16
	v_lshrrev_b32_e32 v132, 16, v12
	s_and_not1_b32 vcc_lo, exec_lo, s23
	s_cbranch_vccnz .LBB4_4036
; %bb.4027:                             ;   in Loop: Header=BB4_3272 Depth=2
	s_delay_alu instid0(VALU_DEP_2) | instskip(SKIP_2) | instid1(VALU_DEP_1)
	v_and_b32_e32 v135, 0xff, v133
	s_mov_b32 s7, 0
	s_mov_b32 s25, exec_lo
                                        ; implicit-def: $sgpr24
	v_cmpx_lt_i16_e64 0x7f, v135
	s_xor_b32 s25, exec_lo, s25
	s_cbranch_execnz .LBB4_4614
; %bb.4028:                             ;   in Loop: Header=BB4_3272 Depth=2
	s_or_saveexec_b32 s25, s25
	v_mov_b32_e32 v134, s24
	s_xor_b32 exec_lo, exec_lo, s25
	s_cbranch_execnz .LBB4_4617
.LBB4_4029:                             ;   in Loop: Header=BB4_3272 Depth=2
	s_or_b32 exec_lo, exec_lo, s25
	s_and_saveexec_b32 s24, s7
	s_cbranch_execz .LBB4_4031
.LBB4_4030:                             ;   in Loop: Header=BB4_3272 Depth=2
	v_bfe_u32 v134, v16, 16, 3
	v_bfe_u32 v145, v16, 19, 4
	v_lshlrev_b32_e32 v146, 24, v133
	s_delay_alu instid0(VALU_DEP_3) | instskip(NEXT) | instid1(VALU_DEP_3)
	v_clz_i32_u32_e32 v135, v134
	v_cmp_eq_u32_e32 vcc_lo, 0, v145
	s_delay_alu instid0(VALU_DEP_2) | instskip(NEXT) | instid1(VALU_DEP_1)
	v_min_u32_e32 v135, 32, v135
	v_subrev_nc_u32_e32 v144, 28, v135
	v_sub_nc_u32_e32 v135, 29, v135
	s_delay_alu instid0(VALU_DEP_1) | instskip(NEXT) | instid1(VALU_DEP_1)
	v_dual_cndmask_b32 v135, v145, v135 :: v_dual_lshlrev_b32 v144, v144, v133
	v_and_b32_e32 v144, 7, v144
	s_delay_alu instid0(VALU_DEP_2) | instskip(NEXT) | instid1(VALU_DEP_2)
	v_lshl_add_u32 v135, v135, 23, 0x3b800000
	v_cndmask_b32_e32 v134, v134, v144, vcc_lo
	v_and_b32_e32 v144, 0x80000000, v146
	s_delay_alu instid0(VALU_DEP_2) | instskip(NEXT) | instid1(VALU_DEP_1)
	v_lshlrev_b32_e32 v134, 20, v134
	v_or3_b32 v134, v144, v135, v134
.LBB4_4031:                             ;   in Loop: Header=BB4_3272 Depth=2
	s_or_b32 exec_lo, exec_lo, s24
	v_and_b32_e32 v144, 0xff, v132
	s_mov_b32 s7, 0
	s_mov_b32 s25, exec_lo
                                        ; implicit-def: $sgpr24
	s_delay_alu instid0(VALU_DEP_1)
	v_cmpx_lt_i16_e64 0x7f, v144
	s_xor_b32 s25, exec_lo, s25
	s_cbranch_execnz .LBB4_4618
; %bb.4032:                             ;   in Loop: Header=BB4_3272 Depth=2
	s_or_saveexec_b32 s25, s25
	v_mov_b32_e32 v135, s24
	s_xor_b32 exec_lo, exec_lo, s25
	s_cbranch_execnz .LBB4_4621
.LBB4_4033:                             ;   in Loop: Header=BB4_3272 Depth=2
	s_or_b32 exec_lo, exec_lo, s25
	s_and_saveexec_b32 s24, s7
	s_cbranch_execz .LBB4_4035
.LBB4_4034:                             ;   in Loop: Header=BB4_3272 Depth=2
	v_bfe_u32 v135, v12, 16, 3
	v_bfe_u32 v146, v12, 19, 4
	v_lshlrev_b32_e32 v147, 24, v132
	s_delay_alu instid0(VALU_DEP_3) | instskip(NEXT) | instid1(VALU_DEP_3)
	v_clz_i32_u32_e32 v144, v135
	v_cmp_eq_u32_e32 vcc_lo, 0, v146
	s_delay_alu instid0(VALU_DEP_2) | instskip(NEXT) | instid1(VALU_DEP_1)
	v_min_u32_e32 v144, 32, v144
	v_subrev_nc_u32_e32 v145, 28, v144
	v_sub_nc_u32_e32 v144, 29, v144
	s_delay_alu instid0(VALU_DEP_2) | instskip(NEXT) | instid1(VALU_DEP_1)
	v_lshlrev_b32_e32 v145, v145, v132
	v_dual_cndmask_b32 v144, v146, v144 :: v_dual_and_b32 v145, 7, v145
	s_delay_alu instid0(VALU_DEP_1) | instskip(NEXT) | instid1(VALU_DEP_2)
	v_lshl_add_u32 v144, v144, 23, 0x3b800000
	v_cndmask_b32_e32 v135, v135, v145, vcc_lo
	v_and_b32_e32 v145, 0x80000000, v147
	s_delay_alu instid0(VALU_DEP_2) | instskip(NEXT) | instid1(VALU_DEP_1)
	v_lshlrev_b32_e32 v135, 20, v135
	v_or3_b32 v135, v145, v144, v135
.LBB4_4035:                             ;   in Loop: Header=BB4_3272 Depth=2
	s_or_b32 exec_lo, exec_lo, s24
	s_delay_alu instid0(VALU_DEP_1) | instskip(SKIP_1) | instid1(VALU_DEP_1)
	v_dual_max_f32 v135, v135, v135 :: v_dual_max_f32 v134, v134, v134
	s_mov_b32 s7, 0
	v_max_f32_e32 v134, v134, v135
	s_branch .LBB4_4037
.LBB4_4036:                             ;   in Loop: Header=BB4_3272 Depth=2
	s_mov_b32 s7, -1
                                        ; implicit-def: $vgpr134
.LBB4_4037:                             ;   in Loop: Header=BB4_3272 Depth=2
	s_delay_alu instid0(SALU_CYCLE_1)
	s_and_b32 vcc_lo, exec_lo, s7
	s_cbranch_vccz .LBB4_4047
; %bb.4038:                             ;   in Loop: Header=BB4_3272 Depth=2
	v_and_b32_e32 v135, 0xff, v133
	s_mov_b32 s7, 0
	s_mov_b32 s25, exec_lo
                                        ; implicit-def: $sgpr24
	s_delay_alu instid0(VALU_DEP_1)
	v_cmpx_lt_i16_e64 0x7f, v135
	s_xor_b32 s25, exec_lo, s25
	s_cbranch_execnz .LBB4_4622
; %bb.4039:                             ;   in Loop: Header=BB4_3272 Depth=2
	s_or_saveexec_b32 s25, s25
	v_mov_b32_e32 v134, s24
	s_xor_b32 exec_lo, exec_lo, s25
	s_cbranch_execnz .LBB4_4625
.LBB4_4040:                             ;   in Loop: Header=BB4_3272 Depth=2
	s_or_b32 exec_lo, exec_lo, s25
	s_and_saveexec_b32 s24, s7
	s_cbranch_execz .LBB4_4042
.LBB4_4041:                             ;   in Loop: Header=BB4_3272 Depth=2
	v_bfe_u32 v134, v16, 16, 3
	v_bfe_u32 v145, v16, 19, 4
	s_delay_alu instid0(VALU_DEP_2) | instskip(NEXT) | instid1(VALU_DEP_2)
	v_clz_i32_u32_e32 v135, v134
	v_cmp_eq_u32_e32 vcc_lo, 0, v145
	s_delay_alu instid0(VALU_DEP_2) | instskip(NEXT) | instid1(VALU_DEP_1)
	v_min_u32_e32 v135, 32, v135
	v_subrev_nc_u32_e32 v144, 28, v135
	v_sub_nc_u32_e32 v135, 29, v135
	s_delay_alu instid0(VALU_DEP_1) | instskip(NEXT) | instid1(VALU_DEP_1)
	v_dual_cndmask_b32 v135, v145, v135 :: v_dual_lshlrev_b32 v144, v144, v133
	v_and_b32_e32 v144, 7, v144
	v_lshlrev_b32_e32 v133, 24, v133
	s_delay_alu instid0(VALU_DEP_3) | instskip(NEXT) | instid1(VALU_DEP_2)
	v_lshl_add_u32 v135, v135, 23, 0x3b800000
	v_dual_cndmask_b32 v134, v134, v144 :: v_dual_and_b32 v133, 0x80000000, v133
	s_delay_alu instid0(VALU_DEP_1) | instskip(NEXT) | instid1(VALU_DEP_1)
	v_lshlrev_b32_e32 v134, 20, v134
	v_or3_b32 v134, v133, v135, v134
.LBB4_4042:                             ;   in Loop: Header=BB4_3272 Depth=2
	s_or_b32 exec_lo, exec_lo, s24
	v_and_b32_e32 v135, 0xff, v132
	s_mov_b32 s7, 0
	s_mov_b32 s25, exec_lo
                                        ; implicit-def: $sgpr24
	s_delay_alu instid0(VALU_DEP_1)
	v_cmpx_lt_i16_e64 0x7f, v135
	s_xor_b32 s25, exec_lo, s25
	s_cbranch_execnz .LBB4_4626
; %bb.4043:                             ;   in Loop: Header=BB4_3272 Depth=2
	s_or_saveexec_b32 s25, s25
	v_mov_b32_e32 v133, s24
	s_xor_b32 exec_lo, exec_lo, s25
	s_cbranch_execnz .LBB4_4629
.LBB4_4044:                             ;   in Loop: Header=BB4_3272 Depth=2
	s_or_b32 exec_lo, exec_lo, s25
	s_and_saveexec_b32 s24, s7
	s_cbranch_execz .LBB4_4046
.LBB4_4045:                             ;   in Loop: Header=BB4_3272 Depth=2
	v_bfe_u32 v133, v12, 16, 3
	v_bfe_u32 v145, v12, 19, 4
	s_delay_alu instid0(VALU_DEP_2) | instskip(NEXT) | instid1(VALU_DEP_2)
	v_clz_i32_u32_e32 v135, v133
	v_cmp_eq_u32_e32 vcc_lo, 0, v145
	s_delay_alu instid0(VALU_DEP_2) | instskip(NEXT) | instid1(VALU_DEP_1)
	v_min_u32_e32 v135, 32, v135
	v_subrev_nc_u32_e32 v144, 28, v135
	v_sub_nc_u32_e32 v135, 29, v135
	s_delay_alu instid0(VALU_DEP_1) | instskip(SKIP_1) | instid1(VALU_DEP_2)
	v_dual_cndmask_b32 v135, v145, v135 :: v_dual_lshlrev_b32 v144, v144, v132
	v_lshlrev_b32_e32 v132, 24, v132
	v_and_b32_e32 v144, 7, v144
	s_delay_alu instid0(VALU_DEP_3) | instskip(NEXT) | instid1(VALU_DEP_3)
	v_lshl_add_u32 v135, v135, 23, 0x3b800000
	v_and_b32_e32 v132, 0x80000000, v132
	s_delay_alu instid0(VALU_DEP_3) | instskip(NEXT) | instid1(VALU_DEP_1)
	v_cndmask_b32_e32 v133, v133, v144, vcc_lo
	v_lshlrev_b32_e32 v133, 20, v133
	s_delay_alu instid0(VALU_DEP_1)
	v_or3_b32 v133, v132, v135, v133
.LBB4_4046:                             ;   in Loop: Header=BB4_3272 Depth=2
	s_or_b32 exec_lo, exec_lo, s24
	s_delay_alu instid0(VALU_DEP_1) | instskip(NEXT) | instid1(VALU_DEP_1)
	v_dual_max_f32 v132, v133, v133 :: v_dual_max_f32 v133, v134, v134
	v_min_f32_e32 v134, v133, v132
.LBB4_4047:                             ;   in Loop: Header=BB4_3272 Depth=2
	s_delay_alu instid0(VALU_DEP_1) | instskip(NEXT) | instid1(VALU_DEP_1)
	v_and_b32_e32 v132, 0x7f800000, v134
	v_cmp_ne_u32_e32 vcc_lo, 0x7f800000, v132
	v_mov_b32_e32 v132, 0x80
	s_and_saveexec_b32 s24, vcc_lo
	s_cbranch_execz .LBB4_4055
; %bb.4048:                             ;   in Loop: Header=BB4_3272 Depth=2
	v_mov_b32_e32 v132, 0
	s_mov_b32 s25, exec_lo
	v_cmpx_ne_u32_e32 0, v134
	s_cbranch_execz .LBB4_4054
; %bb.4049:                             ;   in Loop: Header=BB4_3272 Depth=2
	v_bfe_u32 v132, v134, 23, 8
	v_and_b32_e32 v133, 0x7fffff, v134
	s_delay_alu instid0(VALU_DEP_2) | instskip(SKIP_1) | instid1(VALU_DEP_3)
	v_sub_nc_u32_e32 v135, 0x78, v132
	v_cmp_gt_u32_e32 vcc_lo, 0x79, v132
	v_or_b32_e32 v144, 0x800000, v133
	s_delay_alu instid0(VALU_DEP_3) | instskip(SKIP_2) | instid1(VALU_DEP_3)
	v_cndmask_b32_e32 v135, 0, v135, vcc_lo
	v_cmp_eq_u32_e32 vcc_lo, 0, v132
	v_add_nc_u32_e32 v132, 0xffffff89, v132
	v_cndmask_b32_e64 v135, v135, 0x77, vcc_lo
	v_cndmask_b32_e32 v133, v144, v133, vcc_lo
	s_delay_alu instid0(VALU_DEP_3) | instskip(NEXT) | instid1(VALU_DEP_3)
	v_cndmask_b32_e64 v132, v132, 0xffffff8a, vcc_lo
	v_lshl_add_u32 v144, 0x100000, v135, -1
	s_delay_alu instid0(VALU_DEP_3) | instskip(SKIP_1) | instid1(VALU_DEP_4)
	v_lshrrev_b32_e32 v145, v135, v133
	v_lshlrev_b32_e64 v147, v135, 0x80000
	v_add_nc_u32_e32 v135, v135, v132
	s_delay_alu instid0(VALU_DEP_4) | instskip(NEXT) | instid1(VALU_DEP_4)
	v_and_b32_e32 v133, v144, v133
	v_bfe_u32 v146, v145, 20, 1
	s_delay_alu instid0(VALU_DEP_2) | instskip(NEXT) | instid1(VALU_DEP_2)
	v_cmp_eq_u32_e64 s7, v133, v147
	v_add_nc_u32_e32 v144, -1, v146
	s_delay_alu instid0(VALU_DEP_1) | instskip(SKIP_2) | instid1(VALU_DEP_2)
	v_cndmask_b32_e64 v133, 0, v144, s7
	v_lshrrev_b32_e32 v144, 23, v145
	s_mov_b32 s7, exec_lo
	v_add_nc_u32_e32 v133, v133, v145
	s_delay_alu instid0(VALU_DEP_2) | instskip(NEXT) | instid1(VALU_DEP_2)
	v_xor_b32_e32 v144, 1, v144
	v_and_b32_e32 v132, 0xfffff, v133
	s_delay_alu instid0(VALU_DEP_1) | instskip(NEXT) | instid1(VALU_DEP_3)
	v_add_nc_u32_e32 v133, v132, v145
                                        ; implicit-def: $vgpr132
	v_cmpx_ne_u32_e64 v135, v144
	s_xor_b32 s7, exec_lo, s7
; %bb.4050:                             ;   in Loop: Header=BB4_3272 Depth=2
	s_delay_alu instid0(VALU_DEP_2) | instskip(SKIP_2) | instid1(VALU_DEP_2)
	v_cmp_lt_u32_e32 vcc_lo, 0xffffff, v133
	v_sub_nc_u32_e32 v132, v135, v144
	v_cndmask_b32_e64 v135, 0, 1, vcc_lo
	v_add_co_ci_u32_e32 v132, vcc_lo, 0, v132, vcc_lo
	s_delay_alu instid0(VALU_DEP_2)
	v_lshrrev_b32_e32 v133, v135, v133
; %bb.4051:                             ;   in Loop: Header=BB4_3272 Depth=2
	s_and_not1_saveexec_b32 s7, s7
; %bb.4052:                             ;   in Loop: Header=BB4_3272 Depth=2
	s_delay_alu instid0(VALU_DEP_1)
	v_bfe_u32 v132, v133, 23, 1
; %bb.4053:                             ;   in Loop: Header=BB4_3272 Depth=2
	s_or_b32 exec_lo, exec_lo, s7
	v_lshrrev_b32_e32 v133, 20, v133
	s_delay_alu instid0(VALU_DEP_2) | instskip(SKIP_2) | instid1(VALU_DEP_2)
	v_cmp_gt_i32_e32 vcc_lo, 16, v132
	v_lshrrev_b32_e32 v134, 24, v134
	v_min_i32_e32 v135, 15, v132
	v_dual_cndmask_b32 v133, 7, v133 :: v_dual_and_b32 v134, 0x80, v134
	s_delay_alu instid0(VALU_DEP_1) | instskip(SKIP_1) | instid1(VALU_DEP_2)
	v_or_b32_e32 v132, v132, v133
	v_and_b32_e32 v144, 7, v133
	v_cmp_ne_u32_e32 vcc_lo, 0, v132
	v_lshlrev_b32_e32 v135, 3, v135
	s_delay_alu instid0(VALU_DEP_1) | instskip(NEXT) | instid1(VALU_DEP_1)
	v_or3_b32 v133, v135, v134, v144
	v_cndmask_b32_e32 v132, 0, v133, vcc_lo
.LBB4_4054:                             ;   in Loop: Header=BB4_3272 Depth=2
	s_or_b32 exec_lo, exec_lo, s25
.LBB4_4055:                             ;   in Loop: Header=BB4_3272 Depth=2
	s_delay_alu instid0(SALU_CYCLE_1)
	s_or_b32 exec_lo, exec_lo, s24
	v_lshrrev_b32_e32 v134, 24, v16
	v_lshrrev_b32_e32 v133, 24, v12
	s_and_not1_b32 vcc_lo, exec_lo, s23
	s_cbranch_vccnz .LBB4_4065
; %bb.4056:                             ;   in Loop: Header=BB4_3272 Depth=2
	s_mov_b32 s7, 0
	s_mov_b32 s25, exec_lo
                                        ; implicit-def: $sgpr24
	v_cmpx_lt_i16_e64 0x7f, v134
	s_xor_b32 s25, exec_lo, s25
	s_cbranch_execnz .LBB4_4630
; %bb.4057:                             ;   in Loop: Header=BB4_3272 Depth=2
	s_or_saveexec_b32 s25, s25
	v_mov_b32_e32 v135, s24
	s_xor_b32 exec_lo, exec_lo, s25
	s_cbranch_execnz .LBB4_4633
.LBB4_4058:                             ;   in Loop: Header=BB4_3272 Depth=2
	s_or_b32 exec_lo, exec_lo, s25
	s_and_saveexec_b32 s24, s7
	s_cbranch_execz .LBB4_4060
.LBB4_4059:                             ;   in Loop: Header=BB4_3272 Depth=2
	v_bfe_u32 v135, v16, 24, 3
	v_bfe_u32 v146, v16, 27, 4
	s_delay_alu instid0(VALU_DEP_2) | instskip(NEXT) | instid1(VALU_DEP_2)
	v_clz_i32_u32_e32 v144, v135
	v_cmp_eq_u32_e32 vcc_lo, 0, v146
	s_delay_alu instid0(VALU_DEP_2) | instskip(NEXT) | instid1(VALU_DEP_1)
	v_min_u32_e32 v144, 32, v144
	v_subrev_nc_u32_e32 v145, 28, v144
	v_sub_nc_u32_e32 v144, 29, v144
	s_delay_alu instid0(VALU_DEP_1) | instskip(NEXT) | instid1(VALU_DEP_1)
	v_dual_cndmask_b32 v144, v146, v144 :: v_dual_lshlrev_b32 v145, v145, v134
	v_and_b32_e32 v145, 7, v145
	s_delay_alu instid0(VALU_DEP_2) | instskip(NEXT) | instid1(VALU_DEP_2)
	v_lshl_add_u32 v144, v144, 23, 0x3b800000
	v_cndmask_b32_e32 v135, v135, v145, vcc_lo
	v_and_b32_e32 v145, 0x80000000, v16
	s_delay_alu instid0(VALU_DEP_2) | instskip(NEXT) | instid1(VALU_DEP_1)
	v_lshlrev_b32_e32 v135, 20, v135
	v_or3_b32 v135, v145, v144, v135
.LBB4_4060:                             ;   in Loop: Header=BB4_3272 Depth=2
	s_or_b32 exec_lo, exec_lo, s24
	s_mov_b32 s7, 0
	s_mov_b32 s25, exec_lo
                                        ; implicit-def: $sgpr24
	v_cmpx_lt_i16_e64 0x7f, v133
	s_xor_b32 s25, exec_lo, s25
	s_cbranch_execnz .LBB4_4634
; %bb.4061:                             ;   in Loop: Header=BB4_3272 Depth=2
	s_or_saveexec_b32 s25, s25
	v_mov_b32_e32 v144, s24
	s_xor_b32 exec_lo, exec_lo, s25
	s_cbranch_execnz .LBB4_4637
.LBB4_4062:                             ;   in Loop: Header=BB4_3272 Depth=2
	s_or_b32 exec_lo, exec_lo, s25
	s_and_saveexec_b32 s24, s7
	s_cbranch_execz .LBB4_4064
.LBB4_4063:                             ;   in Loop: Header=BB4_3272 Depth=2
	v_bfe_u32 v144, v12, 24, 3
	v_bfe_u32 v147, v12, 27, 4
	s_delay_alu instid0(VALU_DEP_2) | instskip(NEXT) | instid1(VALU_DEP_2)
	v_clz_i32_u32_e32 v145, v144
	v_cmp_eq_u32_e32 vcc_lo, 0, v147
	s_delay_alu instid0(VALU_DEP_2) | instskip(NEXT) | instid1(VALU_DEP_1)
	v_min_u32_e32 v145, 32, v145
	v_subrev_nc_u32_e32 v146, 28, v145
	v_sub_nc_u32_e32 v145, 29, v145
	s_delay_alu instid0(VALU_DEP_2) | instskip(NEXT) | instid1(VALU_DEP_1)
	v_lshlrev_b32_e32 v146, v146, v133
	v_dual_cndmask_b32 v145, v147, v145 :: v_dual_and_b32 v146, 7, v146
	s_delay_alu instid0(VALU_DEP_1) | instskip(NEXT) | instid1(VALU_DEP_2)
	v_lshl_add_u32 v145, v145, 23, 0x3b800000
	v_cndmask_b32_e32 v144, v144, v146, vcc_lo
	v_and_b32_e32 v146, 0x80000000, v12
	s_delay_alu instid0(VALU_DEP_2) | instskip(NEXT) | instid1(VALU_DEP_1)
	v_lshlrev_b32_e32 v144, 20, v144
	v_or3_b32 v144, v146, v145, v144
.LBB4_4064:                             ;   in Loop: Header=BB4_3272 Depth=2
	s_or_b32 exec_lo, exec_lo, s24
	s_delay_alu instid0(VALU_DEP_1) | instskip(SKIP_1) | instid1(VALU_DEP_1)
	v_dual_max_f32 v144, v144, v144 :: v_dual_max_f32 v135, v135, v135
	s_mov_b32 s7, 0
	v_max_f32_e32 v135, v135, v144
	s_branch .LBB4_4066
.LBB4_4065:                             ;   in Loop: Header=BB4_3272 Depth=2
	s_mov_b32 s7, -1
                                        ; implicit-def: $vgpr135
.LBB4_4066:                             ;   in Loop: Header=BB4_3272 Depth=2
	s_delay_alu instid0(SALU_CYCLE_1)
	s_and_b32 vcc_lo, exec_lo, s7
	s_cbranch_vccz .LBB4_4076
; %bb.4067:                             ;   in Loop: Header=BB4_3272 Depth=2
	s_mov_b32 s7, 0
	s_mov_b32 s25, exec_lo
                                        ; implicit-def: $sgpr24
	v_cmpx_lt_i16_e64 0x7f, v134
	s_xor_b32 s25, exec_lo, s25
	s_cbranch_execnz .LBB4_4638
; %bb.4068:                             ;   in Loop: Header=BB4_3272 Depth=2
	s_or_saveexec_b32 s25, s25
	v_mov_b32_e32 v135, s24
	s_xor_b32 exec_lo, exec_lo, s25
	s_cbranch_execnz .LBB4_4641
.LBB4_4069:                             ;   in Loop: Header=BB4_3272 Depth=2
	s_or_b32 exec_lo, exec_lo, s25
	s_and_saveexec_b32 s24, s7
	s_cbranch_execz .LBB4_4071
.LBB4_4070:                             ;   in Loop: Header=BB4_3272 Depth=2
	v_bfe_u32 v135, v16, 24, 3
	s_delay_alu instid0(VALU_DEP_1) | instskip(NEXT) | instid1(VALU_DEP_1)
	v_clz_i32_u32_e32 v144, v135
	v_min_u32_e32 v144, 32, v144
	s_delay_alu instid0(VALU_DEP_1) | instskip(SKIP_1) | instid1(VALU_DEP_2)
	v_subrev_nc_u32_e32 v145, 28, v144
	v_sub_nc_u32_e32 v144, 29, v144
	v_lshlrev_b32_e32 v134, v145, v134
	v_bfe_u32 v145, v16, 27, 4
	v_and_b32_e32 v16, 0x80000000, v16
	s_delay_alu instid0(VALU_DEP_3) | instskip(NEXT) | instid1(VALU_DEP_3)
	v_and_b32_e32 v134, 7, v134
	v_cmp_eq_u32_e32 vcc_lo, 0, v145
	v_cndmask_b32_e32 v144, v145, v144, vcc_lo
	s_delay_alu instid0(VALU_DEP_3) | instskip(NEXT) | instid1(VALU_DEP_2)
	v_cndmask_b32_e32 v134, v135, v134, vcc_lo
	v_lshl_add_u32 v135, v144, 23, 0x3b800000
	s_delay_alu instid0(VALU_DEP_2) | instskip(NEXT) | instid1(VALU_DEP_1)
	v_lshlrev_b32_e32 v134, 20, v134
	v_or3_b32 v135, v16, v135, v134
.LBB4_4071:                             ;   in Loop: Header=BB4_3272 Depth=2
	s_or_b32 exec_lo, exec_lo, s24
	s_mov_b32 s7, 0
	s_mov_b32 s25, exec_lo
                                        ; implicit-def: $sgpr24
	v_cmpx_lt_i16_e64 0x7f, v133
	s_xor_b32 s25, exec_lo, s25
	s_cbranch_execnz .LBB4_4642
; %bb.4072:                             ;   in Loop: Header=BB4_3272 Depth=2
	s_or_saveexec_b32 s25, s25
	v_mov_b32_e32 v16, s24
	s_xor_b32 exec_lo, exec_lo, s25
	s_cbranch_execnz .LBB4_4645
.LBB4_4073:                             ;   in Loop: Header=BB4_3272 Depth=2
	s_or_b32 exec_lo, exec_lo, s25
	s_and_saveexec_b32 s24, s7
	s_cbranch_execz .LBB4_4075
.LBB4_4074:                             ;   in Loop: Header=BB4_3272 Depth=2
	v_bfe_u32 v16, v12, 24, 3
	s_delay_alu instid0(VALU_DEP_1) | instskip(NEXT) | instid1(VALU_DEP_1)
	v_clz_i32_u32_e32 v134, v16
	v_min_u32_e32 v134, 32, v134
	s_delay_alu instid0(VALU_DEP_1) | instskip(SKIP_1) | instid1(VALU_DEP_2)
	v_subrev_nc_u32_e32 v144, 28, v134
	v_sub_nc_u32_e32 v134, 29, v134
	v_lshlrev_b32_e32 v133, v144, v133
	v_bfe_u32 v144, v12, 27, 4
	v_and_b32_e32 v12, 0x80000000, v12
	s_delay_alu instid0(VALU_DEP_2) | instskip(NEXT) | instid1(VALU_DEP_4)
	v_cmp_eq_u32_e32 vcc_lo, 0, v144
	v_dual_cndmask_b32 v134, v144, v134 :: v_dual_and_b32 v133, 7, v133
	s_delay_alu instid0(VALU_DEP_1) | instskip(NEXT) | instid1(VALU_DEP_2)
	v_cndmask_b32_e32 v16, v16, v133, vcc_lo
	v_lshl_add_u32 v133, v134, 23, 0x3b800000
	s_delay_alu instid0(VALU_DEP_2) | instskip(NEXT) | instid1(VALU_DEP_1)
	v_lshlrev_b32_e32 v16, 20, v16
	v_or3_b32 v16, v12, v133, v16
.LBB4_4075:                             ;   in Loop: Header=BB4_3272 Depth=2
	s_or_b32 exec_lo, exec_lo, s24
	s_delay_alu instid0(VALU_DEP_1) | instskip(SKIP_1) | instid1(VALU_DEP_1)
	v_max_f32_e32 v12, v16, v16
	v_max_f32_e32 v16, v135, v135
	v_min_f32_e32 v135, v16, v12
.LBB4_4076:                             ;   in Loop: Header=BB4_3272 Depth=2
	s_delay_alu instid0(VALU_DEP_1) | instskip(NEXT) | instid1(VALU_DEP_1)
	v_and_b32_e32 v12, 0x7f800000, v135
	v_cmp_ne_u32_e32 vcc_lo, 0x7f800000, v12
	v_mov_b32_e32 v12, 0x80
	s_and_saveexec_b32 s24, vcc_lo
	s_cbranch_execz .LBB4_4084
; %bb.4077:                             ;   in Loop: Header=BB4_3272 Depth=2
	v_mov_b32_e32 v12, 0
	s_mov_b32 s25, exec_lo
	v_cmpx_ne_u32_e32 0, v135
	s_cbranch_execz .LBB4_4083
; %bb.4078:                             ;   in Loop: Header=BB4_3272 Depth=2
	v_bfe_u32 v12, v135, 23, 8
	s_delay_alu instid0(VALU_DEP_1) | instskip(SKIP_1) | instid1(VALU_DEP_2)
	v_sub_nc_u32_e32 v133, 0x78, v12
	v_cmp_gt_u32_e32 vcc_lo, 0x79, v12
	v_dual_cndmask_b32 v133, 0, v133 :: v_dual_and_b32 v16, 0x7fffff, v135
	s_delay_alu instid0(VALU_DEP_1) | instskip(SKIP_2) | instid1(VALU_DEP_4)
	v_or_b32_e32 v134, 0x800000, v16
	v_cmp_eq_u32_e32 vcc_lo, 0, v12
	v_add_nc_u32_e32 v12, 0xffffff89, v12
	v_cndmask_b32_e64 v133, v133, 0x77, vcc_lo
	s_delay_alu instid0(VALU_DEP_4) | instskip(NEXT) | instid1(VALU_DEP_3)
	v_cndmask_b32_e32 v16, v134, v16, vcc_lo
	v_cndmask_b32_e64 v12, v12, 0xffffff8a, vcc_lo
	s_delay_alu instid0(VALU_DEP_3) | instskip(NEXT) | instid1(VALU_DEP_3)
	v_lshl_add_u32 v134, 0x100000, v133, -1
	v_lshrrev_b32_e32 v144, v133, v16
	v_lshlrev_b32_e64 v146, v133, 0x80000
	s_delay_alu instid0(VALU_DEP_4) | instskip(NEXT) | instid1(VALU_DEP_4)
	v_add_nc_u32_e32 v133, v133, v12
	v_and_b32_e32 v16, v134, v16
	s_delay_alu instid0(VALU_DEP_4) | instskip(NEXT) | instid1(VALU_DEP_2)
	v_bfe_u32 v145, v144, 20, 1
	v_cmp_eq_u32_e64 s7, v16, v146
	s_delay_alu instid0(VALU_DEP_2) | instskip(NEXT) | instid1(VALU_DEP_1)
	v_add_nc_u32_e32 v134, -1, v145
	v_cndmask_b32_e64 v16, 0, v134, s7
	v_lshrrev_b32_e32 v134, 23, v144
	s_mov_b32 s7, exec_lo
	s_delay_alu instid0(VALU_DEP_2) | instskip(NEXT) | instid1(VALU_DEP_2)
	v_add_nc_u32_e32 v16, v16, v144
	v_xor_b32_e32 v134, 1, v134
	s_delay_alu instid0(VALU_DEP_2) | instskip(NEXT) | instid1(VALU_DEP_1)
	v_and_b32_e32 v12, 0xfffff, v16
	v_add_nc_u32_e32 v16, v12, v144
                                        ; implicit-def: $vgpr12
	s_delay_alu instid0(VALU_DEP_3)
	v_cmpx_ne_u32_e64 v133, v134
	s_xor_b32 s7, exec_lo, s7
; %bb.4079:                             ;   in Loop: Header=BB4_3272 Depth=2
	s_delay_alu instid0(VALU_DEP_2) | instskip(SKIP_2) | instid1(VALU_DEP_2)
	v_cmp_lt_u32_e32 vcc_lo, 0xffffff, v16
	v_sub_nc_u32_e32 v12, v133, v134
	v_cndmask_b32_e64 v133, 0, 1, vcc_lo
	v_add_co_ci_u32_e32 v12, vcc_lo, 0, v12, vcc_lo
	s_delay_alu instid0(VALU_DEP_2)
	v_lshrrev_b32_e32 v16, v133, v16
; %bb.4080:                             ;   in Loop: Header=BB4_3272 Depth=2
	s_and_not1_saveexec_b32 s7, s7
; %bb.4081:                             ;   in Loop: Header=BB4_3272 Depth=2
	s_delay_alu instid0(VALU_DEP_1)
	v_bfe_u32 v12, v16, 23, 1
; %bb.4082:                             ;   in Loop: Header=BB4_3272 Depth=2
	s_or_b32 exec_lo, exec_lo, s7
	v_lshrrev_b32_e32 v16, 20, v16
	s_delay_alu instid0(VALU_DEP_2) | instskip(SKIP_2) | instid1(VALU_DEP_2)
	v_cmp_gt_i32_e32 vcc_lo, 16, v12
	v_lshrrev_b32_e32 v133, 24, v135
	v_min_i32_e32 v134, 15, v12
	v_dual_cndmask_b32 v16, 7, v16 :: v_dual_and_b32 v133, 0x80, v133
	s_delay_alu instid0(VALU_DEP_2) | instskip(NEXT) | instid1(VALU_DEP_2)
	v_lshlrev_b32_e32 v134, 3, v134
	v_and_b32_e32 v135, 7, v16
	v_or_b32_e32 v12, v12, v16
	s_delay_alu instid0(VALU_DEP_2) | instskip(NEXT) | instid1(VALU_DEP_2)
	v_or3_b32 v16, v134, v133, v135
	v_cmp_ne_u32_e32 vcc_lo, 0, v12
	s_delay_alu instid0(VALU_DEP_2)
	v_cndmask_b32_e32 v12, 0, v16, vcc_lo
.LBB4_4083:                             ;   in Loop: Header=BB4_3272 Depth=2
	s_or_b32 exec_lo, exec_lo, s25
.LBB4_4084:                             ;   in Loop: Header=BB4_3272 Depth=2
	s_delay_alu instid0(SALU_CYCLE_1) | instskip(NEXT) | instid1(SALU_CYCLE_1)
	s_or_b32 exec_lo, exec_lo, s24
	s_and_not1_b32 vcc_lo, exec_lo, s23
	s_cbranch_vccnz .LBB4_4094
; %bb.4085:                             ;   in Loop: Header=BB4_3272 Depth=2
	v_and_b32_e32 v133, 0xff, v17
	s_mov_b32 s7, 0
	s_mov_b32 s25, exec_lo
                                        ; implicit-def: $sgpr24
	s_delay_alu instid0(VALU_DEP_1)
	v_cmpx_lt_i16_e64 0x7f, v133
	s_xor_b32 s25, exec_lo, s25
	s_cbranch_execnz .LBB4_4646
; %bb.4086:                             ;   in Loop: Header=BB4_3272 Depth=2
	s_or_saveexec_b32 s25, s25
	v_mov_b32_e32 v16, s24
	s_xor_b32 exec_lo, exec_lo, s25
	s_cbranch_execnz .LBB4_4649
.LBB4_4087:                             ;   in Loop: Header=BB4_3272 Depth=2
	s_or_b32 exec_lo, exec_lo, s25
	s_and_saveexec_b32 s24, s7
	s_cbranch_execz .LBB4_4089
.LBB4_4088:                             ;   in Loop: Header=BB4_3272 Depth=2
	v_and_b32_e32 v16, 7, v17
	v_bfe_u32 v135, v17, 3, 4
	v_lshlrev_b32_e32 v144, 24, v17
	s_delay_alu instid0(VALU_DEP_3) | instskip(NEXT) | instid1(VALU_DEP_3)
	v_clz_i32_u32_e32 v133, v16
	v_cmp_eq_u32_e32 vcc_lo, 0, v135
	s_delay_alu instid0(VALU_DEP_2) | instskip(NEXT) | instid1(VALU_DEP_1)
	v_min_u32_e32 v133, 32, v133
	v_subrev_nc_u32_e32 v134, 28, v133
	v_sub_nc_u32_e32 v133, 29, v133
	s_delay_alu instid0(VALU_DEP_2) | instskip(NEXT) | instid1(VALU_DEP_1)
	v_lshlrev_b32_e32 v134, v134, v17
	v_dual_cndmask_b32 v133, v135, v133 :: v_dual_and_b32 v134, 7, v134
	s_delay_alu instid0(VALU_DEP_1) | instskip(NEXT) | instid1(VALU_DEP_2)
	v_lshl_add_u32 v133, v133, 23, 0x3b800000
	v_cndmask_b32_e32 v16, v16, v134, vcc_lo
	v_and_b32_e32 v134, 0x80000000, v144
	s_delay_alu instid0(VALU_DEP_2) | instskip(NEXT) | instid1(VALU_DEP_1)
	v_lshlrev_b32_e32 v16, 20, v16
	v_or3_b32 v16, v134, v133, v16
.LBB4_4089:                             ;   in Loop: Header=BB4_3272 Depth=2
	s_or_b32 exec_lo, exec_lo, s24
	v_and_b32_e32 v134, 0xff, v13
	s_mov_b32 s7, 0
	s_mov_b32 s25, exec_lo
                                        ; implicit-def: $sgpr24
	s_delay_alu instid0(VALU_DEP_1)
	v_cmpx_lt_i16_e64 0x7f, v134
	s_xor_b32 s25, exec_lo, s25
	s_cbranch_execnz .LBB4_4650
; %bb.4090:                             ;   in Loop: Header=BB4_3272 Depth=2
	s_or_saveexec_b32 s25, s25
	v_mov_b32_e32 v133, s24
	s_xor_b32 exec_lo, exec_lo, s25
	s_cbranch_execnz .LBB4_4653
.LBB4_4091:                             ;   in Loop: Header=BB4_3272 Depth=2
	s_or_b32 exec_lo, exec_lo, s25
	s_and_saveexec_b32 s24, s7
	s_cbranch_execz .LBB4_4093
.LBB4_4092:                             ;   in Loop: Header=BB4_3272 Depth=2
	v_bfe_u32 v144, v13, 3, 4
	v_lshlrev_b32_e32 v145, 24, v13
	s_delay_alu instid0(VALU_DEP_2) | instskip(SKIP_1) | instid1(VALU_DEP_1)
	v_cmp_eq_u32_e32 vcc_lo, 0, v144
	v_and_b32_e32 v133, 7, v13
	v_clz_i32_u32_e32 v134, v133
	s_delay_alu instid0(VALU_DEP_1) | instskip(NEXT) | instid1(VALU_DEP_1)
	v_min_u32_e32 v134, 32, v134
	v_subrev_nc_u32_e32 v135, 28, v134
	v_sub_nc_u32_e32 v134, 29, v134
	s_delay_alu instid0(VALU_DEP_1) | instskip(NEXT) | instid1(VALU_DEP_1)
	v_dual_cndmask_b32 v134, v144, v134 :: v_dual_lshlrev_b32 v135, v135, v13
	v_and_b32_e32 v135, 7, v135
	s_delay_alu instid0(VALU_DEP_2) | instskip(NEXT) | instid1(VALU_DEP_2)
	v_lshl_add_u32 v134, v134, 23, 0x3b800000
	v_cndmask_b32_e32 v133, v133, v135, vcc_lo
	v_and_b32_e32 v135, 0x80000000, v145
	s_delay_alu instid0(VALU_DEP_2) | instskip(NEXT) | instid1(VALU_DEP_1)
	v_lshlrev_b32_e32 v133, 20, v133
	v_or3_b32 v133, v135, v134, v133
.LBB4_4093:                             ;   in Loop: Header=BB4_3272 Depth=2
	s_or_b32 exec_lo, exec_lo, s24
	s_delay_alu instid0(VALU_DEP_1) | instskip(SKIP_1) | instid1(VALU_DEP_1)
	v_dual_max_f32 v133, v133, v133 :: v_dual_max_f32 v16, v16, v16
	s_mov_b32 s7, 0
	v_max_f32_e32 v133, v16, v133
	s_branch .LBB4_4095
.LBB4_4094:                             ;   in Loop: Header=BB4_3272 Depth=2
	s_mov_b32 s7, -1
                                        ; implicit-def: $vgpr133
.LBB4_4095:                             ;   in Loop: Header=BB4_3272 Depth=2
	s_delay_alu instid0(SALU_CYCLE_1)
	s_and_b32 vcc_lo, exec_lo, s7
	s_cbranch_vccz .LBB4_4105
; %bb.4096:                             ;   in Loop: Header=BB4_3272 Depth=2
	v_and_b32_e32 v133, 0xff, v17
	s_mov_b32 s7, 0
	s_mov_b32 s25, exec_lo
                                        ; implicit-def: $sgpr24
	s_delay_alu instid0(VALU_DEP_1)
	v_cmpx_lt_i16_e64 0x7f, v133
	s_xor_b32 s25, exec_lo, s25
	s_cbranch_execnz .LBB4_4654
; %bb.4097:                             ;   in Loop: Header=BB4_3272 Depth=2
	s_or_saveexec_b32 s25, s25
	v_mov_b32_e32 v16, s24
	s_xor_b32 exec_lo, exec_lo, s25
	s_cbranch_execnz .LBB4_4657
.LBB4_4098:                             ;   in Loop: Header=BB4_3272 Depth=2
	s_or_b32 exec_lo, exec_lo, s25
	s_and_saveexec_b32 s24, s7
	s_cbranch_execz .LBB4_4100
.LBB4_4099:                             ;   in Loop: Header=BB4_3272 Depth=2
	v_and_b32_e32 v16, 7, v17
	v_bfe_u32 v135, v17, 3, 4
	v_lshlrev_b32_e32 v144, 24, v17
	s_delay_alu instid0(VALU_DEP_3) | instskip(NEXT) | instid1(VALU_DEP_3)
	v_clz_i32_u32_e32 v133, v16
	v_cmp_eq_u32_e32 vcc_lo, 0, v135
	s_delay_alu instid0(VALU_DEP_2) | instskip(NEXT) | instid1(VALU_DEP_1)
	v_min_u32_e32 v133, 32, v133
	v_subrev_nc_u32_e32 v134, 28, v133
	v_sub_nc_u32_e32 v133, 29, v133
	s_delay_alu instid0(VALU_DEP_2) | instskip(NEXT) | instid1(VALU_DEP_1)
	v_lshlrev_b32_e32 v134, v134, v17
	v_dual_cndmask_b32 v133, v135, v133 :: v_dual_and_b32 v134, 7, v134
	s_delay_alu instid0(VALU_DEP_1) | instskip(NEXT) | instid1(VALU_DEP_2)
	v_lshl_add_u32 v133, v133, 23, 0x3b800000
	v_cndmask_b32_e32 v16, v16, v134, vcc_lo
	v_and_b32_e32 v134, 0x80000000, v144
	s_delay_alu instid0(VALU_DEP_2) | instskip(NEXT) | instid1(VALU_DEP_1)
	v_lshlrev_b32_e32 v16, 20, v16
	v_or3_b32 v16, v134, v133, v16
.LBB4_4100:                             ;   in Loop: Header=BB4_3272 Depth=2
	s_or_b32 exec_lo, exec_lo, s24
	v_and_b32_e32 v134, 0xff, v13
	s_mov_b32 s7, 0
	s_mov_b32 s25, exec_lo
                                        ; implicit-def: $sgpr24
	s_delay_alu instid0(VALU_DEP_1)
	v_cmpx_lt_i16_e64 0x7f, v134
	s_xor_b32 s25, exec_lo, s25
	s_cbranch_execnz .LBB4_4658
; %bb.4101:                             ;   in Loop: Header=BB4_3272 Depth=2
	s_or_saveexec_b32 s25, s25
	v_mov_b32_e32 v133, s24
	s_xor_b32 exec_lo, exec_lo, s25
	s_cbranch_execnz .LBB4_4661
.LBB4_4102:                             ;   in Loop: Header=BB4_3272 Depth=2
	s_or_b32 exec_lo, exec_lo, s25
	s_and_saveexec_b32 s24, s7
	s_cbranch_execz .LBB4_4104
.LBB4_4103:                             ;   in Loop: Header=BB4_3272 Depth=2
	v_bfe_u32 v144, v13, 3, 4
	v_lshlrev_b32_e32 v145, 24, v13
	s_delay_alu instid0(VALU_DEP_2) | instskip(SKIP_1) | instid1(VALU_DEP_1)
	v_cmp_eq_u32_e32 vcc_lo, 0, v144
	v_and_b32_e32 v133, 7, v13
	v_clz_i32_u32_e32 v134, v133
	s_delay_alu instid0(VALU_DEP_1) | instskip(NEXT) | instid1(VALU_DEP_1)
	v_min_u32_e32 v134, 32, v134
	v_subrev_nc_u32_e32 v135, 28, v134
	v_sub_nc_u32_e32 v134, 29, v134
	s_delay_alu instid0(VALU_DEP_1) | instskip(NEXT) | instid1(VALU_DEP_1)
	v_dual_cndmask_b32 v134, v144, v134 :: v_dual_lshlrev_b32 v135, v135, v13
	v_and_b32_e32 v135, 7, v135
	s_delay_alu instid0(VALU_DEP_2) | instskip(NEXT) | instid1(VALU_DEP_2)
	v_lshl_add_u32 v134, v134, 23, 0x3b800000
	v_cndmask_b32_e32 v133, v133, v135, vcc_lo
	v_and_b32_e32 v135, 0x80000000, v145
	s_delay_alu instid0(VALU_DEP_2) | instskip(NEXT) | instid1(VALU_DEP_1)
	v_lshlrev_b32_e32 v133, 20, v133
	v_or3_b32 v133, v135, v134, v133
.LBB4_4104:                             ;   in Loop: Header=BB4_3272 Depth=2
	s_or_b32 exec_lo, exec_lo, s24
	s_delay_alu instid0(VALU_DEP_1) | instskip(NEXT) | instid1(VALU_DEP_1)
	v_dual_max_f32 v133, v133, v133 :: v_dual_max_f32 v16, v16, v16
	v_min_f32_e32 v133, v16, v133
.LBB4_4105:                             ;   in Loop: Header=BB4_3272 Depth=2
	s_delay_alu instid0(VALU_DEP_1) | instskip(NEXT) | instid1(VALU_DEP_1)
	v_and_b32_e32 v16, 0x7f800000, v133
	v_cmp_ne_u32_e32 vcc_lo, 0x7f800000, v16
	v_mov_b32_e32 v16, 0x80
	s_and_saveexec_b32 s24, vcc_lo
	s_cbranch_execz .LBB4_4113
; %bb.4106:                             ;   in Loop: Header=BB4_3272 Depth=2
	v_mov_b32_e32 v16, 0
	s_mov_b32 s25, exec_lo
	v_cmpx_ne_u32_e32 0, v133
	s_cbranch_execz .LBB4_4112
; %bb.4107:                             ;   in Loop: Header=BB4_3272 Depth=2
	v_bfe_u32 v16, v133, 23, 8
	s_delay_alu instid0(VALU_DEP_1) | instskip(SKIP_1) | instid1(VALU_DEP_2)
	v_sub_nc_u32_e32 v135, 0x78, v16
	v_cmp_gt_u32_e32 vcc_lo, 0x79, v16
	v_dual_cndmask_b32 v135, 0, v135 :: v_dual_and_b32 v134, 0x7fffff, v133
	s_delay_alu instid0(VALU_DEP_1) | instskip(SKIP_2) | instid1(VALU_DEP_4)
	v_or_b32_e32 v144, 0x800000, v134
	v_cmp_eq_u32_e32 vcc_lo, 0, v16
	v_add_nc_u32_e32 v16, 0xffffff89, v16
	v_cndmask_b32_e64 v135, v135, 0x77, vcc_lo
	s_delay_alu instid0(VALU_DEP_2) | instskip(SKIP_1) | instid1(VALU_DEP_3)
	v_cndmask_b32_e64 v16, v16, 0xffffff8a, vcc_lo
	v_cndmask_b32_e32 v134, v144, v134, vcc_lo
	v_lshl_add_u32 v144, 0x100000, v135, -1
	v_lshlrev_b32_e64 v147, v135, 0x80000
	s_delay_alu instid0(VALU_DEP_3) | instskip(SKIP_1) | instid1(VALU_DEP_4)
	v_lshrrev_b32_e32 v145, v135, v134
	v_add_nc_u32_e32 v135, v135, v16
	v_and_b32_e32 v134, v144, v134
	s_delay_alu instid0(VALU_DEP_3) | instskip(NEXT) | instid1(VALU_DEP_2)
	v_bfe_u32 v146, v145, 20, 1
	v_cmp_eq_u32_e64 s7, v134, v147
	s_delay_alu instid0(VALU_DEP_2) | instskip(NEXT) | instid1(VALU_DEP_1)
	v_add_nc_u32_e32 v144, -1, v146
	v_cndmask_b32_e64 v134, 0, v144, s7
	v_lshrrev_b32_e32 v144, 23, v145
	s_mov_b32 s7, exec_lo
	s_delay_alu instid0(VALU_DEP_2) | instskip(NEXT) | instid1(VALU_DEP_2)
	v_add_nc_u32_e32 v134, v134, v145
	v_xor_b32_e32 v144, 1, v144
	s_delay_alu instid0(VALU_DEP_2) | instskip(NEXT) | instid1(VALU_DEP_1)
	v_and_b32_e32 v16, 0xfffff, v134
	v_add_nc_u32_e32 v134, v16, v145
                                        ; implicit-def: $vgpr16
	s_delay_alu instid0(VALU_DEP_3)
	v_cmpx_ne_u32_e64 v135, v144
	s_xor_b32 s7, exec_lo, s7
; %bb.4108:                             ;   in Loop: Header=BB4_3272 Depth=2
	s_delay_alu instid0(VALU_DEP_2) | instskip(SKIP_2) | instid1(VALU_DEP_2)
	v_cmp_lt_u32_e32 vcc_lo, 0xffffff, v134
	v_sub_nc_u32_e32 v16, v135, v144
	v_cndmask_b32_e64 v135, 0, 1, vcc_lo
	v_add_co_ci_u32_e32 v16, vcc_lo, 0, v16, vcc_lo
	s_delay_alu instid0(VALU_DEP_2)
	v_lshrrev_b32_e32 v134, v135, v134
; %bb.4109:                             ;   in Loop: Header=BB4_3272 Depth=2
	s_and_not1_saveexec_b32 s7, s7
; %bb.4110:                             ;   in Loop: Header=BB4_3272 Depth=2
	s_delay_alu instid0(VALU_DEP_1)
	v_bfe_u32 v16, v134, 23, 1
; %bb.4111:                             ;   in Loop: Header=BB4_3272 Depth=2
	s_or_b32 exec_lo, exec_lo, s7
	v_lshrrev_b32_e32 v134, 20, v134
	s_delay_alu instid0(VALU_DEP_2) | instskip(SKIP_2) | instid1(VALU_DEP_2)
	v_cmp_gt_i32_e32 vcc_lo, 16, v16
	v_lshrrev_b32_e32 v133, 24, v133
	v_min_i32_e32 v135, 15, v16
	v_dual_cndmask_b32 v134, 7, v134 :: v_dual_and_b32 v133, 0x80, v133
	s_delay_alu instid0(VALU_DEP_1) | instskip(SKIP_1) | instid1(VALU_DEP_2)
	v_or_b32_e32 v16, v16, v134
	v_and_b32_e32 v144, 7, v134
	v_cmp_ne_u32_e32 vcc_lo, 0, v16
	v_lshlrev_b32_e32 v135, 3, v135
	s_delay_alu instid0(VALU_DEP_1) | instskip(NEXT) | instid1(VALU_DEP_1)
	v_or3_b32 v133, v135, v133, v144
	v_cndmask_b32_e32 v16, 0, v133, vcc_lo
.LBB4_4112:                             ;   in Loop: Header=BB4_3272 Depth=2
	s_or_b32 exec_lo, exec_lo, s25
.LBB4_4113:                             ;   in Loop: Header=BB4_3272 Depth=2
	s_delay_alu instid0(SALU_CYCLE_1)
	s_or_b32 exec_lo, exec_lo, s24
	v_lshrrev_b16 v134, 8, v17
	v_lshrrev_b16 v133, 8, v13
	s_and_not1_b32 vcc_lo, exec_lo, s23
	s_cbranch_vccnz .LBB4_4123
; %bb.4114:                             ;   in Loop: Header=BB4_3272 Depth=2
	s_mov_b32 s7, 0
	s_mov_b32 s25, exec_lo
                                        ; implicit-def: $sgpr24
	v_cmpx_lt_i16_e64 0x7f, v134
	s_xor_b32 s25, exec_lo, s25
	s_cbranch_execnz .LBB4_4662
; %bb.4115:                             ;   in Loop: Header=BB4_3272 Depth=2
	s_or_saveexec_b32 s25, s25
	v_mov_b32_e32 v135, s24
	s_xor_b32 exec_lo, exec_lo, s25
	s_cbranch_execnz .LBB4_4665
.LBB4_4116:                             ;   in Loop: Header=BB4_3272 Depth=2
	s_or_b32 exec_lo, exec_lo, s25
	s_and_saveexec_b32 s24, s7
	s_cbranch_execz .LBB4_4118
.LBB4_4117:                             ;   in Loop: Header=BB4_3272 Depth=2
	v_and_b32_e32 v135, 0xffff, v134
	s_delay_alu instid0(VALU_DEP_1) | instskip(NEXT) | instid1(VALU_DEP_1)
	v_and_b32_e32 v144, 7, v135
	v_clz_i32_u32_e32 v145, v144
	s_delay_alu instid0(VALU_DEP_1) | instskip(NEXT) | instid1(VALU_DEP_1)
	v_min_u32_e32 v145, 32, v145
	v_subrev_nc_u32_e32 v146, 28, v145
	v_sub_nc_u32_e32 v145, 29, v145
	s_delay_alu instid0(VALU_DEP_2) | instskip(SKIP_1) | instid1(VALU_DEP_2)
	v_lshlrev_b32_e32 v146, v146, v135
	v_bfe_u32 v135, v135, 3, 4
	v_and_b32_e32 v146, 7, v146
	s_delay_alu instid0(VALU_DEP_2) | instskip(SKIP_1) | instid1(VALU_DEP_3)
	v_cmp_eq_u32_e32 vcc_lo, 0, v135
	v_cndmask_b32_e32 v135, v135, v145, vcc_lo
	v_dual_cndmask_b32 v144, v144, v146 :: v_dual_lshlrev_b32 v147, 16, v17
	s_delay_alu instid0(VALU_DEP_2) | instskip(NEXT) | instid1(VALU_DEP_2)
	v_lshl_add_u32 v135, v135, 23, 0x3b800000
	v_and_b32_e32 v145, 0x80000000, v147
	s_delay_alu instid0(VALU_DEP_3) | instskip(NEXT) | instid1(VALU_DEP_1)
	v_lshlrev_b32_e32 v144, 20, v144
	v_or3_b32 v135, v145, v135, v144
.LBB4_4118:                             ;   in Loop: Header=BB4_3272 Depth=2
	s_or_b32 exec_lo, exec_lo, s24
	s_mov_b32 s7, 0
	s_mov_b32 s25, exec_lo
                                        ; implicit-def: $sgpr24
	v_cmpx_lt_i16_e64 0x7f, v133
	s_xor_b32 s25, exec_lo, s25
	s_cbranch_execnz .LBB4_4666
; %bb.4119:                             ;   in Loop: Header=BB4_3272 Depth=2
	s_or_saveexec_b32 s25, s25
	v_mov_b32_e32 v144, s24
	s_xor_b32 exec_lo, exec_lo, s25
	s_cbranch_execnz .LBB4_4669
.LBB4_4120:                             ;   in Loop: Header=BB4_3272 Depth=2
	s_or_b32 exec_lo, exec_lo, s25
	s_and_saveexec_b32 s24, s7
	s_cbranch_execz .LBB4_4122
.LBB4_4121:                             ;   in Loop: Header=BB4_3272 Depth=2
	v_and_b32_e32 v144, 0xffff, v133
	v_lshlrev_b32_e32 v148, 16, v13
	s_delay_alu instid0(VALU_DEP_2) | instskip(NEXT) | instid1(VALU_DEP_1)
	v_and_b32_e32 v145, 7, v144
	v_clz_i32_u32_e32 v146, v145
	s_delay_alu instid0(VALU_DEP_1) | instskip(NEXT) | instid1(VALU_DEP_1)
	v_min_u32_e32 v146, 32, v146
	v_subrev_nc_u32_e32 v147, 28, v146
	v_sub_nc_u32_e32 v146, 29, v146
	s_delay_alu instid0(VALU_DEP_2) | instskip(SKIP_1) | instid1(VALU_DEP_2)
	v_lshlrev_b32_e32 v147, v147, v144
	v_bfe_u32 v144, v144, 3, 4
	v_and_b32_e32 v147, 7, v147
	s_delay_alu instid0(VALU_DEP_2) | instskip(NEXT) | instid1(VALU_DEP_2)
	v_cmp_eq_u32_e32 vcc_lo, 0, v144
	v_dual_cndmask_b32 v144, v144, v146 :: v_dual_cndmask_b32 v145, v145, v147
	v_and_b32_e32 v146, 0x80000000, v148
	s_delay_alu instid0(VALU_DEP_2) | instskip(NEXT) | instid1(VALU_DEP_3)
	v_lshl_add_u32 v144, v144, 23, 0x3b800000
	v_lshlrev_b32_e32 v145, 20, v145
	s_delay_alu instid0(VALU_DEP_1)
	v_or3_b32 v144, v146, v144, v145
.LBB4_4122:                             ;   in Loop: Header=BB4_3272 Depth=2
	s_or_b32 exec_lo, exec_lo, s24
	s_delay_alu instid0(VALU_DEP_1) | instskip(SKIP_1) | instid1(VALU_DEP_1)
	v_dual_max_f32 v144, v144, v144 :: v_dual_max_f32 v135, v135, v135
	s_mov_b32 s7, 0
	v_max_f32_e32 v135, v135, v144
	s_branch .LBB4_4124
.LBB4_4123:                             ;   in Loop: Header=BB4_3272 Depth=2
	s_mov_b32 s7, -1
                                        ; implicit-def: $vgpr135
.LBB4_4124:                             ;   in Loop: Header=BB4_3272 Depth=2
	s_delay_alu instid0(SALU_CYCLE_1)
	s_and_b32 vcc_lo, exec_lo, s7
	s_cbranch_vccz .LBB4_4134
; %bb.4125:                             ;   in Loop: Header=BB4_3272 Depth=2
	s_mov_b32 s7, 0
	s_mov_b32 s25, exec_lo
                                        ; implicit-def: $sgpr24
	v_cmpx_lt_i16_e64 0x7f, v134
	s_xor_b32 s25, exec_lo, s25
	s_cbranch_execnz .LBB4_4670
; %bb.4126:                             ;   in Loop: Header=BB4_3272 Depth=2
	s_or_saveexec_b32 s25, s25
	v_mov_b32_e32 v135, s24
	s_xor_b32 exec_lo, exec_lo, s25
	s_cbranch_execnz .LBB4_4673
.LBB4_4127:                             ;   in Loop: Header=BB4_3272 Depth=2
	s_or_b32 exec_lo, exec_lo, s25
	s_and_saveexec_b32 s24, s7
	s_cbranch_execz .LBB4_4129
.LBB4_4128:                             ;   in Loop: Header=BB4_3272 Depth=2
	v_and_b32_e32 v134, 0xffff, v134
	v_lshlrev_b32_e32 v146, 16, v17
	s_delay_alu instid0(VALU_DEP_2) | instskip(NEXT) | instid1(VALU_DEP_1)
	v_and_b32_e32 v135, 7, v134
	v_clz_i32_u32_e32 v144, v135
	s_delay_alu instid0(VALU_DEP_1) | instskip(NEXT) | instid1(VALU_DEP_1)
	v_min_u32_e32 v144, 32, v144
	v_subrev_nc_u32_e32 v145, 28, v144
	v_sub_nc_u32_e32 v144, 29, v144
	s_delay_alu instid0(VALU_DEP_2) | instskip(SKIP_1) | instid1(VALU_DEP_2)
	v_lshlrev_b32_e32 v145, v145, v134
	v_bfe_u32 v134, v134, 3, 4
	v_and_b32_e32 v145, 7, v145
	s_delay_alu instid0(VALU_DEP_2) | instskip(NEXT) | instid1(VALU_DEP_2)
	v_cmp_eq_u32_e32 vcc_lo, 0, v134
	v_dual_cndmask_b32 v134, v134, v144 :: v_dual_cndmask_b32 v135, v135, v145
	v_and_b32_e32 v144, 0x80000000, v146
	s_delay_alu instid0(VALU_DEP_2) | instskip(NEXT) | instid1(VALU_DEP_3)
	v_lshl_add_u32 v134, v134, 23, 0x3b800000
	v_lshlrev_b32_e32 v135, 20, v135
	s_delay_alu instid0(VALU_DEP_1)
	v_or3_b32 v135, v144, v134, v135
.LBB4_4129:                             ;   in Loop: Header=BB4_3272 Depth=2
	s_or_b32 exec_lo, exec_lo, s24
	s_mov_b32 s7, 0
	s_mov_b32 s25, exec_lo
                                        ; implicit-def: $sgpr24
	v_cmpx_lt_i16_e64 0x7f, v133
	s_xor_b32 s25, exec_lo, s25
	s_cbranch_execnz .LBB4_4674
; %bb.4130:                             ;   in Loop: Header=BB4_3272 Depth=2
	s_or_saveexec_b32 s25, s25
	v_mov_b32_e32 v134, s24
	s_xor_b32 exec_lo, exec_lo, s25
	s_cbranch_execnz .LBB4_4677
.LBB4_4131:                             ;   in Loop: Header=BB4_3272 Depth=2
	s_or_b32 exec_lo, exec_lo, s25
	s_and_saveexec_b32 s24, s7
	s_cbranch_execz .LBB4_4133
.LBB4_4132:                             ;   in Loop: Header=BB4_3272 Depth=2
	v_and_b32_e32 v133, 0xffff, v133
	v_lshlrev_b32_e32 v146, 16, v13
	s_delay_alu instid0(VALU_DEP_2) | instskip(NEXT) | instid1(VALU_DEP_1)
	v_and_b32_e32 v134, 7, v133
	v_clz_i32_u32_e32 v144, v134
	s_delay_alu instid0(VALU_DEP_1) | instskip(NEXT) | instid1(VALU_DEP_1)
	v_min_u32_e32 v144, 32, v144
	v_subrev_nc_u32_e32 v145, 28, v144
	v_sub_nc_u32_e32 v144, 29, v144
	s_delay_alu instid0(VALU_DEP_2) | instskip(SKIP_1) | instid1(VALU_DEP_2)
	v_lshlrev_b32_e32 v145, v145, v133
	v_bfe_u32 v133, v133, 3, 4
	v_and_b32_e32 v145, 7, v145
	s_delay_alu instid0(VALU_DEP_2) | instskip(NEXT) | instid1(VALU_DEP_2)
	v_cmp_eq_u32_e32 vcc_lo, 0, v133
	v_dual_cndmask_b32 v133, v133, v144 :: v_dual_cndmask_b32 v134, v134, v145
	v_and_b32_e32 v144, 0x80000000, v146
	s_delay_alu instid0(VALU_DEP_2) | instskip(NEXT) | instid1(VALU_DEP_3)
	v_lshl_add_u32 v133, v133, 23, 0x3b800000
	v_lshlrev_b32_e32 v134, 20, v134
	s_delay_alu instid0(VALU_DEP_1)
	v_or3_b32 v134, v144, v133, v134
.LBB4_4133:                             ;   in Loop: Header=BB4_3272 Depth=2
	s_or_b32 exec_lo, exec_lo, s24
	s_delay_alu instid0(VALU_DEP_1) | instskip(NEXT) | instid1(VALU_DEP_1)
	v_dual_max_f32 v133, v134, v134 :: v_dual_max_f32 v134, v135, v135
	v_min_f32_e32 v135, v134, v133
.LBB4_4134:                             ;   in Loop: Header=BB4_3272 Depth=2
	s_delay_alu instid0(VALU_DEP_1) | instskip(NEXT) | instid1(VALU_DEP_1)
	v_and_b32_e32 v133, 0x7f800000, v135
	v_cmp_ne_u32_e32 vcc_lo, 0x7f800000, v133
	v_mov_b32_e32 v133, 0x80
	s_and_saveexec_b32 s24, vcc_lo
	s_cbranch_execz .LBB4_4142
; %bb.4135:                             ;   in Loop: Header=BB4_3272 Depth=2
	v_mov_b32_e32 v133, 0
	s_mov_b32 s25, exec_lo
	v_cmpx_ne_u32_e32 0, v135
	s_cbranch_execz .LBB4_4141
; %bb.4136:                             ;   in Loop: Header=BB4_3272 Depth=2
	v_bfe_u32 v133, v135, 23, 8
	v_and_b32_e32 v134, 0x7fffff, v135
	s_delay_alu instid0(VALU_DEP_2) | instskip(SKIP_1) | instid1(VALU_DEP_3)
	v_sub_nc_u32_e32 v144, 0x78, v133
	v_cmp_gt_u32_e32 vcc_lo, 0x79, v133
	v_or_b32_e32 v145, 0x800000, v134
	s_delay_alu instid0(VALU_DEP_3) | instskip(SKIP_2) | instid1(VALU_DEP_3)
	v_cndmask_b32_e32 v144, 0, v144, vcc_lo
	v_cmp_eq_u32_e32 vcc_lo, 0, v133
	v_add_nc_u32_e32 v133, 0xffffff89, v133
	v_cndmask_b32_e64 v144, v144, 0x77, vcc_lo
	v_cndmask_b32_e32 v134, v145, v134, vcc_lo
	s_delay_alu instid0(VALU_DEP_3) | instskip(NEXT) | instid1(VALU_DEP_3)
	v_cndmask_b32_e64 v133, v133, 0xffffff8a, vcc_lo
	v_lshl_add_u32 v145, 0x100000, v144, -1
	s_delay_alu instid0(VALU_DEP_3) | instskip(SKIP_1) | instid1(VALU_DEP_4)
	v_lshrrev_b32_e32 v146, v144, v134
	v_lshlrev_b32_e64 v148, v144, 0x80000
	v_add_nc_u32_e32 v144, v144, v133
	s_delay_alu instid0(VALU_DEP_4) | instskip(NEXT) | instid1(VALU_DEP_4)
	v_and_b32_e32 v134, v145, v134
	v_bfe_u32 v147, v146, 20, 1
	s_delay_alu instid0(VALU_DEP_2) | instskip(NEXT) | instid1(VALU_DEP_2)
	v_cmp_eq_u32_e64 s7, v134, v148
	v_add_nc_u32_e32 v145, -1, v147
	s_delay_alu instid0(VALU_DEP_1) | instskip(SKIP_2) | instid1(VALU_DEP_2)
	v_cndmask_b32_e64 v134, 0, v145, s7
	v_lshrrev_b32_e32 v145, 23, v146
	s_mov_b32 s7, exec_lo
	v_add_nc_u32_e32 v134, v134, v146
	s_delay_alu instid0(VALU_DEP_2) | instskip(NEXT) | instid1(VALU_DEP_2)
	v_xor_b32_e32 v145, 1, v145
	v_and_b32_e32 v133, 0xfffff, v134
	s_delay_alu instid0(VALU_DEP_1) | instskip(NEXT) | instid1(VALU_DEP_3)
	v_add_nc_u32_e32 v134, v133, v146
                                        ; implicit-def: $vgpr133
	v_cmpx_ne_u32_e64 v144, v145
	s_xor_b32 s7, exec_lo, s7
; %bb.4137:                             ;   in Loop: Header=BB4_3272 Depth=2
	s_delay_alu instid0(VALU_DEP_2) | instskip(SKIP_2) | instid1(VALU_DEP_2)
	v_cmp_lt_u32_e32 vcc_lo, 0xffffff, v134
	v_sub_nc_u32_e32 v133, v144, v145
	v_cndmask_b32_e64 v144, 0, 1, vcc_lo
	v_add_co_ci_u32_e32 v133, vcc_lo, 0, v133, vcc_lo
	s_delay_alu instid0(VALU_DEP_2)
	v_lshrrev_b32_e32 v134, v144, v134
; %bb.4138:                             ;   in Loop: Header=BB4_3272 Depth=2
	s_and_not1_saveexec_b32 s7, s7
; %bb.4139:                             ;   in Loop: Header=BB4_3272 Depth=2
	s_delay_alu instid0(VALU_DEP_1)
	v_bfe_u32 v133, v134, 23, 1
; %bb.4140:                             ;   in Loop: Header=BB4_3272 Depth=2
	s_or_b32 exec_lo, exec_lo, s7
	v_lshrrev_b32_e32 v134, 20, v134
	s_delay_alu instid0(VALU_DEP_2) | instskip(SKIP_2) | instid1(VALU_DEP_2)
	v_cmp_gt_i32_e32 vcc_lo, 16, v133
	v_lshrrev_b32_e32 v135, 24, v135
	v_min_i32_e32 v144, 15, v133
	v_dual_cndmask_b32 v134, 7, v134 :: v_dual_and_b32 v135, 0x80, v135
	s_delay_alu instid0(VALU_DEP_1) | instskip(SKIP_1) | instid1(VALU_DEP_2)
	v_or_b32_e32 v133, v133, v134
	v_and_b32_e32 v145, 7, v134
	v_cmp_ne_u32_e32 vcc_lo, 0, v133
	v_lshlrev_b32_e32 v144, 3, v144
	s_delay_alu instid0(VALU_DEP_1) | instskip(NEXT) | instid1(VALU_DEP_1)
	v_or3_b32 v134, v144, v135, v145
	v_cndmask_b32_e32 v133, 0, v134, vcc_lo
.LBB4_4141:                             ;   in Loop: Header=BB4_3272 Depth=2
	s_or_b32 exec_lo, exec_lo, s25
.LBB4_4142:                             ;   in Loop: Header=BB4_3272 Depth=2
	s_delay_alu instid0(SALU_CYCLE_1)
	s_or_b32 exec_lo, exec_lo, s24
	v_lshrrev_b32_e32 v135, 16, v17
	v_lshrrev_b32_e32 v134, 16, v13
	s_and_not1_b32 vcc_lo, exec_lo, s23
	s_cbranch_vccnz .LBB4_4152
; %bb.4143:                             ;   in Loop: Header=BB4_3272 Depth=2
	s_delay_alu instid0(VALU_DEP_2) | instskip(SKIP_2) | instid1(VALU_DEP_1)
	v_and_b32_e32 v145, 0xff, v135
	s_mov_b32 s7, 0
	s_mov_b32 s25, exec_lo
                                        ; implicit-def: $sgpr24
	v_cmpx_lt_i16_e64 0x7f, v145
	s_xor_b32 s25, exec_lo, s25
	s_cbranch_execnz .LBB4_4678
; %bb.4144:                             ;   in Loop: Header=BB4_3272 Depth=2
	s_or_saveexec_b32 s25, s25
	v_mov_b32_e32 v144, s24
	s_xor_b32 exec_lo, exec_lo, s25
	s_cbranch_execnz .LBB4_4681
.LBB4_4145:                             ;   in Loop: Header=BB4_3272 Depth=2
	s_or_b32 exec_lo, exec_lo, s25
	s_and_saveexec_b32 s24, s7
	s_cbranch_execz .LBB4_4147
.LBB4_4146:                             ;   in Loop: Header=BB4_3272 Depth=2
	v_bfe_u32 v144, v17, 16, 3
	v_bfe_u32 v147, v17, 19, 4
	v_lshlrev_b32_e32 v148, 24, v135
	s_delay_alu instid0(VALU_DEP_3) | instskip(NEXT) | instid1(VALU_DEP_3)
	v_clz_i32_u32_e32 v145, v144
	v_cmp_eq_u32_e32 vcc_lo, 0, v147
	s_delay_alu instid0(VALU_DEP_2) | instskip(NEXT) | instid1(VALU_DEP_1)
	v_min_u32_e32 v145, 32, v145
	v_subrev_nc_u32_e32 v146, 28, v145
	v_sub_nc_u32_e32 v145, 29, v145
	s_delay_alu instid0(VALU_DEP_1) | instskip(NEXT) | instid1(VALU_DEP_1)
	v_dual_cndmask_b32 v145, v147, v145 :: v_dual_lshlrev_b32 v146, v146, v135
	v_and_b32_e32 v146, 7, v146
	s_delay_alu instid0(VALU_DEP_2) | instskip(NEXT) | instid1(VALU_DEP_2)
	v_lshl_add_u32 v145, v145, 23, 0x3b800000
	v_cndmask_b32_e32 v144, v144, v146, vcc_lo
	v_and_b32_e32 v146, 0x80000000, v148
	s_delay_alu instid0(VALU_DEP_2) | instskip(NEXT) | instid1(VALU_DEP_1)
	v_lshlrev_b32_e32 v144, 20, v144
	v_or3_b32 v144, v146, v145, v144
.LBB4_4147:                             ;   in Loop: Header=BB4_3272 Depth=2
	s_or_b32 exec_lo, exec_lo, s24
	v_and_b32_e32 v146, 0xff, v134
	s_mov_b32 s7, 0
	s_mov_b32 s25, exec_lo
                                        ; implicit-def: $sgpr24
	s_delay_alu instid0(VALU_DEP_1)
	v_cmpx_lt_i16_e64 0x7f, v146
	s_xor_b32 s25, exec_lo, s25
	s_cbranch_execnz .LBB4_4682
; %bb.4148:                             ;   in Loop: Header=BB4_3272 Depth=2
	s_or_saveexec_b32 s25, s25
	v_mov_b32_e32 v145, s24
	s_xor_b32 exec_lo, exec_lo, s25
	s_cbranch_execnz .LBB4_4685
.LBB4_4149:                             ;   in Loop: Header=BB4_3272 Depth=2
	s_or_b32 exec_lo, exec_lo, s25
	s_and_saveexec_b32 s24, s7
	s_cbranch_execz .LBB4_4151
.LBB4_4150:                             ;   in Loop: Header=BB4_3272 Depth=2
	v_bfe_u32 v145, v13, 16, 3
	v_bfe_u32 v148, v13, 19, 4
	v_lshlrev_b32_e32 v149, 24, v134
	s_delay_alu instid0(VALU_DEP_3) | instskip(NEXT) | instid1(VALU_DEP_3)
	v_clz_i32_u32_e32 v146, v145
	v_cmp_eq_u32_e32 vcc_lo, 0, v148
	s_delay_alu instid0(VALU_DEP_2) | instskip(NEXT) | instid1(VALU_DEP_1)
	v_min_u32_e32 v146, 32, v146
	v_subrev_nc_u32_e32 v147, 28, v146
	v_sub_nc_u32_e32 v146, 29, v146
	s_delay_alu instid0(VALU_DEP_2) | instskip(NEXT) | instid1(VALU_DEP_1)
	v_lshlrev_b32_e32 v147, v147, v134
	v_dual_cndmask_b32 v146, v148, v146 :: v_dual_and_b32 v147, 7, v147
	s_delay_alu instid0(VALU_DEP_1) | instskip(NEXT) | instid1(VALU_DEP_2)
	v_lshl_add_u32 v146, v146, 23, 0x3b800000
	v_cndmask_b32_e32 v145, v145, v147, vcc_lo
	v_and_b32_e32 v147, 0x80000000, v149
	s_delay_alu instid0(VALU_DEP_2) | instskip(NEXT) | instid1(VALU_DEP_1)
	v_lshlrev_b32_e32 v145, 20, v145
	v_or3_b32 v145, v147, v146, v145
.LBB4_4151:                             ;   in Loop: Header=BB4_3272 Depth=2
	s_or_b32 exec_lo, exec_lo, s24
	s_delay_alu instid0(VALU_DEP_1) | instskip(SKIP_1) | instid1(VALU_DEP_1)
	v_dual_max_f32 v145, v145, v145 :: v_dual_max_f32 v144, v144, v144
	s_mov_b32 s7, 0
	v_max_f32_e32 v144, v144, v145
	s_branch .LBB4_4153
.LBB4_4152:                             ;   in Loop: Header=BB4_3272 Depth=2
	s_mov_b32 s7, -1
                                        ; implicit-def: $vgpr144
.LBB4_4153:                             ;   in Loop: Header=BB4_3272 Depth=2
	s_delay_alu instid0(SALU_CYCLE_1)
	s_and_b32 vcc_lo, exec_lo, s7
	s_cbranch_vccz .LBB4_4163
; %bb.4154:                             ;   in Loop: Header=BB4_3272 Depth=2
	v_and_b32_e32 v145, 0xff, v135
	s_mov_b32 s7, 0
	s_mov_b32 s25, exec_lo
                                        ; implicit-def: $sgpr24
	s_delay_alu instid0(VALU_DEP_1)
	v_cmpx_lt_i16_e64 0x7f, v145
	s_xor_b32 s25, exec_lo, s25
	s_cbranch_execnz .LBB4_4686
; %bb.4155:                             ;   in Loop: Header=BB4_3272 Depth=2
	s_or_saveexec_b32 s25, s25
	v_mov_b32_e32 v144, s24
	s_xor_b32 exec_lo, exec_lo, s25
	s_cbranch_execnz .LBB4_4689
.LBB4_4156:                             ;   in Loop: Header=BB4_3272 Depth=2
	s_or_b32 exec_lo, exec_lo, s25
	s_and_saveexec_b32 s24, s7
	s_cbranch_execz .LBB4_4158
.LBB4_4157:                             ;   in Loop: Header=BB4_3272 Depth=2
	v_bfe_u32 v144, v17, 16, 3
	v_bfe_u32 v147, v17, 19, 4
	s_delay_alu instid0(VALU_DEP_2) | instskip(NEXT) | instid1(VALU_DEP_2)
	v_clz_i32_u32_e32 v145, v144
	v_cmp_eq_u32_e32 vcc_lo, 0, v147
	s_delay_alu instid0(VALU_DEP_2) | instskip(NEXT) | instid1(VALU_DEP_1)
	v_min_u32_e32 v145, 32, v145
	v_subrev_nc_u32_e32 v146, 28, v145
	v_sub_nc_u32_e32 v145, 29, v145
	s_delay_alu instid0(VALU_DEP_1) | instskip(NEXT) | instid1(VALU_DEP_1)
	v_dual_cndmask_b32 v145, v147, v145 :: v_dual_lshlrev_b32 v146, v146, v135
	v_and_b32_e32 v146, 7, v146
	v_lshlrev_b32_e32 v135, 24, v135
	s_delay_alu instid0(VALU_DEP_3) | instskip(NEXT) | instid1(VALU_DEP_2)
	v_lshl_add_u32 v145, v145, 23, 0x3b800000
	v_dual_cndmask_b32 v144, v144, v146 :: v_dual_and_b32 v135, 0x80000000, v135
	s_delay_alu instid0(VALU_DEP_1) | instskip(NEXT) | instid1(VALU_DEP_1)
	v_lshlrev_b32_e32 v144, 20, v144
	v_or3_b32 v144, v135, v145, v144
.LBB4_4158:                             ;   in Loop: Header=BB4_3272 Depth=2
	s_or_b32 exec_lo, exec_lo, s24
	v_and_b32_e32 v145, 0xff, v134
	s_mov_b32 s7, 0
	s_mov_b32 s25, exec_lo
                                        ; implicit-def: $sgpr24
	s_delay_alu instid0(VALU_DEP_1)
	v_cmpx_lt_i16_e64 0x7f, v145
	s_xor_b32 s25, exec_lo, s25
	s_cbranch_execnz .LBB4_4690
; %bb.4159:                             ;   in Loop: Header=BB4_3272 Depth=2
	s_or_saveexec_b32 s25, s25
	v_mov_b32_e32 v135, s24
	s_xor_b32 exec_lo, exec_lo, s25
	s_cbranch_execnz .LBB4_4693
.LBB4_4160:                             ;   in Loop: Header=BB4_3272 Depth=2
	s_or_b32 exec_lo, exec_lo, s25
	s_and_saveexec_b32 s24, s7
	s_cbranch_execz .LBB4_4162
.LBB4_4161:                             ;   in Loop: Header=BB4_3272 Depth=2
	v_bfe_u32 v135, v13, 16, 3
	v_bfe_u32 v147, v13, 19, 4
	s_delay_alu instid0(VALU_DEP_2) | instskip(NEXT) | instid1(VALU_DEP_2)
	v_clz_i32_u32_e32 v145, v135
	v_cmp_eq_u32_e32 vcc_lo, 0, v147
	s_delay_alu instid0(VALU_DEP_2) | instskip(NEXT) | instid1(VALU_DEP_1)
	v_min_u32_e32 v145, 32, v145
	v_subrev_nc_u32_e32 v146, 28, v145
	v_sub_nc_u32_e32 v145, 29, v145
	s_delay_alu instid0(VALU_DEP_1) | instskip(SKIP_1) | instid1(VALU_DEP_2)
	v_dual_cndmask_b32 v145, v147, v145 :: v_dual_lshlrev_b32 v146, v146, v134
	v_lshlrev_b32_e32 v134, 24, v134
	v_and_b32_e32 v146, 7, v146
	s_delay_alu instid0(VALU_DEP_3) | instskip(NEXT) | instid1(VALU_DEP_3)
	v_lshl_add_u32 v145, v145, 23, 0x3b800000
	v_and_b32_e32 v134, 0x80000000, v134
	s_delay_alu instid0(VALU_DEP_3) | instskip(NEXT) | instid1(VALU_DEP_1)
	v_cndmask_b32_e32 v135, v135, v146, vcc_lo
	v_lshlrev_b32_e32 v135, 20, v135
	s_delay_alu instid0(VALU_DEP_1)
	v_or3_b32 v135, v134, v145, v135
.LBB4_4162:                             ;   in Loop: Header=BB4_3272 Depth=2
	s_or_b32 exec_lo, exec_lo, s24
	s_delay_alu instid0(VALU_DEP_1) | instskip(NEXT) | instid1(VALU_DEP_1)
	v_dual_max_f32 v134, v135, v135 :: v_dual_max_f32 v135, v144, v144
	v_min_f32_e32 v144, v135, v134
.LBB4_4163:                             ;   in Loop: Header=BB4_3272 Depth=2
	s_delay_alu instid0(VALU_DEP_1) | instskip(NEXT) | instid1(VALU_DEP_1)
	v_and_b32_e32 v134, 0x7f800000, v144
	v_cmp_ne_u32_e32 vcc_lo, 0x7f800000, v134
	v_mov_b32_e32 v134, 0x80
	s_and_saveexec_b32 s24, vcc_lo
	s_cbranch_execz .LBB4_4171
; %bb.4164:                             ;   in Loop: Header=BB4_3272 Depth=2
	v_mov_b32_e32 v134, 0
	s_mov_b32 s25, exec_lo
	v_cmpx_ne_u32_e32 0, v144
	s_cbranch_execz .LBB4_4170
; %bb.4165:                             ;   in Loop: Header=BB4_3272 Depth=2
	v_bfe_u32 v134, v144, 23, 8
	v_and_b32_e32 v135, 0x7fffff, v144
	s_delay_alu instid0(VALU_DEP_2) | instskip(SKIP_1) | instid1(VALU_DEP_3)
	v_sub_nc_u32_e32 v145, 0x78, v134
	v_cmp_gt_u32_e32 vcc_lo, 0x79, v134
	v_or_b32_e32 v146, 0x800000, v135
	s_delay_alu instid0(VALU_DEP_3) | instskip(SKIP_2) | instid1(VALU_DEP_3)
	v_cndmask_b32_e32 v145, 0, v145, vcc_lo
	v_cmp_eq_u32_e32 vcc_lo, 0, v134
	v_add_nc_u32_e32 v134, 0xffffff89, v134
	v_cndmask_b32_e64 v145, v145, 0x77, vcc_lo
	v_cndmask_b32_e32 v135, v146, v135, vcc_lo
	s_delay_alu instid0(VALU_DEP_3) | instskip(NEXT) | instid1(VALU_DEP_3)
	v_cndmask_b32_e64 v134, v134, 0xffffff8a, vcc_lo
	v_lshl_add_u32 v146, 0x100000, v145, -1
	s_delay_alu instid0(VALU_DEP_3) | instskip(SKIP_1) | instid1(VALU_DEP_4)
	v_lshrrev_b32_e32 v147, v145, v135
	v_lshlrev_b32_e64 v149, v145, 0x80000
	v_add_nc_u32_e32 v145, v145, v134
	s_delay_alu instid0(VALU_DEP_4) | instskip(NEXT) | instid1(VALU_DEP_4)
	v_and_b32_e32 v135, v146, v135
	v_bfe_u32 v148, v147, 20, 1
	s_delay_alu instid0(VALU_DEP_2) | instskip(NEXT) | instid1(VALU_DEP_2)
	v_cmp_eq_u32_e64 s7, v135, v149
	v_add_nc_u32_e32 v146, -1, v148
	s_delay_alu instid0(VALU_DEP_1) | instskip(SKIP_2) | instid1(VALU_DEP_2)
	v_cndmask_b32_e64 v135, 0, v146, s7
	v_lshrrev_b32_e32 v146, 23, v147
	s_mov_b32 s7, exec_lo
	v_add_nc_u32_e32 v135, v135, v147
	s_delay_alu instid0(VALU_DEP_2) | instskip(NEXT) | instid1(VALU_DEP_2)
	v_xor_b32_e32 v146, 1, v146
	v_and_b32_e32 v134, 0xfffff, v135
	s_delay_alu instid0(VALU_DEP_1) | instskip(NEXT) | instid1(VALU_DEP_3)
	v_add_nc_u32_e32 v135, v134, v147
                                        ; implicit-def: $vgpr134
	v_cmpx_ne_u32_e64 v145, v146
	s_xor_b32 s7, exec_lo, s7
; %bb.4166:                             ;   in Loop: Header=BB4_3272 Depth=2
	s_delay_alu instid0(VALU_DEP_2) | instskip(SKIP_2) | instid1(VALU_DEP_2)
	v_cmp_lt_u32_e32 vcc_lo, 0xffffff, v135
	v_sub_nc_u32_e32 v134, v145, v146
	v_cndmask_b32_e64 v145, 0, 1, vcc_lo
	v_add_co_ci_u32_e32 v134, vcc_lo, 0, v134, vcc_lo
	s_delay_alu instid0(VALU_DEP_2)
	v_lshrrev_b32_e32 v135, v145, v135
; %bb.4167:                             ;   in Loop: Header=BB4_3272 Depth=2
	s_and_not1_saveexec_b32 s7, s7
; %bb.4168:                             ;   in Loop: Header=BB4_3272 Depth=2
	s_delay_alu instid0(VALU_DEP_1)
	v_bfe_u32 v134, v135, 23, 1
; %bb.4169:                             ;   in Loop: Header=BB4_3272 Depth=2
	s_or_b32 exec_lo, exec_lo, s7
	v_lshrrev_b32_e32 v135, 20, v135
	s_delay_alu instid0(VALU_DEP_2) | instskip(SKIP_2) | instid1(VALU_DEP_2)
	v_cmp_gt_i32_e32 vcc_lo, 16, v134
	v_lshrrev_b32_e32 v144, 24, v144
	v_min_i32_e32 v145, 15, v134
	v_dual_cndmask_b32 v135, 7, v135 :: v_dual_and_b32 v144, 0x80, v144
	s_delay_alu instid0(VALU_DEP_1) | instskip(SKIP_1) | instid1(VALU_DEP_2)
	v_or_b32_e32 v134, v134, v135
	v_and_b32_e32 v146, 7, v135
	v_cmp_ne_u32_e32 vcc_lo, 0, v134
	v_lshlrev_b32_e32 v145, 3, v145
	s_delay_alu instid0(VALU_DEP_1) | instskip(NEXT) | instid1(VALU_DEP_1)
	v_and_b32_e32 v145, 0xf8, v145
	v_or3_b32 v135, v145, v144, v146
	s_delay_alu instid0(VALU_DEP_1)
	v_cndmask_b32_e32 v134, 0, v135, vcc_lo
.LBB4_4170:                             ;   in Loop: Header=BB4_3272 Depth=2
	s_or_b32 exec_lo, exec_lo, s25
.LBB4_4171:                             ;   in Loop: Header=BB4_3272 Depth=2
	s_delay_alu instid0(SALU_CYCLE_1)
	s_or_b32 exec_lo, exec_lo, s24
	v_lshrrev_b32_e32 v144, 24, v17
	v_lshrrev_b32_e32 v135, 24, v13
	s_and_not1_b32 vcc_lo, exec_lo, s23
	s_cbranch_vccnz .LBB4_4181
; %bb.4172:                             ;   in Loop: Header=BB4_3272 Depth=2
	s_mov_b32 s7, 0
	s_mov_b32 s25, exec_lo
                                        ; implicit-def: $sgpr24
	v_cmpx_lt_i16_e64 0x7f, v144
	s_xor_b32 s25, exec_lo, s25
	s_cbranch_execnz .LBB4_4694
; %bb.4173:                             ;   in Loop: Header=BB4_3272 Depth=2
	s_or_saveexec_b32 s25, s25
	v_mov_b32_e32 v145, s24
	s_xor_b32 exec_lo, exec_lo, s25
	s_cbranch_execnz .LBB4_4697
.LBB4_4174:                             ;   in Loop: Header=BB4_3272 Depth=2
	s_or_b32 exec_lo, exec_lo, s25
	s_and_saveexec_b32 s24, s7
	s_cbranch_execz .LBB4_4176
.LBB4_4175:                             ;   in Loop: Header=BB4_3272 Depth=2
	v_bfe_u32 v145, v17, 24, 3
	v_bfe_u32 v148, v17, 27, 4
	s_delay_alu instid0(VALU_DEP_2) | instskip(NEXT) | instid1(VALU_DEP_2)
	v_clz_i32_u32_e32 v146, v145
	v_cmp_eq_u32_e32 vcc_lo, 0, v148
	s_delay_alu instid0(VALU_DEP_2) | instskip(NEXT) | instid1(VALU_DEP_1)
	v_min_u32_e32 v146, 32, v146
	v_subrev_nc_u32_e32 v147, 28, v146
	v_sub_nc_u32_e32 v146, 29, v146
	s_delay_alu instid0(VALU_DEP_1) | instskip(NEXT) | instid1(VALU_DEP_1)
	v_dual_cndmask_b32 v146, v148, v146 :: v_dual_lshlrev_b32 v147, v147, v144
	v_and_b32_e32 v147, 7, v147
	s_delay_alu instid0(VALU_DEP_2) | instskip(NEXT) | instid1(VALU_DEP_2)
	v_lshl_add_u32 v146, v146, 23, 0x3b800000
	v_cndmask_b32_e32 v145, v145, v147, vcc_lo
	v_and_b32_e32 v147, 0x80000000, v17
	s_delay_alu instid0(VALU_DEP_2) | instskip(NEXT) | instid1(VALU_DEP_1)
	v_lshlrev_b32_e32 v145, 20, v145
	v_or3_b32 v145, v147, v146, v145
.LBB4_4176:                             ;   in Loop: Header=BB4_3272 Depth=2
	s_or_b32 exec_lo, exec_lo, s24
	s_mov_b32 s7, 0
	s_mov_b32 s25, exec_lo
                                        ; implicit-def: $sgpr24
	v_cmpx_lt_i16_e64 0x7f, v135
	s_xor_b32 s25, exec_lo, s25
	s_cbranch_execnz .LBB4_4698
; %bb.4177:                             ;   in Loop: Header=BB4_3272 Depth=2
	s_or_saveexec_b32 s25, s25
	v_mov_b32_e32 v146, s24
	s_xor_b32 exec_lo, exec_lo, s25
	s_cbranch_execnz .LBB4_4701
.LBB4_4178:                             ;   in Loop: Header=BB4_3272 Depth=2
	s_or_b32 exec_lo, exec_lo, s25
	s_and_saveexec_b32 s24, s7
	s_cbranch_execz .LBB4_4180
.LBB4_4179:                             ;   in Loop: Header=BB4_3272 Depth=2
	v_bfe_u32 v146, v13, 24, 3
	v_bfe_u32 v149, v13, 27, 4
	s_delay_alu instid0(VALU_DEP_2) | instskip(NEXT) | instid1(VALU_DEP_2)
	v_clz_i32_u32_e32 v147, v146
	v_cmp_eq_u32_e32 vcc_lo, 0, v149
	s_delay_alu instid0(VALU_DEP_2) | instskip(NEXT) | instid1(VALU_DEP_1)
	v_min_u32_e32 v147, 32, v147
	v_subrev_nc_u32_e32 v148, 28, v147
	v_sub_nc_u32_e32 v147, 29, v147
	s_delay_alu instid0(VALU_DEP_2) | instskip(NEXT) | instid1(VALU_DEP_1)
	v_lshlrev_b32_e32 v148, v148, v135
	v_dual_cndmask_b32 v147, v149, v147 :: v_dual_and_b32 v148, 7, v148
	s_delay_alu instid0(VALU_DEP_1) | instskip(NEXT) | instid1(VALU_DEP_2)
	v_lshl_add_u32 v147, v147, 23, 0x3b800000
	v_cndmask_b32_e32 v146, v146, v148, vcc_lo
	v_and_b32_e32 v148, 0x80000000, v13
	s_delay_alu instid0(VALU_DEP_2) | instskip(NEXT) | instid1(VALU_DEP_1)
	v_lshlrev_b32_e32 v146, 20, v146
	v_or3_b32 v146, v148, v147, v146
.LBB4_4180:                             ;   in Loop: Header=BB4_3272 Depth=2
	s_or_b32 exec_lo, exec_lo, s24
	s_delay_alu instid0(VALU_DEP_1) | instskip(SKIP_1) | instid1(VALU_DEP_1)
	v_dual_max_f32 v146, v146, v146 :: v_dual_max_f32 v145, v145, v145
	s_mov_b32 s7, 0
	v_max_f32_e32 v145, v145, v146
	s_branch .LBB4_4182
.LBB4_4181:                             ;   in Loop: Header=BB4_3272 Depth=2
	s_mov_b32 s7, -1
                                        ; implicit-def: $vgpr145
.LBB4_4182:                             ;   in Loop: Header=BB4_3272 Depth=2
	s_delay_alu instid0(SALU_CYCLE_1)
	s_and_b32 vcc_lo, exec_lo, s7
	s_cbranch_vccz .LBB4_4192
; %bb.4183:                             ;   in Loop: Header=BB4_3272 Depth=2
	s_mov_b32 s7, 0
	s_mov_b32 s25, exec_lo
                                        ; implicit-def: $sgpr24
	v_cmpx_lt_i16_e64 0x7f, v144
	s_xor_b32 s25, exec_lo, s25
	s_cbranch_execnz .LBB4_4702
; %bb.4184:                             ;   in Loop: Header=BB4_3272 Depth=2
	s_or_saveexec_b32 s25, s25
	v_mov_b32_e32 v145, s24
	s_xor_b32 exec_lo, exec_lo, s25
	s_cbranch_execnz .LBB4_4705
.LBB4_4185:                             ;   in Loop: Header=BB4_3272 Depth=2
	s_or_b32 exec_lo, exec_lo, s25
	s_and_saveexec_b32 s24, s7
	s_cbranch_execz .LBB4_4187
.LBB4_4186:                             ;   in Loop: Header=BB4_3272 Depth=2
	v_bfe_u32 v145, v17, 24, 3
	s_delay_alu instid0(VALU_DEP_1) | instskip(NEXT) | instid1(VALU_DEP_1)
	v_clz_i32_u32_e32 v146, v145
	v_min_u32_e32 v146, 32, v146
	s_delay_alu instid0(VALU_DEP_1) | instskip(SKIP_1) | instid1(VALU_DEP_2)
	v_subrev_nc_u32_e32 v147, 28, v146
	v_sub_nc_u32_e32 v146, 29, v146
	v_lshlrev_b32_e32 v144, v147, v144
	v_bfe_u32 v147, v17, 27, 4
	v_and_b32_e32 v17, 0x80000000, v17
	s_delay_alu instid0(VALU_DEP_3) | instskip(NEXT) | instid1(VALU_DEP_3)
	v_and_b32_e32 v144, 7, v144
	v_cmp_eq_u32_e32 vcc_lo, 0, v147
	v_cndmask_b32_e32 v146, v147, v146, vcc_lo
	s_delay_alu instid0(VALU_DEP_3) | instskip(NEXT) | instid1(VALU_DEP_2)
	v_cndmask_b32_e32 v144, v145, v144, vcc_lo
	v_lshl_add_u32 v145, v146, 23, 0x3b800000
	s_delay_alu instid0(VALU_DEP_2) | instskip(NEXT) | instid1(VALU_DEP_1)
	v_lshlrev_b32_e32 v144, 20, v144
	v_or3_b32 v145, v17, v145, v144
.LBB4_4187:                             ;   in Loop: Header=BB4_3272 Depth=2
	s_or_b32 exec_lo, exec_lo, s24
	s_mov_b32 s7, 0
	s_mov_b32 s25, exec_lo
                                        ; implicit-def: $sgpr24
	v_cmpx_lt_i16_e64 0x7f, v135
	s_xor_b32 s25, exec_lo, s25
	s_cbranch_execnz .LBB4_4706
; %bb.4188:                             ;   in Loop: Header=BB4_3272 Depth=2
	s_or_saveexec_b32 s25, s25
	v_mov_b32_e32 v17, s24
	s_xor_b32 exec_lo, exec_lo, s25
	s_cbranch_execnz .LBB4_4709
.LBB4_4189:                             ;   in Loop: Header=BB4_3272 Depth=2
	s_or_b32 exec_lo, exec_lo, s25
	s_and_saveexec_b32 s24, s7
	s_cbranch_execz .LBB4_4191
.LBB4_4190:                             ;   in Loop: Header=BB4_3272 Depth=2
	v_bfe_u32 v17, v13, 24, 3
	s_delay_alu instid0(VALU_DEP_1) | instskip(NEXT) | instid1(VALU_DEP_1)
	v_clz_i32_u32_e32 v144, v17
	v_min_u32_e32 v144, 32, v144
	s_delay_alu instid0(VALU_DEP_1) | instskip(SKIP_1) | instid1(VALU_DEP_2)
	v_subrev_nc_u32_e32 v146, 28, v144
	v_sub_nc_u32_e32 v144, 29, v144
	v_lshlrev_b32_e32 v135, v146, v135
	v_bfe_u32 v146, v13, 27, 4
	v_and_b32_e32 v13, 0x80000000, v13
	s_delay_alu instid0(VALU_DEP_2) | instskip(NEXT) | instid1(VALU_DEP_4)
	v_cmp_eq_u32_e32 vcc_lo, 0, v146
	v_dual_cndmask_b32 v144, v146, v144 :: v_dual_and_b32 v135, 7, v135
	s_delay_alu instid0(VALU_DEP_1) | instskip(NEXT) | instid1(VALU_DEP_2)
	v_cndmask_b32_e32 v17, v17, v135, vcc_lo
	v_lshl_add_u32 v135, v144, 23, 0x3b800000
	s_delay_alu instid0(VALU_DEP_2) | instskip(NEXT) | instid1(VALU_DEP_1)
	v_lshlrev_b32_e32 v17, 20, v17
	v_or3_b32 v17, v13, v135, v17
.LBB4_4191:                             ;   in Loop: Header=BB4_3272 Depth=2
	s_or_b32 exec_lo, exec_lo, s24
	s_delay_alu instid0(VALU_DEP_1) | instskip(SKIP_1) | instid1(VALU_DEP_1)
	v_max_f32_e32 v13, v17, v17
	v_max_f32_e32 v17, v145, v145
	v_min_f32_e32 v145, v17, v13
.LBB4_4192:                             ;   in Loop: Header=BB4_3272 Depth=2
	s_delay_alu instid0(VALU_DEP_1) | instskip(NEXT) | instid1(VALU_DEP_1)
	v_and_b32_e32 v13, 0x7f800000, v145
	v_cmp_ne_u32_e32 vcc_lo, 0x7f800000, v13
	v_mov_b32_e32 v13, 0x8000
	s_and_saveexec_b32 s24, vcc_lo
	s_cbranch_execz .LBB4_3271
; %bb.4193:                             ;   in Loop: Header=BB4_3272 Depth=2
	v_mov_b32_e32 v13, 0
	s_mov_b32 s25, exec_lo
	v_cmpx_ne_u32_e32 0, v145
	s_cbranch_execz .LBB4_3270
; %bb.4194:                             ;   in Loop: Header=BB4_3272 Depth=2
	v_bfe_u32 v13, v145, 23, 8
	v_and_b32_e32 v17, 0x7fffff, v145
	s_delay_alu instid0(VALU_DEP_2) | instskip(SKIP_1) | instid1(VALU_DEP_3)
	v_sub_nc_u32_e32 v135, 0x78, v13
	v_cmp_gt_u32_e32 vcc_lo, 0x79, v13
	v_or_b32_e32 v144, 0x800000, v17
	s_delay_alu instid0(VALU_DEP_3) | instskip(SKIP_2) | instid1(VALU_DEP_3)
	v_cndmask_b32_e32 v135, 0, v135, vcc_lo
	v_cmp_eq_u32_e32 vcc_lo, 0, v13
	v_add_nc_u32_e32 v13, 0xffffff89, v13
	v_cndmask_b32_e64 v135, v135, 0x77, vcc_lo
	v_cndmask_b32_e32 v17, v144, v17, vcc_lo
	s_delay_alu instid0(VALU_DEP_3) | instskip(NEXT) | instid1(VALU_DEP_3)
	v_cndmask_b32_e64 v13, v13, 0xffffff8a, vcc_lo
	v_lshl_add_u32 v144, 0x100000, v135, -1
	s_delay_alu instid0(VALU_DEP_3) | instskip(SKIP_1) | instid1(VALU_DEP_4)
	v_lshrrev_b32_e32 v146, v135, v17
	v_lshlrev_b32_e64 v148, v135, 0x80000
	v_add_nc_u32_e32 v135, v135, v13
	s_delay_alu instid0(VALU_DEP_4) | instskip(NEXT) | instid1(VALU_DEP_4)
	v_and_b32_e32 v17, v144, v17
	v_bfe_u32 v147, v146, 20, 1
	s_delay_alu instid0(VALU_DEP_2) | instskip(NEXT) | instid1(VALU_DEP_2)
	v_cmp_eq_u32_e64 s7, v17, v148
	v_add_nc_u32_e32 v144, -1, v147
	s_delay_alu instid0(VALU_DEP_1) | instskip(SKIP_2) | instid1(VALU_DEP_2)
	v_cndmask_b32_e64 v17, 0, v144, s7
	v_lshrrev_b32_e32 v144, 23, v146
	s_mov_b32 s7, exec_lo
	v_add_nc_u32_e32 v17, v17, v146
	s_delay_alu instid0(VALU_DEP_2) | instskip(NEXT) | instid1(VALU_DEP_2)
	v_xor_b32_e32 v144, 1, v144
	v_and_b32_e32 v13, 0xfffff, v17
	s_delay_alu instid0(VALU_DEP_1) | instskip(NEXT) | instid1(VALU_DEP_3)
	v_add_nc_u32_e32 v17, v13, v146
                                        ; implicit-def: $vgpr13
	v_cmpx_ne_u32_e64 v135, v144
	s_xor_b32 s7, exec_lo, s7
; %bb.4195:                             ;   in Loop: Header=BB4_3272 Depth=2
	s_delay_alu instid0(VALU_DEP_2) | instskip(SKIP_2) | instid1(VALU_DEP_2)
	v_cmp_lt_u32_e32 vcc_lo, 0xffffff, v17
	v_sub_nc_u32_e32 v13, v135, v144
	v_cndmask_b32_e64 v135, 0, 1, vcc_lo
	v_add_co_ci_u32_e32 v13, vcc_lo, 0, v13, vcc_lo
	s_delay_alu instid0(VALU_DEP_2)
	v_lshrrev_b32_e32 v17, v135, v17
; %bb.4196:                             ;   in Loop: Header=BB4_3272 Depth=2
	s_and_not1_saveexec_b32 s7, s7
	s_cbranch_execz .LBB4_3269
; %bb.4197:                             ;   in Loop: Header=BB4_3272 Depth=2
	s_delay_alu instid0(VALU_DEP_1)
	v_bfe_u32 v13, v17, 23, 1
	s_branch .LBB4_3269
.LBB4_4198:                             ;   in Loop: Header=BB4_3272 Depth=2
	s_mov_b32 s7, -1
	s_mov_b32 s26, exec_lo
                                        ; implicit-def: $sgpr24
	v_cmpx_eq_u16_e32 0x80, v103
; %bb.4199:                             ;   in Loop: Header=BB4_3272 Depth=2
	s_mov_b32 s24, 0x7f800001
	s_xor_b32 s7, exec_lo, -1
; %bb.4200:                             ;   in Loop: Header=BB4_3272 Depth=2
	s_or_b32 exec_lo, exec_lo, s26
	s_delay_alu instid0(SALU_CYCLE_1)
	s_and_b32 s7, s7, exec_lo
                                        ; implicit-def: $vgpr103
	s_or_saveexec_b32 s25, s25
	v_mov_b32_e32 v102, s24
	s_xor_b32 exec_lo, exec_lo, s25
	s_cbranch_execz .LBB4_3275
.LBB4_4201:                             ;   in Loop: Header=BB4_3272 Depth=2
	v_cmp_ne_u16_e32 vcc_lo, 0, v103
	v_mov_b32_e32 v102, 0
	s_and_not1_b32 s7, s7, exec_lo
	s_and_b32 s24, vcc_lo, exec_lo
	s_delay_alu instid0(SALU_CYCLE_1)
	s_or_b32 s7, s7, s24
	s_or_b32 exec_lo, exec_lo, s25
	s_and_saveexec_b32 s24, s7
	s_cbranch_execnz .LBB4_3276
	s_branch .LBB4_3277
.LBB4_4202:                             ;   in Loop: Header=BB4_3272 Depth=2
	s_mov_b32 s7, -1
	s_mov_b32 s26, exec_lo
                                        ; implicit-def: $sgpr24
	v_cmpx_eq_u16_e32 0x80, v112
; %bb.4203:                             ;   in Loop: Header=BB4_3272 Depth=2
	s_mov_b32 s24, 0x7f800001
	s_xor_b32 s7, exec_lo, -1
; %bb.4204:                             ;   in Loop: Header=BB4_3272 Depth=2
	s_or_b32 exec_lo, exec_lo, s26
	s_delay_alu instid0(SALU_CYCLE_1)
	s_and_b32 s7, s7, exec_lo
                                        ; implicit-def: $vgpr112
	s_or_saveexec_b32 s25, s25
	v_mov_b32_e32 v103, s24
	s_xor_b32 exec_lo, exec_lo, s25
	s_cbranch_execz .LBB4_3279
.LBB4_4205:                             ;   in Loop: Header=BB4_3272 Depth=2
	v_cmp_ne_u16_e32 vcc_lo, 0, v112
	v_mov_b32_e32 v103, 0
	s_and_not1_b32 s7, s7, exec_lo
	s_and_b32 s24, vcc_lo, exec_lo
	s_delay_alu instid0(SALU_CYCLE_1)
	s_or_b32 s7, s7, s24
	s_or_b32 exec_lo, exec_lo, s25
	s_and_saveexec_b32 s24, s7
	s_cbranch_execnz .LBB4_3280
	s_branch .LBB4_3281
.LBB4_4206:                             ;   in Loop: Header=BB4_3272 Depth=2
	s_mov_b32 s7, -1
	s_mov_b32 s26, exec_lo
                                        ; implicit-def: $sgpr24
	v_cmpx_eq_u16_e32 0x80, v103
; %bb.4207:                             ;   in Loop: Header=BB4_3272 Depth=2
	s_mov_b32 s24, 0x7f800001
	s_xor_b32 s7, exec_lo, -1
; %bb.4208:                             ;   in Loop: Header=BB4_3272 Depth=2
	s_or_b32 exec_lo, exec_lo, s26
	s_delay_alu instid0(SALU_CYCLE_1)
	s_and_b32 s7, s7, exec_lo
                                        ; implicit-def: $vgpr103
	s_or_saveexec_b32 s25, s25
	v_mov_b32_e32 v102, s24
	s_xor_b32 exec_lo, exec_lo, s25
	s_cbranch_execz .LBB4_3286
.LBB4_4209:                             ;   in Loop: Header=BB4_3272 Depth=2
	v_cmp_ne_u16_e32 vcc_lo, 0, v103
	v_mov_b32_e32 v102, 0
	s_and_not1_b32 s7, s7, exec_lo
	s_and_b32 s24, vcc_lo, exec_lo
	s_delay_alu instid0(SALU_CYCLE_1)
	s_or_b32 s7, s7, s24
	s_or_b32 exec_lo, exec_lo, s25
	s_and_saveexec_b32 s24, s7
	s_cbranch_execnz .LBB4_3287
	s_branch .LBB4_3288
.LBB4_4210:                             ;   in Loop: Header=BB4_3272 Depth=2
	s_mov_b32 s7, -1
	s_mov_b32 s26, exec_lo
                                        ; implicit-def: $sgpr24
	v_cmpx_eq_u16_e32 0x80, v112
; %bb.4211:                             ;   in Loop: Header=BB4_3272 Depth=2
	s_mov_b32 s24, 0x7f800001
	s_xor_b32 s7, exec_lo, -1
; %bb.4212:                             ;   in Loop: Header=BB4_3272 Depth=2
	s_or_b32 exec_lo, exec_lo, s26
	s_delay_alu instid0(SALU_CYCLE_1)
	s_and_b32 s7, s7, exec_lo
                                        ; implicit-def: $vgpr112
	s_or_saveexec_b32 s25, s25
	v_mov_b32_e32 v103, s24
	s_xor_b32 exec_lo, exec_lo, s25
	s_cbranch_execz .LBB4_3290
.LBB4_4213:                             ;   in Loop: Header=BB4_3272 Depth=2
	v_cmp_ne_u16_e32 vcc_lo, 0, v112
	v_mov_b32_e32 v103, 0
	s_and_not1_b32 s7, s7, exec_lo
	s_and_b32 s24, vcc_lo, exec_lo
	s_delay_alu instid0(SALU_CYCLE_1)
	s_or_b32 s7, s7, s24
	s_or_b32 exec_lo, exec_lo, s25
	s_and_saveexec_b32 s24, s7
	s_cbranch_execnz .LBB4_3291
	s_branch .LBB4_3292
.LBB4_4214:                             ;   in Loop: Header=BB4_3272 Depth=2
	s_mov_b32 s7, -1
	s_mov_b32 s26, exec_lo
                                        ; implicit-def: $sgpr24
	v_cmpx_eq_u16_e32 0x80, v112
; %bb.4215:                             ;   in Loop: Header=BB4_3272 Depth=2
	s_mov_b32 s24, 0x7f800001
	s_xor_b32 s7, exec_lo, -1
; %bb.4216:                             ;   in Loop: Header=BB4_3272 Depth=2
	s_or_b32 exec_lo, exec_lo, s26
	s_delay_alu instid0(SALU_CYCLE_1)
	s_and_b32 s7, s7, exec_lo
	s_or_saveexec_b32 s25, s25
	v_mov_b32_e32 v113, s24
	s_xor_b32 exec_lo, exec_lo, s25
	s_cbranch_execz .LBB4_3304
.LBB4_4217:                             ;   in Loop: Header=BB4_3272 Depth=2
	v_cmp_ne_u16_e32 vcc_lo, 0, v112
	v_mov_b32_e32 v113, 0
	s_and_not1_b32 s7, s7, exec_lo
	s_and_b32 s24, vcc_lo, exec_lo
	s_delay_alu instid0(SALU_CYCLE_1)
	s_or_b32 s7, s7, s24
	s_or_b32 exec_lo, exec_lo, s25
	s_and_saveexec_b32 s24, s7
	s_cbranch_execnz .LBB4_3305
	s_branch .LBB4_3306
.LBB4_4218:                             ;   in Loop: Header=BB4_3272 Depth=2
	s_mov_b32 s7, -1
	s_mov_b32 s26, exec_lo
                                        ; implicit-def: $sgpr24
	v_cmpx_eq_u16_e32 0x80, v103
; %bb.4219:                             ;   in Loop: Header=BB4_3272 Depth=2
	s_mov_b32 s24, 0x7f800001
	s_xor_b32 s7, exec_lo, -1
; %bb.4220:                             ;   in Loop: Header=BB4_3272 Depth=2
	s_or_b32 exec_lo, exec_lo, s26
	s_delay_alu instid0(SALU_CYCLE_1)
	s_and_b32 s7, s7, exec_lo
	s_or_saveexec_b32 s25, s25
	v_mov_b32_e32 v114, s24
	s_xor_b32 exec_lo, exec_lo, s25
	s_cbranch_execz .LBB4_3308
.LBB4_4221:                             ;   in Loop: Header=BB4_3272 Depth=2
	v_cmp_ne_u16_e32 vcc_lo, 0, v103
	v_mov_b32_e32 v114, 0
	s_and_not1_b32 s7, s7, exec_lo
	s_and_b32 s24, vcc_lo, exec_lo
	s_delay_alu instid0(SALU_CYCLE_1)
	s_or_b32 s7, s7, s24
	s_or_b32 exec_lo, exec_lo, s25
	s_and_saveexec_b32 s24, s7
	s_cbranch_execnz .LBB4_3309
	s_branch .LBB4_3310
.LBB4_4222:                             ;   in Loop: Header=BB4_3272 Depth=2
	s_mov_b32 s7, -1
	s_mov_b32 s26, exec_lo
                                        ; implicit-def: $sgpr24
	v_cmpx_eq_u16_e32 0x80, v112
; %bb.4223:                             ;   in Loop: Header=BB4_3272 Depth=2
	s_mov_b32 s24, 0x7f800001
	s_xor_b32 s7, exec_lo, -1
; %bb.4224:                             ;   in Loop: Header=BB4_3272 Depth=2
	s_or_b32 exec_lo, exec_lo, s26
	s_delay_alu instid0(SALU_CYCLE_1)
	s_and_b32 s7, s7, exec_lo
	s_or_saveexec_b32 s25, s25
	v_mov_b32_e32 v113, s24
	s_xor_b32 exec_lo, exec_lo, s25
	s_cbranch_execz .LBB4_3315
.LBB4_4225:                             ;   in Loop: Header=BB4_3272 Depth=2
	v_cmp_ne_u16_e32 vcc_lo, 0, v112
	v_mov_b32_e32 v113, 0
	s_and_not1_b32 s7, s7, exec_lo
	s_and_b32 s24, vcc_lo, exec_lo
	s_delay_alu instid0(SALU_CYCLE_1)
	s_or_b32 s7, s7, s24
	s_or_b32 exec_lo, exec_lo, s25
	s_and_saveexec_b32 s24, s7
	s_cbranch_execnz .LBB4_3316
	s_branch .LBB4_3317
.LBB4_4226:                             ;   in Loop: Header=BB4_3272 Depth=2
	s_mov_b32 s7, -1
	s_mov_b32 s26, exec_lo
                                        ; implicit-def: $sgpr24
	v_cmpx_eq_u16_e32 0x80, v103
; %bb.4227:                             ;   in Loop: Header=BB4_3272 Depth=2
	s_mov_b32 s24, 0x7f800001
	s_xor_b32 s7, exec_lo, -1
; %bb.4228:                             ;   in Loop: Header=BB4_3272 Depth=2
	s_or_b32 exec_lo, exec_lo, s26
	s_delay_alu instid0(SALU_CYCLE_1)
	s_and_b32 s7, s7, exec_lo
	s_or_saveexec_b32 s25, s25
	v_mov_b32_e32 v112, s24
	s_xor_b32 exec_lo, exec_lo, s25
	s_cbranch_execz .LBB4_3319
.LBB4_4229:                             ;   in Loop: Header=BB4_3272 Depth=2
	v_cmp_ne_u16_e32 vcc_lo, 0, v103
	v_mov_b32_e32 v112, 0
	s_and_not1_b32 s7, s7, exec_lo
	s_and_b32 s24, vcc_lo, exec_lo
	s_delay_alu instid0(SALU_CYCLE_1)
	s_or_b32 s7, s7, s24
	s_or_b32 exec_lo, exec_lo, s25
	s_and_saveexec_b32 s24, s7
	s_cbranch_execnz .LBB4_3320
	s_branch .LBB4_3321
.LBB4_4230:                             ;   in Loop: Header=BB4_3272 Depth=2
	s_mov_b32 s7, -1
	s_mov_b32 s26, exec_lo
                                        ; implicit-def: $sgpr24
	v_cmpx_eq_u16_e32 0x80, v115
; %bb.4231:                             ;   in Loop: Header=BB4_3272 Depth=2
	s_mov_b32 s24, 0x7f800001
	s_xor_b32 s7, exec_lo, -1
; %bb.4232:                             ;   in Loop: Header=BB4_3272 Depth=2
	s_or_b32 exec_lo, exec_lo, s26
	s_delay_alu instid0(SALU_CYCLE_1)
	s_and_b32 s7, s7, exec_lo
                                        ; implicit-def: $vgpr115
	s_or_saveexec_b32 s25, s25
	v_mov_b32_e32 v114, s24
	s_xor_b32 exec_lo, exec_lo, s25
	s_cbranch_execz .LBB4_3333
.LBB4_4233:                             ;   in Loop: Header=BB4_3272 Depth=2
	v_cmp_ne_u16_e32 vcc_lo, 0, v115
	v_mov_b32_e32 v114, 0
	s_and_not1_b32 s7, s7, exec_lo
	s_and_b32 s24, vcc_lo, exec_lo
	s_delay_alu instid0(SALU_CYCLE_1)
	s_or_b32 s7, s7, s24
	s_or_b32 exec_lo, exec_lo, s25
	s_and_saveexec_b32 s24, s7
	s_cbranch_execnz .LBB4_3334
	s_branch .LBB4_3335
.LBB4_4234:                             ;   in Loop: Header=BB4_3272 Depth=2
	s_mov_b32 s7, -1
	s_mov_b32 s26, exec_lo
                                        ; implicit-def: $sgpr24
	v_cmpx_eq_u16_e32 0x80, v116
; %bb.4235:                             ;   in Loop: Header=BB4_3272 Depth=2
	s_mov_b32 s24, 0x7f800001
	s_xor_b32 s7, exec_lo, -1
; %bb.4236:                             ;   in Loop: Header=BB4_3272 Depth=2
	s_or_b32 exec_lo, exec_lo, s26
	s_delay_alu instid0(SALU_CYCLE_1)
	s_and_b32 s7, s7, exec_lo
                                        ; implicit-def: $vgpr116
	s_or_saveexec_b32 s25, s25
	v_mov_b32_e32 v115, s24
	s_xor_b32 exec_lo, exec_lo, s25
	s_cbranch_execz .LBB4_3337
.LBB4_4237:                             ;   in Loop: Header=BB4_3272 Depth=2
	v_cmp_ne_u16_e32 vcc_lo, 0, v116
	v_mov_b32_e32 v115, 0
	s_and_not1_b32 s7, s7, exec_lo
	s_and_b32 s24, vcc_lo, exec_lo
	s_delay_alu instid0(SALU_CYCLE_1)
	s_or_b32 s7, s7, s24
	s_or_b32 exec_lo, exec_lo, s25
	s_and_saveexec_b32 s24, s7
	s_cbranch_execnz .LBB4_3338
	s_branch .LBB4_3339
.LBB4_4238:                             ;   in Loop: Header=BB4_3272 Depth=2
	s_mov_b32 s7, -1
	s_mov_b32 s26, exec_lo
                                        ; implicit-def: $sgpr24
	v_cmpx_eq_u16_e32 0x80, v115
; %bb.4239:                             ;   in Loop: Header=BB4_3272 Depth=2
	s_mov_b32 s24, 0x7f800001
	s_xor_b32 s7, exec_lo, -1
; %bb.4240:                             ;   in Loop: Header=BB4_3272 Depth=2
	s_or_b32 exec_lo, exec_lo, s26
	s_delay_alu instid0(SALU_CYCLE_1)
	s_and_b32 s7, s7, exec_lo
                                        ; implicit-def: $vgpr115
	s_or_saveexec_b32 s25, s25
	v_mov_b32_e32 v114, s24
	s_xor_b32 exec_lo, exec_lo, s25
	s_cbranch_execz .LBB4_3344
.LBB4_4241:                             ;   in Loop: Header=BB4_3272 Depth=2
	v_cmp_ne_u16_e32 vcc_lo, 0, v115
	v_mov_b32_e32 v114, 0
	s_and_not1_b32 s7, s7, exec_lo
	s_and_b32 s24, vcc_lo, exec_lo
	s_delay_alu instid0(SALU_CYCLE_1)
	s_or_b32 s7, s7, s24
	s_or_b32 exec_lo, exec_lo, s25
	s_and_saveexec_b32 s24, s7
	s_cbranch_execnz .LBB4_3345
	s_branch .LBB4_3346
.LBB4_4242:                             ;   in Loop: Header=BB4_3272 Depth=2
	s_mov_b32 s7, -1
	s_mov_b32 s26, exec_lo
                                        ; implicit-def: $sgpr24
	v_cmpx_eq_u16_e32 0x80, v115
; %bb.4243:                             ;   in Loop: Header=BB4_3272 Depth=2
	s_mov_b32 s24, 0x7f800001
	s_xor_b32 s7, exec_lo, -1
; %bb.4244:                             ;   in Loop: Header=BB4_3272 Depth=2
	s_or_b32 exec_lo, exec_lo, s26
	s_delay_alu instid0(SALU_CYCLE_1)
	s_and_b32 s7, s7, exec_lo
                                        ; implicit-def: $vgpr115
	s_or_saveexec_b32 s25, s25
	v_mov_b32_e32 v113, s24
	s_xor_b32 exec_lo, exec_lo, s25
	s_cbranch_execz .LBB4_3348
.LBB4_4245:                             ;   in Loop: Header=BB4_3272 Depth=2
	v_cmp_ne_u16_e32 vcc_lo, 0, v115
	v_mov_b32_e32 v113, 0
	s_and_not1_b32 s7, s7, exec_lo
	s_and_b32 s24, vcc_lo, exec_lo
	s_delay_alu instid0(SALU_CYCLE_1)
	s_or_b32 s7, s7, s24
	s_or_b32 exec_lo, exec_lo, s25
	s_and_saveexec_b32 s24, s7
	s_cbranch_execnz .LBB4_3349
	s_branch .LBB4_3350
.LBB4_4246:                             ;   in Loop: Header=BB4_3272 Depth=2
	s_mov_b32 s7, -1
	s_mov_b32 s26, exec_lo
                                        ; implicit-def: $sgpr24
	v_cmpx_eq_u16_e32 0x80, v114
; %bb.4247:                             ;   in Loop: Header=BB4_3272 Depth=2
	s_mov_b32 s24, 0x7f800001
	s_xor_b32 s7, exec_lo, -1
; %bb.4248:                             ;   in Loop: Header=BB4_3272 Depth=2
	s_or_b32 exec_lo, exec_lo, s26
	s_delay_alu instid0(SALU_CYCLE_1)
	s_and_b32 s7, s7, exec_lo
	s_or_saveexec_b32 s25, s25
	v_mov_b32_e32 v115, s24
	s_xor_b32 exec_lo, exec_lo, s25
	s_cbranch_execz .LBB4_3362
.LBB4_4249:                             ;   in Loop: Header=BB4_3272 Depth=2
	v_cmp_ne_u16_e32 vcc_lo, 0, v114
	v_mov_b32_e32 v115, 0
	s_and_not1_b32 s7, s7, exec_lo
	s_and_b32 s24, vcc_lo, exec_lo
	s_delay_alu instid0(SALU_CYCLE_1)
	s_or_b32 s7, s7, s24
	s_or_b32 exec_lo, exec_lo, s25
	s_and_saveexec_b32 s24, s7
	s_cbranch_execnz .LBB4_3363
	s_branch .LBB4_3364
.LBB4_4250:                             ;   in Loop: Header=BB4_3272 Depth=2
	s_mov_b32 s7, -1
	s_mov_b32 s26, exec_lo
                                        ; implicit-def: $sgpr24
	v_cmpx_eq_u16_e32 0x80, v113
; %bb.4251:                             ;   in Loop: Header=BB4_3272 Depth=2
	s_mov_b32 s24, 0x7f800001
	s_xor_b32 s7, exec_lo, -1
; %bb.4252:                             ;   in Loop: Header=BB4_3272 Depth=2
	s_or_b32 exec_lo, exec_lo, s26
	s_delay_alu instid0(SALU_CYCLE_1)
	s_and_b32 s7, s7, exec_lo
	s_or_saveexec_b32 s25, s25
	v_mov_b32_e32 v116, s24
	s_xor_b32 exec_lo, exec_lo, s25
	s_cbranch_execz .LBB4_3366
.LBB4_4253:                             ;   in Loop: Header=BB4_3272 Depth=2
	v_cmp_ne_u16_e32 vcc_lo, 0, v113
	v_mov_b32_e32 v116, 0
	s_and_not1_b32 s7, s7, exec_lo
	s_and_b32 s24, vcc_lo, exec_lo
	s_delay_alu instid0(SALU_CYCLE_1)
	s_or_b32 s7, s7, s24
	s_or_b32 exec_lo, exec_lo, s25
	s_and_saveexec_b32 s24, s7
	s_cbranch_execnz .LBB4_3367
	s_branch .LBB4_3368
.LBB4_4254:                             ;   in Loop: Header=BB4_3272 Depth=2
	s_mov_b32 s7, -1
	s_mov_b32 s26, exec_lo
                                        ; implicit-def: $sgpr24
	v_cmpx_eq_u16_e32 0x80, v114
; %bb.4255:                             ;   in Loop: Header=BB4_3272 Depth=2
	s_mov_b32 s24, 0x7f800001
	s_xor_b32 s7, exec_lo, -1
; %bb.4256:                             ;   in Loop: Header=BB4_3272 Depth=2
	s_or_b32 exec_lo, exec_lo, s26
	s_delay_alu instid0(SALU_CYCLE_1)
	s_and_b32 s7, s7, exec_lo
	s_or_saveexec_b32 s25, s25
	v_mov_b32_e32 v115, s24
	s_xor_b32 exec_lo, exec_lo, s25
	s_cbranch_execz .LBB4_3373
.LBB4_4257:                             ;   in Loop: Header=BB4_3272 Depth=2
	v_cmp_ne_u16_e32 vcc_lo, 0, v114
	v_mov_b32_e32 v115, 0
	s_and_not1_b32 s7, s7, exec_lo
	s_and_b32 s24, vcc_lo, exec_lo
	s_delay_alu instid0(SALU_CYCLE_1)
	s_or_b32 s7, s7, s24
	s_or_b32 exec_lo, exec_lo, s25
	s_and_saveexec_b32 s24, s7
	s_cbranch_execnz .LBB4_3374
	s_branch .LBB4_3375
.LBB4_4258:                             ;   in Loop: Header=BB4_3272 Depth=2
	s_mov_b32 s7, -1
	s_mov_b32 s26, exec_lo
                                        ; implicit-def: $sgpr24
	v_cmpx_eq_u16_e32 0x80, v113
; %bb.4259:                             ;   in Loop: Header=BB4_3272 Depth=2
	s_mov_b32 s24, 0x7f800001
	s_xor_b32 s7, exec_lo, -1
; %bb.4260:                             ;   in Loop: Header=BB4_3272 Depth=2
	s_or_b32 exec_lo, exec_lo, s26
	s_delay_alu instid0(SALU_CYCLE_1)
	s_and_b32 s7, s7, exec_lo
	s_or_saveexec_b32 s25, s25
	v_mov_b32_e32 v22, s24
	s_xor_b32 exec_lo, exec_lo, s25
	s_cbranch_execz .LBB4_3377
.LBB4_4261:                             ;   in Loop: Header=BB4_3272 Depth=2
	v_cmp_ne_u16_e32 vcc_lo, 0, v113
	v_mov_b32_e32 v22, 0
	s_and_not1_b32 s7, s7, exec_lo
	s_and_b32 s24, vcc_lo, exec_lo
	s_delay_alu instid0(SALU_CYCLE_1)
	s_or_b32 s7, s7, s24
	s_or_b32 exec_lo, exec_lo, s25
	s_and_saveexec_b32 s24, s7
	s_cbranch_execnz .LBB4_3378
	s_branch .LBB4_3379
.LBB4_4262:                             ;   in Loop: Header=BB4_3272 Depth=2
	s_mov_b32 s7, -1
	s_mov_b32 s26, exec_lo
                                        ; implicit-def: $sgpr24
	v_cmpx_eq_u16_e32 0x80, v113
; %bb.4263:                             ;   in Loop: Header=BB4_3272 Depth=2
	s_mov_b32 s24, 0x7f800001
	s_xor_b32 s7, exec_lo, -1
; %bb.4264:                             ;   in Loop: Header=BB4_3272 Depth=2
	s_or_b32 exec_lo, exec_lo, s26
	s_delay_alu instid0(SALU_CYCLE_1)
	s_and_b32 s7, s7, exec_lo
                                        ; implicit-def: $vgpr113
	s_or_saveexec_b32 s25, s25
	v_mov_b32_e32 v22, s24
	s_xor_b32 exec_lo, exec_lo, s25
	s_cbranch_execz .LBB4_3391
.LBB4_4265:                             ;   in Loop: Header=BB4_3272 Depth=2
	v_cmp_ne_u16_e32 vcc_lo, 0, v113
	v_mov_b32_e32 v22, 0
	s_and_not1_b32 s7, s7, exec_lo
	s_and_b32 s24, vcc_lo, exec_lo
	s_delay_alu instid0(SALU_CYCLE_1)
	s_or_b32 s7, s7, s24
	s_or_b32 exec_lo, exec_lo, s25
	s_and_saveexec_b32 s24, s7
	s_cbranch_execnz .LBB4_3392
	s_branch .LBB4_3393
.LBB4_4266:                             ;   in Loop: Header=BB4_3272 Depth=2
	s_mov_b32 s7, -1
	s_mov_b32 s26, exec_lo
                                        ; implicit-def: $sgpr24
	v_cmpx_eq_u16_e32 0x80, v114
; %bb.4267:                             ;   in Loop: Header=BB4_3272 Depth=2
	s_mov_b32 s24, 0x7f800001
	s_xor_b32 s7, exec_lo, -1
; %bb.4268:                             ;   in Loop: Header=BB4_3272 Depth=2
	s_or_b32 exec_lo, exec_lo, s26
	s_delay_alu instid0(SALU_CYCLE_1)
	s_and_b32 s7, s7, exec_lo
                                        ; implicit-def: $vgpr114
	s_or_saveexec_b32 s25, s25
	v_mov_b32_e32 v113, s24
	s_xor_b32 exec_lo, exec_lo, s25
	s_cbranch_execz .LBB4_3395
.LBB4_4269:                             ;   in Loop: Header=BB4_3272 Depth=2
	v_cmp_ne_u16_e32 vcc_lo, 0, v114
	v_mov_b32_e32 v113, 0
	s_and_not1_b32 s7, s7, exec_lo
	s_and_b32 s24, vcc_lo, exec_lo
	s_delay_alu instid0(SALU_CYCLE_1)
	s_or_b32 s7, s7, s24
	s_or_b32 exec_lo, exec_lo, s25
	s_and_saveexec_b32 s24, s7
	s_cbranch_execnz .LBB4_3396
	s_branch .LBB4_3397
.LBB4_4270:                             ;   in Loop: Header=BB4_3272 Depth=2
	s_mov_b32 s7, -1
	s_mov_b32 s26, exec_lo
                                        ; implicit-def: $sgpr24
	v_cmpx_eq_u16_e32 0x80, v113
; %bb.4271:                             ;   in Loop: Header=BB4_3272 Depth=2
	s_mov_b32 s24, 0x7f800001
	s_xor_b32 s7, exec_lo, -1
; %bb.4272:                             ;   in Loop: Header=BB4_3272 Depth=2
	s_or_b32 exec_lo, exec_lo, s26
	s_delay_alu instid0(SALU_CYCLE_1)
	s_and_b32 s7, s7, exec_lo
                                        ; implicit-def: $vgpr113
	s_or_saveexec_b32 s25, s25
	v_mov_b32_e32 v22, s24
	s_xor_b32 exec_lo, exec_lo, s25
	s_cbranch_execz .LBB4_3402
.LBB4_4273:                             ;   in Loop: Header=BB4_3272 Depth=2
	v_cmp_ne_u16_e32 vcc_lo, 0, v113
	v_mov_b32_e32 v22, 0
	s_and_not1_b32 s7, s7, exec_lo
	s_and_b32 s24, vcc_lo, exec_lo
	s_delay_alu instid0(SALU_CYCLE_1)
	s_or_b32 s7, s7, s24
	s_or_b32 exec_lo, exec_lo, s25
	s_and_saveexec_b32 s24, s7
	s_cbranch_execnz .LBB4_3403
	s_branch .LBB4_3404
.LBB4_4274:                             ;   in Loop: Header=BB4_3272 Depth=2
	s_mov_b32 s7, -1
	s_mov_b32 s26, exec_lo
                                        ; implicit-def: $sgpr24
	v_cmpx_eq_u16_e32 0x80, v114
; %bb.4275:                             ;   in Loop: Header=BB4_3272 Depth=2
	s_mov_b32 s24, 0x7f800001
	s_xor_b32 s7, exec_lo, -1
; %bb.4276:                             ;   in Loop: Header=BB4_3272 Depth=2
	s_or_b32 exec_lo, exec_lo, s26
	s_delay_alu instid0(SALU_CYCLE_1)
	s_and_b32 s7, s7, exec_lo
                                        ; implicit-def: $vgpr114
	s_or_saveexec_b32 s25, s25
	v_mov_b32_e32 v113, s24
	s_xor_b32 exec_lo, exec_lo, s25
	s_cbranch_execz .LBB4_3406
.LBB4_4277:                             ;   in Loop: Header=BB4_3272 Depth=2
	v_cmp_ne_u16_e32 vcc_lo, 0, v114
	v_mov_b32_e32 v113, 0
	s_and_not1_b32 s7, s7, exec_lo
	s_and_b32 s24, vcc_lo, exec_lo
	s_delay_alu instid0(SALU_CYCLE_1)
	s_or_b32 s7, s7, s24
	s_or_b32 exec_lo, exec_lo, s25
	s_and_saveexec_b32 s24, s7
	s_cbranch_execnz .LBB4_3407
	s_branch .LBB4_3408
.LBB4_4278:                             ;   in Loop: Header=BB4_3272 Depth=2
	s_mov_b32 s7, -1
	s_mov_b32 s26, exec_lo
                                        ; implicit-def: $sgpr24
	v_cmpx_eq_u16_e32 0x80, v114
; %bb.4279:                             ;   in Loop: Header=BB4_3272 Depth=2
	s_mov_b32 s24, 0x7f800001
	s_xor_b32 s7, exec_lo, -1
; %bb.4280:                             ;   in Loop: Header=BB4_3272 Depth=2
	s_or_b32 exec_lo, exec_lo, s26
	s_delay_alu instid0(SALU_CYCLE_1)
	s_and_b32 s7, s7, exec_lo
	s_or_saveexec_b32 s25, s25
	v_mov_b32_e32 v115, s24
	s_xor_b32 exec_lo, exec_lo, s25
	s_cbranch_execz .LBB4_3420
.LBB4_4281:                             ;   in Loop: Header=BB4_3272 Depth=2
	v_cmp_ne_u16_e32 vcc_lo, 0, v114
	v_mov_b32_e32 v115, 0
	s_and_not1_b32 s7, s7, exec_lo
	s_and_b32 s24, vcc_lo, exec_lo
	s_delay_alu instid0(SALU_CYCLE_1)
	s_or_b32 s7, s7, s24
	s_or_b32 exec_lo, exec_lo, s25
	s_and_saveexec_b32 s24, s7
	s_cbranch_execnz .LBB4_3421
	s_branch .LBB4_3422
.LBB4_4282:                             ;   in Loop: Header=BB4_3272 Depth=2
	s_mov_b32 s7, -1
	s_mov_b32 s26, exec_lo
                                        ; implicit-def: $sgpr24
	v_cmpx_eq_u16_e32 0x80, v113
; %bb.4283:                             ;   in Loop: Header=BB4_3272 Depth=2
	s_mov_b32 s24, 0x7f800001
	s_xor_b32 s7, exec_lo, -1
; %bb.4284:                             ;   in Loop: Header=BB4_3272 Depth=2
	s_or_b32 exec_lo, exec_lo, s26
	s_delay_alu instid0(SALU_CYCLE_1)
	s_and_b32 s7, s7, exec_lo
	s_or_saveexec_b32 s25, s25
	v_mov_b32_e32 v116, s24
	s_xor_b32 exec_lo, exec_lo, s25
	s_cbranch_execz .LBB4_3424
.LBB4_4285:                             ;   in Loop: Header=BB4_3272 Depth=2
	v_cmp_ne_u16_e32 vcc_lo, 0, v113
	v_mov_b32_e32 v116, 0
	s_and_not1_b32 s7, s7, exec_lo
	s_and_b32 s24, vcc_lo, exec_lo
	s_delay_alu instid0(SALU_CYCLE_1)
	s_or_b32 s7, s7, s24
	s_or_b32 exec_lo, exec_lo, s25
	s_and_saveexec_b32 s24, s7
	s_cbranch_execnz .LBB4_3425
	s_branch .LBB4_3426
.LBB4_4286:                             ;   in Loop: Header=BB4_3272 Depth=2
	s_mov_b32 s7, -1
	s_mov_b32 s26, exec_lo
                                        ; implicit-def: $sgpr24
	v_cmpx_eq_u16_e32 0x80, v114
; %bb.4287:                             ;   in Loop: Header=BB4_3272 Depth=2
	s_mov_b32 s24, 0x7f800001
	s_xor_b32 s7, exec_lo, -1
; %bb.4288:                             ;   in Loop: Header=BB4_3272 Depth=2
	s_or_b32 exec_lo, exec_lo, s26
	s_delay_alu instid0(SALU_CYCLE_1)
	s_and_b32 s7, s7, exec_lo
	s_or_saveexec_b32 s25, s25
	v_mov_b32_e32 v115, s24
	s_xor_b32 exec_lo, exec_lo, s25
	s_cbranch_execz .LBB4_3431
.LBB4_4289:                             ;   in Loop: Header=BB4_3272 Depth=2
	v_cmp_ne_u16_e32 vcc_lo, 0, v114
	v_mov_b32_e32 v115, 0
	s_and_not1_b32 s7, s7, exec_lo
	s_and_b32 s24, vcc_lo, exec_lo
	s_delay_alu instid0(SALU_CYCLE_1)
	s_or_b32 s7, s7, s24
	s_or_b32 exec_lo, exec_lo, s25
	s_and_saveexec_b32 s24, s7
	s_cbranch_execnz .LBB4_3432
	s_branch .LBB4_3433
.LBB4_4290:                             ;   in Loop: Header=BB4_3272 Depth=2
	s_mov_b32 s7, -1
	s_mov_b32 s26, exec_lo
                                        ; implicit-def: $sgpr24
	v_cmpx_eq_u16_e32 0x80, v113
; %bb.4291:                             ;   in Loop: Header=BB4_3272 Depth=2
	s_mov_b32 s24, 0x7f800001
	s_xor_b32 s7, exec_lo, -1
; %bb.4292:                             ;   in Loop: Header=BB4_3272 Depth=2
	s_or_b32 exec_lo, exec_lo, s26
	s_delay_alu instid0(SALU_CYCLE_1)
	s_and_b32 s7, s7, exec_lo
	s_or_saveexec_b32 s25, s25
	v_mov_b32_e32 v114, s24
	s_xor_b32 exec_lo, exec_lo, s25
	s_cbranch_execz .LBB4_3435
.LBB4_4293:                             ;   in Loop: Header=BB4_3272 Depth=2
	v_cmp_ne_u16_e32 vcc_lo, 0, v113
	v_mov_b32_e32 v114, 0
	s_and_not1_b32 s7, s7, exec_lo
	s_and_b32 s24, vcc_lo, exec_lo
	s_delay_alu instid0(SALU_CYCLE_1)
	s_or_b32 s7, s7, s24
	s_or_b32 exec_lo, exec_lo, s25
	s_and_saveexec_b32 s24, s7
	s_cbranch_execnz .LBB4_3436
	s_branch .LBB4_3437
.LBB4_4294:                             ;   in Loop: Header=BB4_3272 Depth=2
	s_mov_b32 s7, -1
	s_mov_b32 s26, exec_lo
                                        ; implicit-def: $sgpr24
	v_cmpx_eq_u16_e32 0x80, v117
; %bb.4295:                             ;   in Loop: Header=BB4_3272 Depth=2
	s_mov_b32 s24, 0x7f800001
	s_xor_b32 s7, exec_lo, -1
; %bb.4296:                             ;   in Loop: Header=BB4_3272 Depth=2
	s_or_b32 exec_lo, exec_lo, s26
	s_delay_alu instid0(SALU_CYCLE_1)
	s_and_b32 s7, s7, exec_lo
                                        ; implicit-def: $vgpr117
	s_or_saveexec_b32 s25, s25
	v_mov_b32_e32 v116, s24
	s_xor_b32 exec_lo, exec_lo, s25
	s_cbranch_execz .LBB4_3449
.LBB4_4297:                             ;   in Loop: Header=BB4_3272 Depth=2
	v_cmp_ne_u16_e32 vcc_lo, 0, v117
	v_mov_b32_e32 v116, 0
	s_and_not1_b32 s7, s7, exec_lo
	s_and_b32 s24, vcc_lo, exec_lo
	s_delay_alu instid0(SALU_CYCLE_1)
	s_or_b32 s7, s7, s24
	s_or_b32 exec_lo, exec_lo, s25
	s_and_saveexec_b32 s24, s7
	s_cbranch_execnz .LBB4_3450
	s_branch .LBB4_3451
.LBB4_4298:                             ;   in Loop: Header=BB4_3272 Depth=2
	s_mov_b32 s7, -1
	s_mov_b32 s26, exec_lo
                                        ; implicit-def: $sgpr24
	v_cmpx_eq_u16_e32 0x80, v118
; %bb.4299:                             ;   in Loop: Header=BB4_3272 Depth=2
	s_mov_b32 s24, 0x7f800001
	s_xor_b32 s7, exec_lo, -1
; %bb.4300:                             ;   in Loop: Header=BB4_3272 Depth=2
	s_or_b32 exec_lo, exec_lo, s26
	s_delay_alu instid0(SALU_CYCLE_1)
	s_and_b32 s7, s7, exec_lo
                                        ; implicit-def: $vgpr118
	s_or_saveexec_b32 s25, s25
	v_mov_b32_e32 v117, s24
	s_xor_b32 exec_lo, exec_lo, s25
	s_cbranch_execz .LBB4_3453
.LBB4_4301:                             ;   in Loop: Header=BB4_3272 Depth=2
	v_cmp_ne_u16_e32 vcc_lo, 0, v118
	v_mov_b32_e32 v117, 0
	s_and_not1_b32 s7, s7, exec_lo
	s_and_b32 s24, vcc_lo, exec_lo
	s_delay_alu instid0(SALU_CYCLE_1)
	s_or_b32 s7, s7, s24
	s_or_b32 exec_lo, exec_lo, s25
	s_and_saveexec_b32 s24, s7
	s_cbranch_execnz .LBB4_3454
	s_branch .LBB4_3455
.LBB4_4302:                             ;   in Loop: Header=BB4_3272 Depth=2
	s_mov_b32 s7, -1
	s_mov_b32 s26, exec_lo
                                        ; implicit-def: $sgpr24
	v_cmpx_eq_u16_e32 0x80, v117
; %bb.4303:                             ;   in Loop: Header=BB4_3272 Depth=2
	s_mov_b32 s24, 0x7f800001
	s_xor_b32 s7, exec_lo, -1
; %bb.4304:                             ;   in Loop: Header=BB4_3272 Depth=2
	s_or_b32 exec_lo, exec_lo, s26
	s_delay_alu instid0(SALU_CYCLE_1)
	s_and_b32 s7, s7, exec_lo
                                        ; implicit-def: $vgpr117
	s_or_saveexec_b32 s25, s25
	v_mov_b32_e32 v116, s24
	s_xor_b32 exec_lo, exec_lo, s25
	s_cbranch_execz .LBB4_3460
.LBB4_4305:                             ;   in Loop: Header=BB4_3272 Depth=2
	v_cmp_ne_u16_e32 vcc_lo, 0, v117
	v_mov_b32_e32 v116, 0
	s_and_not1_b32 s7, s7, exec_lo
	s_and_b32 s24, vcc_lo, exec_lo
	s_delay_alu instid0(SALU_CYCLE_1)
	s_or_b32 s7, s7, s24
	s_or_b32 exec_lo, exec_lo, s25
	s_and_saveexec_b32 s24, s7
	s_cbranch_execnz .LBB4_3461
	s_branch .LBB4_3462
.LBB4_4306:                             ;   in Loop: Header=BB4_3272 Depth=2
	s_mov_b32 s7, -1
	s_mov_b32 s26, exec_lo
                                        ; implicit-def: $sgpr24
	v_cmpx_eq_u16_e32 0x80, v117
; %bb.4307:                             ;   in Loop: Header=BB4_3272 Depth=2
	s_mov_b32 s24, 0x7f800001
	s_xor_b32 s7, exec_lo, -1
; %bb.4308:                             ;   in Loop: Header=BB4_3272 Depth=2
	s_or_b32 exec_lo, exec_lo, s26
	s_delay_alu instid0(SALU_CYCLE_1)
	s_and_b32 s7, s7, exec_lo
                                        ; implicit-def: $vgpr117
	s_or_saveexec_b32 s25, s25
	v_mov_b32_e32 v115, s24
	s_xor_b32 exec_lo, exec_lo, s25
	s_cbranch_execz .LBB4_3464
.LBB4_4309:                             ;   in Loop: Header=BB4_3272 Depth=2
	v_cmp_ne_u16_e32 vcc_lo, 0, v117
	v_mov_b32_e32 v115, 0
	s_and_not1_b32 s7, s7, exec_lo
	s_and_b32 s24, vcc_lo, exec_lo
	s_delay_alu instid0(SALU_CYCLE_1)
	s_or_b32 s7, s7, s24
	s_or_b32 exec_lo, exec_lo, s25
	s_and_saveexec_b32 s24, s7
	s_cbranch_execnz .LBB4_3465
	s_branch .LBB4_3466
.LBB4_4310:                             ;   in Loop: Header=BB4_3272 Depth=2
	s_mov_b32 s7, -1
	s_mov_b32 s26, exec_lo
                                        ; implicit-def: $sgpr24
	v_cmpx_eq_u16_e32 0x80, v116
; %bb.4311:                             ;   in Loop: Header=BB4_3272 Depth=2
	s_mov_b32 s24, 0x7f800001
	s_xor_b32 s7, exec_lo, -1
; %bb.4312:                             ;   in Loop: Header=BB4_3272 Depth=2
	s_or_b32 exec_lo, exec_lo, s26
	s_delay_alu instid0(SALU_CYCLE_1)
	s_and_b32 s7, s7, exec_lo
	s_or_saveexec_b32 s25, s25
	v_mov_b32_e32 v117, s24
	s_xor_b32 exec_lo, exec_lo, s25
	s_cbranch_execz .LBB4_3478
.LBB4_4313:                             ;   in Loop: Header=BB4_3272 Depth=2
	v_cmp_ne_u16_e32 vcc_lo, 0, v116
	v_mov_b32_e32 v117, 0
	s_and_not1_b32 s7, s7, exec_lo
	s_and_b32 s24, vcc_lo, exec_lo
	s_delay_alu instid0(SALU_CYCLE_1)
	s_or_b32 s7, s7, s24
	s_or_b32 exec_lo, exec_lo, s25
	s_and_saveexec_b32 s24, s7
	s_cbranch_execnz .LBB4_3479
	s_branch .LBB4_3480
.LBB4_4314:                             ;   in Loop: Header=BB4_3272 Depth=2
	s_mov_b32 s7, -1
	s_mov_b32 s26, exec_lo
                                        ; implicit-def: $sgpr24
	v_cmpx_eq_u16_e32 0x80, v115
; %bb.4315:                             ;   in Loop: Header=BB4_3272 Depth=2
	s_mov_b32 s24, 0x7f800001
	s_xor_b32 s7, exec_lo, -1
; %bb.4316:                             ;   in Loop: Header=BB4_3272 Depth=2
	s_or_b32 exec_lo, exec_lo, s26
	s_delay_alu instid0(SALU_CYCLE_1)
	s_and_b32 s7, s7, exec_lo
	s_or_saveexec_b32 s25, s25
	v_mov_b32_e32 v118, s24
	s_xor_b32 exec_lo, exec_lo, s25
	s_cbranch_execz .LBB4_3482
.LBB4_4317:                             ;   in Loop: Header=BB4_3272 Depth=2
	v_cmp_ne_u16_e32 vcc_lo, 0, v115
	v_mov_b32_e32 v118, 0
	s_and_not1_b32 s7, s7, exec_lo
	s_and_b32 s24, vcc_lo, exec_lo
	s_delay_alu instid0(SALU_CYCLE_1)
	s_or_b32 s7, s7, s24
	s_or_b32 exec_lo, exec_lo, s25
	s_and_saveexec_b32 s24, s7
	s_cbranch_execnz .LBB4_3483
	s_branch .LBB4_3484
.LBB4_4318:                             ;   in Loop: Header=BB4_3272 Depth=2
	s_mov_b32 s7, -1
	s_mov_b32 s26, exec_lo
                                        ; implicit-def: $sgpr24
	v_cmpx_eq_u16_e32 0x80, v116
; %bb.4319:                             ;   in Loop: Header=BB4_3272 Depth=2
	s_mov_b32 s24, 0x7f800001
	s_xor_b32 s7, exec_lo, -1
; %bb.4320:                             ;   in Loop: Header=BB4_3272 Depth=2
	s_or_b32 exec_lo, exec_lo, s26
	s_delay_alu instid0(SALU_CYCLE_1)
	s_and_b32 s7, s7, exec_lo
	s_or_saveexec_b32 s25, s25
	v_mov_b32_e32 v117, s24
	s_xor_b32 exec_lo, exec_lo, s25
	s_cbranch_execz .LBB4_3489
.LBB4_4321:                             ;   in Loop: Header=BB4_3272 Depth=2
	v_cmp_ne_u16_e32 vcc_lo, 0, v116
	v_mov_b32_e32 v117, 0
	s_and_not1_b32 s7, s7, exec_lo
	s_and_b32 s24, vcc_lo, exec_lo
	s_delay_alu instid0(SALU_CYCLE_1)
	s_or_b32 s7, s7, s24
	s_or_b32 exec_lo, exec_lo, s25
	s_and_saveexec_b32 s24, s7
	s_cbranch_execnz .LBB4_3490
	s_branch .LBB4_3491
.LBB4_4322:                             ;   in Loop: Header=BB4_3272 Depth=2
	s_mov_b32 s7, -1
	s_mov_b32 s26, exec_lo
                                        ; implicit-def: $sgpr24
	v_cmpx_eq_u16_e32 0x80, v115
; %bb.4323:                             ;   in Loop: Header=BB4_3272 Depth=2
	s_mov_b32 s24, 0x7f800001
	s_xor_b32 s7, exec_lo, -1
; %bb.4324:                             ;   in Loop: Header=BB4_3272 Depth=2
	s_or_b32 exec_lo, exec_lo, s26
	s_delay_alu instid0(SALU_CYCLE_1)
	s_and_b32 s7, s7, exec_lo
	s_or_saveexec_b32 s25, s25
	v_mov_b32_e32 v23, s24
	s_xor_b32 exec_lo, exec_lo, s25
	s_cbranch_execz .LBB4_3493
.LBB4_4325:                             ;   in Loop: Header=BB4_3272 Depth=2
	v_cmp_ne_u16_e32 vcc_lo, 0, v115
	v_mov_b32_e32 v23, 0
	s_and_not1_b32 s7, s7, exec_lo
	s_and_b32 s24, vcc_lo, exec_lo
	s_delay_alu instid0(SALU_CYCLE_1)
	s_or_b32 s7, s7, s24
	s_or_b32 exec_lo, exec_lo, s25
	s_and_saveexec_b32 s24, s7
	s_cbranch_execnz .LBB4_3494
	s_branch .LBB4_3495
.LBB4_4326:                             ;   in Loop: Header=BB4_3272 Depth=2
	s_mov_b32 s7, -1
	s_mov_b32 s26, exec_lo
                                        ; implicit-def: $sgpr24
	v_cmpx_eq_u16_e32 0x80, v115
; %bb.4327:                             ;   in Loop: Header=BB4_3272 Depth=2
	s_mov_b32 s24, 0x7f800001
	s_xor_b32 s7, exec_lo, -1
; %bb.4328:                             ;   in Loop: Header=BB4_3272 Depth=2
	s_or_b32 exec_lo, exec_lo, s26
	s_delay_alu instid0(SALU_CYCLE_1)
	s_and_b32 s7, s7, exec_lo
                                        ; implicit-def: $vgpr115
	s_or_saveexec_b32 s25, s25
	v_mov_b32_e32 v23, s24
	s_xor_b32 exec_lo, exec_lo, s25
	s_cbranch_execz .LBB4_3507
.LBB4_4329:                             ;   in Loop: Header=BB4_3272 Depth=2
	v_cmp_ne_u16_e32 vcc_lo, 0, v115
	v_mov_b32_e32 v23, 0
	s_and_not1_b32 s7, s7, exec_lo
	s_and_b32 s24, vcc_lo, exec_lo
	s_delay_alu instid0(SALU_CYCLE_1)
	s_or_b32 s7, s7, s24
	s_or_b32 exec_lo, exec_lo, s25
	s_and_saveexec_b32 s24, s7
	s_cbranch_execnz .LBB4_3508
	s_branch .LBB4_3509
.LBB4_4330:                             ;   in Loop: Header=BB4_3272 Depth=2
	s_mov_b32 s7, -1
	s_mov_b32 s26, exec_lo
                                        ; implicit-def: $sgpr24
	v_cmpx_eq_u16_e32 0x80, v116
; %bb.4331:                             ;   in Loop: Header=BB4_3272 Depth=2
	s_mov_b32 s24, 0x7f800001
	s_xor_b32 s7, exec_lo, -1
; %bb.4332:                             ;   in Loop: Header=BB4_3272 Depth=2
	s_or_b32 exec_lo, exec_lo, s26
	s_delay_alu instid0(SALU_CYCLE_1)
	s_and_b32 s7, s7, exec_lo
                                        ; implicit-def: $vgpr116
	s_or_saveexec_b32 s25, s25
	v_mov_b32_e32 v115, s24
	s_xor_b32 exec_lo, exec_lo, s25
	s_cbranch_execz .LBB4_3511
.LBB4_4333:                             ;   in Loop: Header=BB4_3272 Depth=2
	v_cmp_ne_u16_e32 vcc_lo, 0, v116
	v_mov_b32_e32 v115, 0
	s_and_not1_b32 s7, s7, exec_lo
	s_and_b32 s24, vcc_lo, exec_lo
	s_delay_alu instid0(SALU_CYCLE_1)
	s_or_b32 s7, s7, s24
	s_or_b32 exec_lo, exec_lo, s25
	s_and_saveexec_b32 s24, s7
	s_cbranch_execnz .LBB4_3512
	s_branch .LBB4_3513
.LBB4_4334:                             ;   in Loop: Header=BB4_3272 Depth=2
	s_mov_b32 s7, -1
	s_mov_b32 s26, exec_lo
                                        ; implicit-def: $sgpr24
	v_cmpx_eq_u16_e32 0x80, v115
; %bb.4335:                             ;   in Loop: Header=BB4_3272 Depth=2
	s_mov_b32 s24, 0x7f800001
	s_xor_b32 s7, exec_lo, -1
; %bb.4336:                             ;   in Loop: Header=BB4_3272 Depth=2
	s_or_b32 exec_lo, exec_lo, s26
	s_delay_alu instid0(SALU_CYCLE_1)
	s_and_b32 s7, s7, exec_lo
                                        ; implicit-def: $vgpr115
	s_or_saveexec_b32 s25, s25
	v_mov_b32_e32 v23, s24
	s_xor_b32 exec_lo, exec_lo, s25
	s_cbranch_execz .LBB4_3518
.LBB4_4337:                             ;   in Loop: Header=BB4_3272 Depth=2
	v_cmp_ne_u16_e32 vcc_lo, 0, v115
	v_mov_b32_e32 v23, 0
	s_and_not1_b32 s7, s7, exec_lo
	s_and_b32 s24, vcc_lo, exec_lo
	s_delay_alu instid0(SALU_CYCLE_1)
	s_or_b32 s7, s7, s24
	s_or_b32 exec_lo, exec_lo, s25
	s_and_saveexec_b32 s24, s7
	s_cbranch_execnz .LBB4_3519
	s_branch .LBB4_3520
.LBB4_4338:                             ;   in Loop: Header=BB4_3272 Depth=2
	s_mov_b32 s7, -1
	s_mov_b32 s26, exec_lo
                                        ; implicit-def: $sgpr24
	v_cmpx_eq_u16_e32 0x80, v116
; %bb.4339:                             ;   in Loop: Header=BB4_3272 Depth=2
	s_mov_b32 s24, 0x7f800001
	s_xor_b32 s7, exec_lo, -1
; %bb.4340:                             ;   in Loop: Header=BB4_3272 Depth=2
	s_or_b32 exec_lo, exec_lo, s26
	s_delay_alu instid0(SALU_CYCLE_1)
	s_and_b32 s7, s7, exec_lo
                                        ; implicit-def: $vgpr116
	s_or_saveexec_b32 s25, s25
	v_mov_b32_e32 v115, s24
	s_xor_b32 exec_lo, exec_lo, s25
	s_cbranch_execz .LBB4_3522
.LBB4_4341:                             ;   in Loop: Header=BB4_3272 Depth=2
	v_cmp_ne_u16_e32 vcc_lo, 0, v116
	v_mov_b32_e32 v115, 0
	s_and_not1_b32 s7, s7, exec_lo
	s_and_b32 s24, vcc_lo, exec_lo
	s_delay_alu instid0(SALU_CYCLE_1)
	s_or_b32 s7, s7, s24
	s_or_b32 exec_lo, exec_lo, s25
	s_and_saveexec_b32 s24, s7
	s_cbranch_execnz .LBB4_3523
	s_branch .LBB4_3524
.LBB4_4342:                             ;   in Loop: Header=BB4_3272 Depth=2
	s_mov_b32 s7, -1
	s_mov_b32 s26, exec_lo
                                        ; implicit-def: $sgpr24
	v_cmpx_eq_u16_e32 0x80, v116
; %bb.4343:                             ;   in Loop: Header=BB4_3272 Depth=2
	s_mov_b32 s24, 0x7f800001
	s_xor_b32 s7, exec_lo, -1
; %bb.4344:                             ;   in Loop: Header=BB4_3272 Depth=2
	s_or_b32 exec_lo, exec_lo, s26
	s_delay_alu instid0(SALU_CYCLE_1)
	s_and_b32 s7, s7, exec_lo
	s_or_saveexec_b32 s25, s25
	v_mov_b32_e32 v117, s24
	s_xor_b32 exec_lo, exec_lo, s25
	s_cbranch_execz .LBB4_3536
.LBB4_4345:                             ;   in Loop: Header=BB4_3272 Depth=2
	v_cmp_ne_u16_e32 vcc_lo, 0, v116
	v_mov_b32_e32 v117, 0
	s_and_not1_b32 s7, s7, exec_lo
	s_and_b32 s24, vcc_lo, exec_lo
	s_delay_alu instid0(SALU_CYCLE_1)
	s_or_b32 s7, s7, s24
	s_or_b32 exec_lo, exec_lo, s25
	s_and_saveexec_b32 s24, s7
	s_cbranch_execnz .LBB4_3537
	s_branch .LBB4_3538
.LBB4_4346:                             ;   in Loop: Header=BB4_3272 Depth=2
	s_mov_b32 s7, -1
	s_mov_b32 s26, exec_lo
                                        ; implicit-def: $sgpr24
	v_cmpx_eq_u16_e32 0x80, v115
; %bb.4347:                             ;   in Loop: Header=BB4_3272 Depth=2
	s_mov_b32 s24, 0x7f800001
	s_xor_b32 s7, exec_lo, -1
; %bb.4348:                             ;   in Loop: Header=BB4_3272 Depth=2
	s_or_b32 exec_lo, exec_lo, s26
	s_delay_alu instid0(SALU_CYCLE_1)
	s_and_b32 s7, s7, exec_lo
	s_or_saveexec_b32 s25, s25
	v_mov_b32_e32 v118, s24
	s_xor_b32 exec_lo, exec_lo, s25
	s_cbranch_execz .LBB4_3540
.LBB4_4349:                             ;   in Loop: Header=BB4_3272 Depth=2
	v_cmp_ne_u16_e32 vcc_lo, 0, v115
	v_mov_b32_e32 v118, 0
	s_and_not1_b32 s7, s7, exec_lo
	s_and_b32 s24, vcc_lo, exec_lo
	s_delay_alu instid0(SALU_CYCLE_1)
	s_or_b32 s7, s7, s24
	s_or_b32 exec_lo, exec_lo, s25
	s_and_saveexec_b32 s24, s7
	s_cbranch_execnz .LBB4_3541
	s_branch .LBB4_3542
.LBB4_4350:                             ;   in Loop: Header=BB4_3272 Depth=2
	s_mov_b32 s7, -1
	s_mov_b32 s26, exec_lo
                                        ; implicit-def: $sgpr24
	v_cmpx_eq_u16_e32 0x80, v116
; %bb.4351:                             ;   in Loop: Header=BB4_3272 Depth=2
	s_mov_b32 s24, 0x7f800001
	s_xor_b32 s7, exec_lo, -1
; %bb.4352:                             ;   in Loop: Header=BB4_3272 Depth=2
	s_or_b32 exec_lo, exec_lo, s26
	s_delay_alu instid0(SALU_CYCLE_1)
	s_and_b32 s7, s7, exec_lo
	s_or_saveexec_b32 s25, s25
	v_mov_b32_e32 v117, s24
	s_xor_b32 exec_lo, exec_lo, s25
	s_cbranch_execz .LBB4_3547
.LBB4_4353:                             ;   in Loop: Header=BB4_3272 Depth=2
	v_cmp_ne_u16_e32 vcc_lo, 0, v116
	v_mov_b32_e32 v117, 0
	s_and_not1_b32 s7, s7, exec_lo
	s_and_b32 s24, vcc_lo, exec_lo
	s_delay_alu instid0(SALU_CYCLE_1)
	s_or_b32 s7, s7, s24
	s_or_b32 exec_lo, exec_lo, s25
	s_and_saveexec_b32 s24, s7
	s_cbranch_execnz .LBB4_3548
	s_branch .LBB4_3549
.LBB4_4354:                             ;   in Loop: Header=BB4_3272 Depth=2
	s_mov_b32 s7, -1
	s_mov_b32 s26, exec_lo
                                        ; implicit-def: $sgpr24
	v_cmpx_eq_u16_e32 0x80, v115
; %bb.4355:                             ;   in Loop: Header=BB4_3272 Depth=2
	s_mov_b32 s24, 0x7f800001
	s_xor_b32 s7, exec_lo, -1
; %bb.4356:                             ;   in Loop: Header=BB4_3272 Depth=2
	s_or_b32 exec_lo, exec_lo, s26
	s_delay_alu instid0(SALU_CYCLE_1)
	s_and_b32 s7, s7, exec_lo
	s_or_saveexec_b32 s25, s25
	v_mov_b32_e32 v116, s24
	s_xor_b32 exec_lo, exec_lo, s25
	s_cbranch_execz .LBB4_3551
.LBB4_4357:                             ;   in Loop: Header=BB4_3272 Depth=2
	v_cmp_ne_u16_e32 vcc_lo, 0, v115
	v_mov_b32_e32 v116, 0
	s_and_not1_b32 s7, s7, exec_lo
	s_and_b32 s24, vcc_lo, exec_lo
	s_delay_alu instid0(SALU_CYCLE_1)
	s_or_b32 s7, s7, s24
	s_or_b32 exec_lo, exec_lo, s25
	s_and_saveexec_b32 s24, s7
	s_cbranch_execnz .LBB4_3552
	s_branch .LBB4_3553
.LBB4_4358:                             ;   in Loop: Header=BB4_3272 Depth=2
	s_mov_b32 s7, -1
	s_mov_b32 s26, exec_lo
                                        ; implicit-def: $sgpr24
	v_cmpx_eq_u16_e32 0x80, v119
; %bb.4359:                             ;   in Loop: Header=BB4_3272 Depth=2
	s_mov_b32 s24, 0x7f800001
	s_xor_b32 s7, exec_lo, -1
; %bb.4360:                             ;   in Loop: Header=BB4_3272 Depth=2
	s_or_b32 exec_lo, exec_lo, s26
	s_delay_alu instid0(SALU_CYCLE_1)
	s_and_b32 s7, s7, exec_lo
                                        ; implicit-def: $vgpr119
	s_or_saveexec_b32 s25, s25
	v_mov_b32_e32 v118, s24
	s_xor_b32 exec_lo, exec_lo, s25
	s_cbranch_execz .LBB4_3565
.LBB4_4361:                             ;   in Loop: Header=BB4_3272 Depth=2
	v_cmp_ne_u16_e32 vcc_lo, 0, v119
	v_mov_b32_e32 v118, 0
	s_and_not1_b32 s7, s7, exec_lo
	s_and_b32 s24, vcc_lo, exec_lo
	s_delay_alu instid0(SALU_CYCLE_1)
	s_or_b32 s7, s7, s24
	s_or_b32 exec_lo, exec_lo, s25
	s_and_saveexec_b32 s24, s7
	s_cbranch_execnz .LBB4_3566
	s_branch .LBB4_3567
.LBB4_4362:                             ;   in Loop: Header=BB4_3272 Depth=2
	s_mov_b32 s7, -1
	s_mov_b32 s26, exec_lo
                                        ; implicit-def: $sgpr24
	v_cmpx_eq_u16_e64 0x80, v128
; %bb.4363:                             ;   in Loop: Header=BB4_3272 Depth=2
	s_mov_b32 s24, 0x7f800001
	s_xor_b32 s7, exec_lo, -1
; %bb.4364:                             ;   in Loop: Header=BB4_3272 Depth=2
	s_or_b32 exec_lo, exec_lo, s26
	s_delay_alu instid0(SALU_CYCLE_1)
	s_and_b32 s7, s7, exec_lo
                                        ; implicit-def: $vgpr128
	s_or_saveexec_b32 s25, s25
	v_mov_b32_e32 v119, s24
	s_xor_b32 exec_lo, exec_lo, s25
	s_cbranch_execz .LBB4_3569
.LBB4_4365:                             ;   in Loop: Header=BB4_3272 Depth=2
	v_cmp_ne_u16_e64 vcc_lo, 0, v128
	v_mov_b32_e32 v119, 0
	s_and_not1_b32 s7, s7, exec_lo
	s_delay_alu instid0(VALU_DEP_2) | instskip(NEXT) | instid1(SALU_CYCLE_1)
	s_and_b32 s24, vcc_lo, exec_lo
	s_or_b32 s7, s7, s24
	s_or_b32 exec_lo, exec_lo, s25
	s_and_saveexec_b32 s24, s7
	s_cbranch_execnz .LBB4_3570
	s_branch .LBB4_3571
.LBB4_4366:                             ;   in Loop: Header=BB4_3272 Depth=2
	s_mov_b32 s7, -1
	s_mov_b32 s26, exec_lo
                                        ; implicit-def: $sgpr24
	v_cmpx_eq_u16_e32 0x80, v119
; %bb.4367:                             ;   in Loop: Header=BB4_3272 Depth=2
	s_mov_b32 s24, 0x7f800001
	s_xor_b32 s7, exec_lo, -1
; %bb.4368:                             ;   in Loop: Header=BB4_3272 Depth=2
	s_or_b32 exec_lo, exec_lo, s26
	s_delay_alu instid0(SALU_CYCLE_1)
	s_and_b32 s7, s7, exec_lo
                                        ; implicit-def: $vgpr119
	s_or_saveexec_b32 s25, s25
	v_mov_b32_e32 v118, s24
	s_xor_b32 exec_lo, exec_lo, s25
	s_cbranch_execz .LBB4_3576
.LBB4_4369:                             ;   in Loop: Header=BB4_3272 Depth=2
	v_cmp_ne_u16_e32 vcc_lo, 0, v119
	v_mov_b32_e32 v118, 0
	s_and_not1_b32 s7, s7, exec_lo
	s_and_b32 s24, vcc_lo, exec_lo
	s_delay_alu instid0(SALU_CYCLE_1)
	s_or_b32 s7, s7, s24
	s_or_b32 exec_lo, exec_lo, s25
	s_and_saveexec_b32 s24, s7
	s_cbranch_execnz .LBB4_3577
	s_branch .LBB4_3578
.LBB4_4370:                             ;   in Loop: Header=BB4_3272 Depth=2
	s_mov_b32 s7, -1
	s_mov_b32 s26, exec_lo
                                        ; implicit-def: $sgpr24
	v_cmpx_eq_u16_e32 0x80, v119
; %bb.4371:                             ;   in Loop: Header=BB4_3272 Depth=2
	s_mov_b32 s24, 0x7f800001
	s_xor_b32 s7, exec_lo, -1
; %bb.4372:                             ;   in Loop: Header=BB4_3272 Depth=2
	s_or_b32 exec_lo, exec_lo, s26
	s_delay_alu instid0(SALU_CYCLE_1)
	s_and_b32 s7, s7, exec_lo
                                        ; implicit-def: $vgpr119
	s_or_saveexec_b32 s25, s25
	v_mov_b32_e32 v117, s24
	s_xor_b32 exec_lo, exec_lo, s25
	s_cbranch_execz .LBB4_3580
.LBB4_4373:                             ;   in Loop: Header=BB4_3272 Depth=2
	v_cmp_ne_u16_e32 vcc_lo, 0, v119
	v_mov_b32_e32 v117, 0
	s_and_not1_b32 s7, s7, exec_lo
	s_and_b32 s24, vcc_lo, exec_lo
	s_delay_alu instid0(SALU_CYCLE_1)
	s_or_b32 s7, s7, s24
	s_or_b32 exec_lo, exec_lo, s25
	s_and_saveexec_b32 s24, s7
	s_cbranch_execnz .LBB4_3581
	s_branch .LBB4_3582
.LBB4_4374:                             ;   in Loop: Header=BB4_3272 Depth=2
	s_mov_b32 s7, -1
	s_mov_b32 s26, exec_lo
                                        ; implicit-def: $sgpr24
	v_cmpx_eq_u16_e32 0x80, v118
; %bb.4375:                             ;   in Loop: Header=BB4_3272 Depth=2
	s_mov_b32 s24, 0x7f800001
	s_xor_b32 s7, exec_lo, -1
; %bb.4376:                             ;   in Loop: Header=BB4_3272 Depth=2
	s_or_b32 exec_lo, exec_lo, s26
	s_delay_alu instid0(SALU_CYCLE_1)
	s_and_b32 s7, s7, exec_lo
	s_or_saveexec_b32 s25, s25
	v_mov_b32_e32 v119, s24
	s_xor_b32 exec_lo, exec_lo, s25
	s_cbranch_execz .LBB4_3594
.LBB4_4377:                             ;   in Loop: Header=BB4_3272 Depth=2
	v_cmp_ne_u16_e32 vcc_lo, 0, v118
	v_mov_b32_e32 v119, 0
	s_and_not1_b32 s7, s7, exec_lo
	s_and_b32 s24, vcc_lo, exec_lo
	s_delay_alu instid0(SALU_CYCLE_1)
	s_or_b32 s7, s7, s24
	s_or_b32 exec_lo, exec_lo, s25
	s_and_saveexec_b32 s24, s7
	s_cbranch_execnz .LBB4_3595
	s_branch .LBB4_3596
.LBB4_4378:                             ;   in Loop: Header=BB4_3272 Depth=2
	s_mov_b32 s7, -1
	s_mov_b32 s26, exec_lo
                                        ; implicit-def: $sgpr24
	v_cmpx_eq_u16_e32 0x80, v117
; %bb.4379:                             ;   in Loop: Header=BB4_3272 Depth=2
	s_mov_b32 s24, 0x7f800001
	s_xor_b32 s7, exec_lo, -1
; %bb.4380:                             ;   in Loop: Header=BB4_3272 Depth=2
	s_or_b32 exec_lo, exec_lo, s26
	s_delay_alu instid0(SALU_CYCLE_1)
	s_and_b32 s7, s7, exec_lo
	s_or_saveexec_b32 s25, s25
	v_mov_b32_e32 v128, s24
	s_xor_b32 exec_lo, exec_lo, s25
	s_cbranch_execz .LBB4_3598
.LBB4_4381:                             ;   in Loop: Header=BB4_3272 Depth=2
	v_cmp_ne_u16_e32 vcc_lo, 0, v117
	v_mov_b32_e32 v128, 0
	s_and_not1_b32 s7, s7, exec_lo
	s_and_b32 s24, vcc_lo, exec_lo
	s_delay_alu instid0(SALU_CYCLE_1)
	s_or_b32 s7, s7, s24
	s_or_b32 exec_lo, exec_lo, s25
	s_and_saveexec_b32 s24, s7
	s_cbranch_execnz .LBB4_3599
	s_branch .LBB4_3600
.LBB4_4382:                             ;   in Loop: Header=BB4_3272 Depth=2
	s_mov_b32 s7, -1
	s_mov_b32 s26, exec_lo
                                        ; implicit-def: $sgpr24
	v_cmpx_eq_u16_e32 0x80, v118
; %bb.4383:                             ;   in Loop: Header=BB4_3272 Depth=2
	s_mov_b32 s24, 0x7f800001
	s_xor_b32 s7, exec_lo, -1
; %bb.4384:                             ;   in Loop: Header=BB4_3272 Depth=2
	s_or_b32 exec_lo, exec_lo, s26
	s_delay_alu instid0(SALU_CYCLE_1)
	s_and_b32 s7, s7, exec_lo
	s_or_saveexec_b32 s25, s25
	v_mov_b32_e32 v119, s24
	s_xor_b32 exec_lo, exec_lo, s25
	s_cbranch_execz .LBB4_3605
.LBB4_4385:                             ;   in Loop: Header=BB4_3272 Depth=2
	v_cmp_ne_u16_e32 vcc_lo, 0, v118
	v_mov_b32_e32 v119, 0
	s_and_not1_b32 s7, s7, exec_lo
	s_and_b32 s24, vcc_lo, exec_lo
	s_delay_alu instid0(SALU_CYCLE_1)
	s_or_b32 s7, s7, s24
	s_or_b32 exec_lo, exec_lo, s25
	s_and_saveexec_b32 s24, s7
	s_cbranch_execnz .LBB4_3606
	s_branch .LBB4_3607
.LBB4_4386:                             ;   in Loop: Header=BB4_3272 Depth=2
	s_mov_b32 s7, -1
	s_mov_b32 s26, exec_lo
                                        ; implicit-def: $sgpr24
	v_cmpx_eq_u16_e32 0x80, v117
; %bb.4387:                             ;   in Loop: Header=BB4_3272 Depth=2
	s_mov_b32 s24, 0x7f800001
	s_xor_b32 s7, exec_lo, -1
; %bb.4388:                             ;   in Loop: Header=BB4_3272 Depth=2
	s_or_b32 exec_lo, exec_lo, s26
	s_delay_alu instid0(SALU_CYCLE_1)
	s_and_b32 s7, s7, exec_lo
	s_or_saveexec_b32 s25, s25
	v_mov_b32_e32 v24, s24
	s_xor_b32 exec_lo, exec_lo, s25
	s_cbranch_execz .LBB4_3609
.LBB4_4389:                             ;   in Loop: Header=BB4_3272 Depth=2
	v_cmp_ne_u16_e32 vcc_lo, 0, v117
	v_mov_b32_e32 v24, 0
	s_and_not1_b32 s7, s7, exec_lo
	s_and_b32 s24, vcc_lo, exec_lo
	s_delay_alu instid0(SALU_CYCLE_1)
	s_or_b32 s7, s7, s24
	s_or_b32 exec_lo, exec_lo, s25
	s_and_saveexec_b32 s24, s7
	s_cbranch_execnz .LBB4_3610
	s_branch .LBB4_3611
.LBB4_4390:                             ;   in Loop: Header=BB4_3272 Depth=2
	s_mov_b32 s7, -1
	s_mov_b32 s26, exec_lo
                                        ; implicit-def: $sgpr24
	v_cmpx_eq_u16_e32 0x80, v117
; %bb.4391:                             ;   in Loop: Header=BB4_3272 Depth=2
	s_mov_b32 s24, 0x7f800001
	s_xor_b32 s7, exec_lo, -1
; %bb.4392:                             ;   in Loop: Header=BB4_3272 Depth=2
	s_or_b32 exec_lo, exec_lo, s26
	s_delay_alu instid0(SALU_CYCLE_1)
	s_and_b32 s7, s7, exec_lo
                                        ; implicit-def: $vgpr117
	s_or_saveexec_b32 s25, s25
	v_mov_b32_e32 v24, s24
	s_xor_b32 exec_lo, exec_lo, s25
	s_cbranch_execz .LBB4_3623
.LBB4_4393:                             ;   in Loop: Header=BB4_3272 Depth=2
	v_cmp_ne_u16_e32 vcc_lo, 0, v117
	v_mov_b32_e32 v24, 0
	s_and_not1_b32 s7, s7, exec_lo
	s_and_b32 s24, vcc_lo, exec_lo
	s_delay_alu instid0(SALU_CYCLE_1)
	s_or_b32 s7, s7, s24
	s_or_b32 exec_lo, exec_lo, s25
	s_and_saveexec_b32 s24, s7
	s_cbranch_execnz .LBB4_3624
	s_branch .LBB4_3625
.LBB4_4394:                             ;   in Loop: Header=BB4_3272 Depth=2
	s_mov_b32 s7, -1
	s_mov_b32 s26, exec_lo
                                        ; implicit-def: $sgpr24
	v_cmpx_eq_u16_e32 0x80, v118
; %bb.4395:                             ;   in Loop: Header=BB4_3272 Depth=2
	s_mov_b32 s24, 0x7f800001
	s_xor_b32 s7, exec_lo, -1
; %bb.4396:                             ;   in Loop: Header=BB4_3272 Depth=2
	s_or_b32 exec_lo, exec_lo, s26
	s_delay_alu instid0(SALU_CYCLE_1)
	s_and_b32 s7, s7, exec_lo
                                        ; implicit-def: $vgpr118
	s_or_saveexec_b32 s25, s25
	v_mov_b32_e32 v117, s24
	s_xor_b32 exec_lo, exec_lo, s25
	s_cbranch_execz .LBB4_3627
.LBB4_4397:                             ;   in Loop: Header=BB4_3272 Depth=2
	v_cmp_ne_u16_e32 vcc_lo, 0, v118
	v_mov_b32_e32 v117, 0
	s_and_not1_b32 s7, s7, exec_lo
	s_and_b32 s24, vcc_lo, exec_lo
	s_delay_alu instid0(SALU_CYCLE_1)
	s_or_b32 s7, s7, s24
	s_or_b32 exec_lo, exec_lo, s25
	s_and_saveexec_b32 s24, s7
	s_cbranch_execnz .LBB4_3628
	s_branch .LBB4_3629
.LBB4_4398:                             ;   in Loop: Header=BB4_3272 Depth=2
	s_mov_b32 s7, -1
	s_mov_b32 s26, exec_lo
                                        ; implicit-def: $sgpr24
	v_cmpx_eq_u16_e32 0x80, v117
; %bb.4399:                             ;   in Loop: Header=BB4_3272 Depth=2
	s_mov_b32 s24, 0x7f800001
	s_xor_b32 s7, exec_lo, -1
; %bb.4400:                             ;   in Loop: Header=BB4_3272 Depth=2
	s_or_b32 exec_lo, exec_lo, s26
	s_delay_alu instid0(SALU_CYCLE_1)
	s_and_b32 s7, s7, exec_lo
                                        ; implicit-def: $vgpr117
	s_or_saveexec_b32 s25, s25
	v_mov_b32_e32 v24, s24
	s_xor_b32 exec_lo, exec_lo, s25
	s_cbranch_execz .LBB4_3634
.LBB4_4401:                             ;   in Loop: Header=BB4_3272 Depth=2
	v_cmp_ne_u16_e32 vcc_lo, 0, v117
	v_mov_b32_e32 v24, 0
	s_and_not1_b32 s7, s7, exec_lo
	s_and_b32 s24, vcc_lo, exec_lo
	s_delay_alu instid0(SALU_CYCLE_1)
	s_or_b32 s7, s7, s24
	s_or_b32 exec_lo, exec_lo, s25
	s_and_saveexec_b32 s24, s7
	s_cbranch_execnz .LBB4_3635
	s_branch .LBB4_3636
.LBB4_4402:                             ;   in Loop: Header=BB4_3272 Depth=2
	s_mov_b32 s7, -1
	s_mov_b32 s26, exec_lo
                                        ; implicit-def: $sgpr24
	v_cmpx_eq_u16_e32 0x80, v118
; %bb.4403:                             ;   in Loop: Header=BB4_3272 Depth=2
	s_mov_b32 s24, 0x7f800001
	s_xor_b32 s7, exec_lo, -1
; %bb.4404:                             ;   in Loop: Header=BB4_3272 Depth=2
	s_or_b32 exec_lo, exec_lo, s26
	s_delay_alu instid0(SALU_CYCLE_1)
	s_and_b32 s7, s7, exec_lo
                                        ; implicit-def: $vgpr118
	s_or_saveexec_b32 s25, s25
	v_mov_b32_e32 v117, s24
	s_xor_b32 exec_lo, exec_lo, s25
	s_cbranch_execz .LBB4_3638
.LBB4_4405:                             ;   in Loop: Header=BB4_3272 Depth=2
	v_cmp_ne_u16_e32 vcc_lo, 0, v118
	v_mov_b32_e32 v117, 0
	s_and_not1_b32 s7, s7, exec_lo
	s_and_b32 s24, vcc_lo, exec_lo
	s_delay_alu instid0(SALU_CYCLE_1)
	s_or_b32 s7, s7, s24
	s_or_b32 exec_lo, exec_lo, s25
	s_and_saveexec_b32 s24, s7
	s_cbranch_execnz .LBB4_3639
	s_branch .LBB4_3640
.LBB4_4406:                             ;   in Loop: Header=BB4_3272 Depth=2
	s_mov_b32 s7, -1
	s_mov_b32 s26, exec_lo
                                        ; implicit-def: $sgpr24
	v_cmpx_eq_u16_e32 0x80, v118
; %bb.4407:                             ;   in Loop: Header=BB4_3272 Depth=2
	s_mov_b32 s24, 0x7f800001
	s_xor_b32 s7, exec_lo, -1
; %bb.4408:                             ;   in Loop: Header=BB4_3272 Depth=2
	s_or_b32 exec_lo, exec_lo, s26
	s_delay_alu instid0(SALU_CYCLE_1)
	s_and_b32 s7, s7, exec_lo
	s_or_saveexec_b32 s25, s25
	v_mov_b32_e32 v119, s24
	s_xor_b32 exec_lo, exec_lo, s25
	s_cbranch_execz .LBB4_3652
.LBB4_4409:                             ;   in Loop: Header=BB4_3272 Depth=2
	v_cmp_ne_u16_e32 vcc_lo, 0, v118
	v_mov_b32_e32 v119, 0
	s_and_not1_b32 s7, s7, exec_lo
	s_and_b32 s24, vcc_lo, exec_lo
	s_delay_alu instid0(SALU_CYCLE_1)
	s_or_b32 s7, s7, s24
	s_or_b32 exec_lo, exec_lo, s25
	s_and_saveexec_b32 s24, s7
	s_cbranch_execnz .LBB4_3653
	s_branch .LBB4_3654
.LBB4_4410:                             ;   in Loop: Header=BB4_3272 Depth=2
	s_mov_b32 s7, -1
	s_mov_b32 s26, exec_lo
                                        ; implicit-def: $sgpr24
	v_cmpx_eq_u16_e32 0x80, v117
; %bb.4411:                             ;   in Loop: Header=BB4_3272 Depth=2
	s_mov_b32 s24, 0x7f800001
	s_xor_b32 s7, exec_lo, -1
; %bb.4412:                             ;   in Loop: Header=BB4_3272 Depth=2
	s_or_b32 exec_lo, exec_lo, s26
	s_delay_alu instid0(SALU_CYCLE_1)
	s_and_b32 s7, s7, exec_lo
	s_or_saveexec_b32 s25, s25
	v_mov_b32_e32 v128, s24
	s_xor_b32 exec_lo, exec_lo, s25
	s_cbranch_execz .LBB4_3656
.LBB4_4413:                             ;   in Loop: Header=BB4_3272 Depth=2
	v_cmp_ne_u16_e32 vcc_lo, 0, v117
	v_mov_b32_e32 v128, 0
	s_and_not1_b32 s7, s7, exec_lo
	s_and_b32 s24, vcc_lo, exec_lo
	s_delay_alu instid0(SALU_CYCLE_1)
	s_or_b32 s7, s7, s24
	s_or_b32 exec_lo, exec_lo, s25
	s_and_saveexec_b32 s24, s7
	s_cbranch_execnz .LBB4_3657
	s_branch .LBB4_3658
.LBB4_4414:                             ;   in Loop: Header=BB4_3272 Depth=2
	s_mov_b32 s7, -1
	s_mov_b32 s26, exec_lo
                                        ; implicit-def: $sgpr24
	v_cmpx_eq_u16_e32 0x80, v118
; %bb.4415:                             ;   in Loop: Header=BB4_3272 Depth=2
	s_mov_b32 s24, 0x7f800001
	s_xor_b32 s7, exec_lo, -1
; %bb.4416:                             ;   in Loop: Header=BB4_3272 Depth=2
	s_or_b32 exec_lo, exec_lo, s26
	s_delay_alu instid0(SALU_CYCLE_1)
	s_and_b32 s7, s7, exec_lo
	s_or_saveexec_b32 s25, s25
	v_mov_b32_e32 v119, s24
	s_xor_b32 exec_lo, exec_lo, s25
	s_cbranch_execz .LBB4_3663
.LBB4_4417:                             ;   in Loop: Header=BB4_3272 Depth=2
	v_cmp_ne_u16_e32 vcc_lo, 0, v118
	v_mov_b32_e32 v119, 0
	s_and_not1_b32 s7, s7, exec_lo
	s_and_b32 s24, vcc_lo, exec_lo
	s_delay_alu instid0(SALU_CYCLE_1)
	s_or_b32 s7, s7, s24
	s_or_b32 exec_lo, exec_lo, s25
	s_and_saveexec_b32 s24, s7
	s_cbranch_execnz .LBB4_3664
	s_branch .LBB4_3665
.LBB4_4418:                             ;   in Loop: Header=BB4_3272 Depth=2
	s_mov_b32 s7, -1
	s_mov_b32 s26, exec_lo
                                        ; implicit-def: $sgpr24
	v_cmpx_eq_u16_e32 0x80, v117
; %bb.4419:                             ;   in Loop: Header=BB4_3272 Depth=2
	s_mov_b32 s24, 0x7f800001
	s_xor_b32 s7, exec_lo, -1
; %bb.4420:                             ;   in Loop: Header=BB4_3272 Depth=2
	s_or_b32 exec_lo, exec_lo, s26
	s_delay_alu instid0(SALU_CYCLE_1)
	s_and_b32 s7, s7, exec_lo
	s_or_saveexec_b32 s25, s25
	v_mov_b32_e32 v118, s24
	s_xor_b32 exec_lo, exec_lo, s25
	s_cbranch_execz .LBB4_3667
.LBB4_4421:                             ;   in Loop: Header=BB4_3272 Depth=2
	v_cmp_ne_u16_e32 vcc_lo, 0, v117
	v_mov_b32_e32 v118, 0
	s_and_not1_b32 s7, s7, exec_lo
	s_and_b32 s24, vcc_lo, exec_lo
	s_delay_alu instid0(SALU_CYCLE_1)
	s_or_b32 s7, s7, s24
	s_or_b32 exec_lo, exec_lo, s25
	s_and_saveexec_b32 s24, s7
	s_cbranch_execnz .LBB4_3668
	s_branch .LBB4_3669
.LBB4_4422:                             ;   in Loop: Header=BB4_3272 Depth=2
	s_mov_b32 s7, -1
	s_mov_b32 s26, exec_lo
                                        ; implicit-def: $sgpr24
	v_cmpx_eq_u16_e64 0x80, v129
; %bb.4423:                             ;   in Loop: Header=BB4_3272 Depth=2
	s_mov_b32 s24, 0x7f800001
	s_xor_b32 s7, exec_lo, -1
; %bb.4424:                             ;   in Loop: Header=BB4_3272 Depth=2
	s_or_b32 exec_lo, exec_lo, s26
	s_delay_alu instid0(SALU_CYCLE_1)
	s_and_b32 s7, s7, exec_lo
                                        ; implicit-def: $vgpr129
	s_or_saveexec_b32 s25, s25
	v_mov_b32_e32 v128, s24
	s_xor_b32 exec_lo, exec_lo, s25
	s_cbranch_execz .LBB4_3681
.LBB4_4425:                             ;   in Loop: Header=BB4_3272 Depth=2
	v_cmp_ne_u16_e64 vcc_lo, 0, v129
	v_mov_b32_e32 v128, 0
	s_and_not1_b32 s7, s7, exec_lo
	s_delay_alu instid0(VALU_DEP_2) | instskip(NEXT) | instid1(SALU_CYCLE_1)
	s_and_b32 s24, vcc_lo, exec_lo
	s_or_b32 s7, s7, s24
	s_or_b32 exec_lo, exec_lo, s25
	s_and_saveexec_b32 s24, s7
	s_cbranch_execnz .LBB4_3682
	s_branch .LBB4_3683
.LBB4_4426:                             ;   in Loop: Header=BB4_3272 Depth=2
	s_mov_b32 s7, -1
	s_mov_b32 s26, exec_lo
                                        ; implicit-def: $sgpr24
	v_cmpx_eq_u16_e64 0x80, v130
; %bb.4427:                             ;   in Loop: Header=BB4_3272 Depth=2
	s_mov_b32 s24, 0x7f800001
	s_xor_b32 s7, exec_lo, -1
; %bb.4428:                             ;   in Loop: Header=BB4_3272 Depth=2
	s_or_b32 exec_lo, exec_lo, s26
	s_delay_alu instid0(SALU_CYCLE_1)
	s_and_b32 s7, s7, exec_lo
                                        ; implicit-def: $vgpr130
	s_or_saveexec_b32 s25, s25
	v_mov_b32_e32 v129, s24
	s_xor_b32 exec_lo, exec_lo, s25
	s_cbranch_execz .LBB4_3685
.LBB4_4429:                             ;   in Loop: Header=BB4_3272 Depth=2
	v_cmp_ne_u16_e64 vcc_lo, 0, v130
	v_mov_b32_e32 v129, 0
	s_and_not1_b32 s7, s7, exec_lo
	s_delay_alu instid0(VALU_DEP_2) | instskip(NEXT) | instid1(SALU_CYCLE_1)
	s_and_b32 s24, vcc_lo, exec_lo
	s_or_b32 s7, s7, s24
	s_or_b32 exec_lo, exec_lo, s25
	s_and_saveexec_b32 s24, s7
	s_cbranch_execnz .LBB4_3686
	s_branch .LBB4_3687
.LBB4_4430:                             ;   in Loop: Header=BB4_3272 Depth=2
	s_mov_b32 s7, -1
	s_mov_b32 s26, exec_lo
                                        ; implicit-def: $sgpr24
	v_cmpx_eq_u16_e64 0x80, v129
; %bb.4431:                             ;   in Loop: Header=BB4_3272 Depth=2
	s_mov_b32 s24, 0x7f800001
	s_xor_b32 s7, exec_lo, -1
; %bb.4432:                             ;   in Loop: Header=BB4_3272 Depth=2
	s_or_b32 exec_lo, exec_lo, s26
	s_delay_alu instid0(SALU_CYCLE_1)
	s_and_b32 s7, s7, exec_lo
                                        ; implicit-def: $vgpr129
	s_or_saveexec_b32 s25, s25
	v_mov_b32_e32 v128, s24
	s_xor_b32 exec_lo, exec_lo, s25
	s_cbranch_execz .LBB4_3692
.LBB4_4433:                             ;   in Loop: Header=BB4_3272 Depth=2
	v_cmp_ne_u16_e64 vcc_lo, 0, v129
	v_mov_b32_e32 v128, 0
	s_and_not1_b32 s7, s7, exec_lo
	s_delay_alu instid0(VALU_DEP_2) | instskip(NEXT) | instid1(SALU_CYCLE_1)
	s_and_b32 s24, vcc_lo, exec_lo
	s_or_b32 s7, s7, s24
	s_or_b32 exec_lo, exec_lo, s25
	s_and_saveexec_b32 s24, s7
	s_cbranch_execnz .LBB4_3693
	s_branch .LBB4_3694
.LBB4_4434:                             ;   in Loop: Header=BB4_3272 Depth=2
	s_mov_b32 s7, -1
	s_mov_b32 s26, exec_lo
                                        ; implicit-def: $sgpr24
	v_cmpx_eq_u16_e64 0x80, v129
; %bb.4435:                             ;   in Loop: Header=BB4_3272 Depth=2
	s_mov_b32 s24, 0x7f800001
	s_xor_b32 s7, exec_lo, -1
; %bb.4436:                             ;   in Loop: Header=BB4_3272 Depth=2
	s_or_b32 exec_lo, exec_lo, s26
	s_delay_alu instid0(SALU_CYCLE_1)
	s_and_b32 s7, s7, exec_lo
                                        ; implicit-def: $vgpr129
	s_or_saveexec_b32 s25, s25
	v_mov_b32_e32 v119, s24
	s_xor_b32 exec_lo, exec_lo, s25
	s_cbranch_execz .LBB4_3696
.LBB4_4437:                             ;   in Loop: Header=BB4_3272 Depth=2
	v_cmp_ne_u16_e64 vcc_lo, 0, v129
	v_mov_b32_e32 v119, 0
	s_and_not1_b32 s7, s7, exec_lo
	s_delay_alu instid0(VALU_DEP_2) | instskip(NEXT) | instid1(SALU_CYCLE_1)
	s_and_b32 s24, vcc_lo, exec_lo
	s_or_b32 s7, s7, s24
	s_or_b32 exec_lo, exec_lo, s25
	s_and_saveexec_b32 s24, s7
	s_cbranch_execnz .LBB4_3697
	s_branch .LBB4_3698
.LBB4_4438:                             ;   in Loop: Header=BB4_3272 Depth=2
	s_mov_b32 s7, -1
	s_mov_b32 s26, exec_lo
                                        ; implicit-def: $sgpr24
	v_cmpx_eq_u16_e64 0x80, v128
; %bb.4439:                             ;   in Loop: Header=BB4_3272 Depth=2
	s_mov_b32 s24, 0x7f800001
	s_xor_b32 s7, exec_lo, -1
; %bb.4440:                             ;   in Loop: Header=BB4_3272 Depth=2
	s_or_b32 exec_lo, exec_lo, s26
	s_delay_alu instid0(SALU_CYCLE_1)
	s_and_b32 s7, s7, exec_lo
	s_or_saveexec_b32 s25, s25
	v_mov_b32_e32 v129, s24
	s_xor_b32 exec_lo, exec_lo, s25
	s_cbranch_execz .LBB4_3710
.LBB4_4441:                             ;   in Loop: Header=BB4_3272 Depth=2
	v_cmp_ne_u16_e64 vcc_lo, 0, v128
	v_mov_b32_e32 v129, 0
	s_and_not1_b32 s7, s7, exec_lo
	s_delay_alu instid0(VALU_DEP_2) | instskip(NEXT) | instid1(SALU_CYCLE_1)
	s_and_b32 s24, vcc_lo, exec_lo
	s_or_b32 s7, s7, s24
	s_or_b32 exec_lo, exec_lo, s25
	s_and_saveexec_b32 s24, s7
	s_cbranch_execnz .LBB4_3711
	s_branch .LBB4_3712
.LBB4_4442:                             ;   in Loop: Header=BB4_3272 Depth=2
	s_mov_b32 s7, -1
	s_mov_b32 s26, exec_lo
                                        ; implicit-def: $sgpr24
	v_cmpx_eq_u16_e32 0x80, v119
; %bb.4443:                             ;   in Loop: Header=BB4_3272 Depth=2
	s_mov_b32 s24, 0x7f800001
	s_xor_b32 s7, exec_lo, -1
; %bb.4444:                             ;   in Loop: Header=BB4_3272 Depth=2
	s_or_b32 exec_lo, exec_lo, s26
	s_delay_alu instid0(SALU_CYCLE_1)
	s_and_b32 s7, s7, exec_lo
	s_or_saveexec_b32 s25, s25
	v_mov_b32_e32 v130, s24
	s_xor_b32 exec_lo, exec_lo, s25
	s_cbranch_execz .LBB4_3714
.LBB4_4445:                             ;   in Loop: Header=BB4_3272 Depth=2
	v_cmp_ne_u16_e32 vcc_lo, 0, v119
	v_mov_b32_e32 v130, 0
	s_and_not1_b32 s7, s7, exec_lo
	s_and_b32 s24, vcc_lo, exec_lo
	s_delay_alu instid0(SALU_CYCLE_1)
	s_or_b32 s7, s7, s24
	s_or_b32 exec_lo, exec_lo, s25
	s_and_saveexec_b32 s24, s7
	s_cbranch_execnz .LBB4_3715
	s_branch .LBB4_3716
.LBB4_4446:                             ;   in Loop: Header=BB4_3272 Depth=2
	s_mov_b32 s7, -1
	s_mov_b32 s26, exec_lo
                                        ; implicit-def: $sgpr24
	v_cmpx_eq_u16_e64 0x80, v128
; %bb.4447:                             ;   in Loop: Header=BB4_3272 Depth=2
	s_mov_b32 s24, 0x7f800001
	s_xor_b32 s7, exec_lo, -1
; %bb.4448:                             ;   in Loop: Header=BB4_3272 Depth=2
	s_or_b32 exec_lo, exec_lo, s26
	s_delay_alu instid0(SALU_CYCLE_1)
	s_and_b32 s7, s7, exec_lo
	s_or_saveexec_b32 s25, s25
	v_mov_b32_e32 v129, s24
	s_xor_b32 exec_lo, exec_lo, s25
	s_cbranch_execz .LBB4_3721
.LBB4_4449:                             ;   in Loop: Header=BB4_3272 Depth=2
	v_cmp_ne_u16_e64 vcc_lo, 0, v128
	v_mov_b32_e32 v129, 0
	s_and_not1_b32 s7, s7, exec_lo
	s_delay_alu instid0(VALU_DEP_2) | instskip(NEXT) | instid1(SALU_CYCLE_1)
	s_and_b32 s24, vcc_lo, exec_lo
	s_or_b32 s7, s7, s24
	s_or_b32 exec_lo, exec_lo, s25
	s_and_saveexec_b32 s24, s7
	s_cbranch_execnz .LBB4_3722
	s_branch .LBB4_3723
.LBB4_4450:                             ;   in Loop: Header=BB4_3272 Depth=2
	s_mov_b32 s7, -1
	s_mov_b32 s26, exec_lo
                                        ; implicit-def: $sgpr24
	v_cmpx_eq_u16_e32 0x80, v119
; %bb.4451:                             ;   in Loop: Header=BB4_3272 Depth=2
	s_mov_b32 s24, 0x7f800001
	s_xor_b32 s7, exec_lo, -1
; %bb.4452:                             ;   in Loop: Header=BB4_3272 Depth=2
	s_or_b32 exec_lo, exec_lo, s26
	s_delay_alu instid0(SALU_CYCLE_1)
	s_and_b32 s7, s7, exec_lo
	s_or_saveexec_b32 s25, s25
	v_mov_b32_e32 v25, s24
	s_xor_b32 exec_lo, exec_lo, s25
	s_cbranch_execz .LBB4_3725
.LBB4_4453:                             ;   in Loop: Header=BB4_3272 Depth=2
	v_cmp_ne_u16_e32 vcc_lo, 0, v119
	v_mov_b32_e32 v25, 0
	s_and_not1_b32 s7, s7, exec_lo
	s_and_b32 s24, vcc_lo, exec_lo
	s_delay_alu instid0(SALU_CYCLE_1)
	s_or_b32 s7, s7, s24
	s_or_b32 exec_lo, exec_lo, s25
	s_and_saveexec_b32 s24, s7
	s_cbranch_execnz .LBB4_3726
	s_branch .LBB4_3727
.LBB4_4454:                             ;   in Loop: Header=BB4_3272 Depth=2
	s_mov_b32 s7, -1
	s_mov_b32 s26, exec_lo
                                        ; implicit-def: $sgpr24
	v_cmpx_eq_u16_e32 0x80, v119
; %bb.4455:                             ;   in Loop: Header=BB4_3272 Depth=2
	s_mov_b32 s24, 0x7f800001
	s_xor_b32 s7, exec_lo, -1
; %bb.4456:                             ;   in Loop: Header=BB4_3272 Depth=2
	s_or_b32 exec_lo, exec_lo, s26
	s_delay_alu instid0(SALU_CYCLE_1)
	s_and_b32 s7, s7, exec_lo
                                        ; implicit-def: $vgpr119
	s_or_saveexec_b32 s25, s25
	v_mov_b32_e32 v25, s24
	s_xor_b32 exec_lo, exec_lo, s25
	s_cbranch_execz .LBB4_3739
.LBB4_4457:                             ;   in Loop: Header=BB4_3272 Depth=2
	v_cmp_ne_u16_e32 vcc_lo, 0, v119
	v_mov_b32_e32 v25, 0
	s_and_not1_b32 s7, s7, exec_lo
	s_and_b32 s24, vcc_lo, exec_lo
	s_delay_alu instid0(SALU_CYCLE_1)
	s_or_b32 s7, s7, s24
	s_or_b32 exec_lo, exec_lo, s25
	s_and_saveexec_b32 s24, s7
	s_cbranch_execnz .LBB4_3740
	s_branch .LBB4_3741
.LBB4_4458:                             ;   in Loop: Header=BB4_3272 Depth=2
	s_mov_b32 s7, -1
	s_mov_b32 s26, exec_lo
                                        ; implicit-def: $sgpr24
	v_cmpx_eq_u16_e64 0x80, v128
; %bb.4459:                             ;   in Loop: Header=BB4_3272 Depth=2
	s_mov_b32 s24, 0x7f800001
	s_xor_b32 s7, exec_lo, -1
; %bb.4460:                             ;   in Loop: Header=BB4_3272 Depth=2
	s_or_b32 exec_lo, exec_lo, s26
	s_delay_alu instid0(SALU_CYCLE_1)
	s_and_b32 s7, s7, exec_lo
                                        ; implicit-def: $vgpr128
	s_or_saveexec_b32 s25, s25
	v_mov_b32_e32 v119, s24
	s_xor_b32 exec_lo, exec_lo, s25
	s_cbranch_execz .LBB4_3743
.LBB4_4461:                             ;   in Loop: Header=BB4_3272 Depth=2
	v_cmp_ne_u16_e64 vcc_lo, 0, v128
	v_mov_b32_e32 v119, 0
	s_and_not1_b32 s7, s7, exec_lo
	s_delay_alu instid0(VALU_DEP_2) | instskip(NEXT) | instid1(SALU_CYCLE_1)
	s_and_b32 s24, vcc_lo, exec_lo
	s_or_b32 s7, s7, s24
	s_or_b32 exec_lo, exec_lo, s25
	s_and_saveexec_b32 s24, s7
	s_cbranch_execnz .LBB4_3744
	s_branch .LBB4_3745
.LBB4_4462:                             ;   in Loop: Header=BB4_3272 Depth=2
	s_mov_b32 s7, -1
	s_mov_b32 s26, exec_lo
                                        ; implicit-def: $sgpr24
	v_cmpx_eq_u16_e32 0x80, v119
; %bb.4463:                             ;   in Loop: Header=BB4_3272 Depth=2
	s_mov_b32 s24, 0x7f800001
	s_xor_b32 s7, exec_lo, -1
; %bb.4464:                             ;   in Loop: Header=BB4_3272 Depth=2
	s_or_b32 exec_lo, exec_lo, s26
	s_delay_alu instid0(SALU_CYCLE_1)
	s_and_b32 s7, s7, exec_lo
                                        ; implicit-def: $vgpr119
	s_or_saveexec_b32 s25, s25
	v_mov_b32_e32 v25, s24
	s_xor_b32 exec_lo, exec_lo, s25
	s_cbranch_execz .LBB4_3750
.LBB4_4465:                             ;   in Loop: Header=BB4_3272 Depth=2
	v_cmp_ne_u16_e32 vcc_lo, 0, v119
	v_mov_b32_e32 v25, 0
	s_and_not1_b32 s7, s7, exec_lo
	s_and_b32 s24, vcc_lo, exec_lo
	s_delay_alu instid0(SALU_CYCLE_1)
	s_or_b32 s7, s7, s24
	s_or_b32 exec_lo, exec_lo, s25
	s_and_saveexec_b32 s24, s7
	s_cbranch_execnz .LBB4_3751
	s_branch .LBB4_3752
.LBB4_4466:                             ;   in Loop: Header=BB4_3272 Depth=2
	s_mov_b32 s7, -1
	s_mov_b32 s26, exec_lo
                                        ; implicit-def: $sgpr24
	v_cmpx_eq_u16_e64 0x80, v128
; %bb.4467:                             ;   in Loop: Header=BB4_3272 Depth=2
	s_mov_b32 s24, 0x7f800001
	s_xor_b32 s7, exec_lo, -1
; %bb.4468:                             ;   in Loop: Header=BB4_3272 Depth=2
	s_or_b32 exec_lo, exec_lo, s26
	s_delay_alu instid0(SALU_CYCLE_1)
	s_and_b32 s7, s7, exec_lo
                                        ; implicit-def: $vgpr128
	s_or_saveexec_b32 s25, s25
	v_mov_b32_e32 v119, s24
	s_xor_b32 exec_lo, exec_lo, s25
	s_cbranch_execz .LBB4_3754
.LBB4_4469:                             ;   in Loop: Header=BB4_3272 Depth=2
	v_cmp_ne_u16_e64 vcc_lo, 0, v128
	v_mov_b32_e32 v119, 0
	s_and_not1_b32 s7, s7, exec_lo
	s_delay_alu instid0(VALU_DEP_2) | instskip(NEXT) | instid1(SALU_CYCLE_1)
	s_and_b32 s24, vcc_lo, exec_lo
	s_or_b32 s7, s7, s24
	s_or_b32 exec_lo, exec_lo, s25
	s_and_saveexec_b32 s24, s7
	s_cbranch_execnz .LBB4_3755
	s_branch .LBB4_3756
.LBB4_4470:                             ;   in Loop: Header=BB4_3272 Depth=2
	s_mov_b32 s7, -1
	s_mov_b32 s26, exec_lo
                                        ; implicit-def: $sgpr24
	v_cmpx_eq_u16_e64 0x80, v128
; %bb.4471:                             ;   in Loop: Header=BB4_3272 Depth=2
	s_mov_b32 s24, 0x7f800001
	s_xor_b32 s7, exec_lo, -1
; %bb.4472:                             ;   in Loop: Header=BB4_3272 Depth=2
	s_or_b32 exec_lo, exec_lo, s26
	s_delay_alu instid0(SALU_CYCLE_1)
	s_and_b32 s7, s7, exec_lo
	s_or_saveexec_b32 s25, s25
	v_mov_b32_e32 v129, s24
	s_xor_b32 exec_lo, exec_lo, s25
	s_cbranch_execz .LBB4_3768
.LBB4_4473:                             ;   in Loop: Header=BB4_3272 Depth=2
	v_cmp_ne_u16_e64 vcc_lo, 0, v128
	v_mov_b32_e32 v129, 0
	s_and_not1_b32 s7, s7, exec_lo
	s_delay_alu instid0(VALU_DEP_2) | instskip(NEXT) | instid1(SALU_CYCLE_1)
	s_and_b32 s24, vcc_lo, exec_lo
	s_or_b32 s7, s7, s24
	s_or_b32 exec_lo, exec_lo, s25
	s_and_saveexec_b32 s24, s7
	s_cbranch_execnz .LBB4_3769
	s_branch .LBB4_3770
.LBB4_4474:                             ;   in Loop: Header=BB4_3272 Depth=2
	s_mov_b32 s7, -1
	s_mov_b32 s26, exec_lo
                                        ; implicit-def: $sgpr24
	v_cmpx_eq_u16_e32 0x80, v119
; %bb.4475:                             ;   in Loop: Header=BB4_3272 Depth=2
	s_mov_b32 s24, 0x7f800001
	s_xor_b32 s7, exec_lo, -1
; %bb.4476:                             ;   in Loop: Header=BB4_3272 Depth=2
	s_or_b32 exec_lo, exec_lo, s26
	s_delay_alu instid0(SALU_CYCLE_1)
	s_and_b32 s7, s7, exec_lo
	s_or_saveexec_b32 s25, s25
	v_mov_b32_e32 v130, s24
	s_xor_b32 exec_lo, exec_lo, s25
	s_cbranch_execz .LBB4_3772
.LBB4_4477:                             ;   in Loop: Header=BB4_3272 Depth=2
	v_cmp_ne_u16_e32 vcc_lo, 0, v119
	v_mov_b32_e32 v130, 0
	s_and_not1_b32 s7, s7, exec_lo
	s_and_b32 s24, vcc_lo, exec_lo
	s_delay_alu instid0(SALU_CYCLE_1)
	s_or_b32 s7, s7, s24
	s_or_b32 exec_lo, exec_lo, s25
	s_and_saveexec_b32 s24, s7
	s_cbranch_execnz .LBB4_3773
	s_branch .LBB4_3774
.LBB4_4478:                             ;   in Loop: Header=BB4_3272 Depth=2
	s_mov_b32 s7, -1
	s_mov_b32 s26, exec_lo
                                        ; implicit-def: $sgpr24
	v_cmpx_eq_u16_e64 0x80, v128
; %bb.4479:                             ;   in Loop: Header=BB4_3272 Depth=2
	s_mov_b32 s24, 0x7f800001
	s_xor_b32 s7, exec_lo, -1
; %bb.4480:                             ;   in Loop: Header=BB4_3272 Depth=2
	s_or_b32 exec_lo, exec_lo, s26
	s_delay_alu instid0(SALU_CYCLE_1)
	s_and_b32 s7, s7, exec_lo
	s_or_saveexec_b32 s25, s25
	v_mov_b32_e32 v129, s24
	s_xor_b32 exec_lo, exec_lo, s25
	s_cbranch_execz .LBB4_3779
.LBB4_4481:                             ;   in Loop: Header=BB4_3272 Depth=2
	v_cmp_ne_u16_e64 vcc_lo, 0, v128
	v_mov_b32_e32 v129, 0
	s_and_not1_b32 s7, s7, exec_lo
	s_delay_alu instid0(VALU_DEP_2) | instskip(NEXT) | instid1(SALU_CYCLE_1)
	s_and_b32 s24, vcc_lo, exec_lo
	s_or_b32 s7, s7, s24
	s_or_b32 exec_lo, exec_lo, s25
	s_and_saveexec_b32 s24, s7
	s_cbranch_execnz .LBB4_3780
	s_branch .LBB4_3781
.LBB4_4482:                             ;   in Loop: Header=BB4_3272 Depth=2
	s_mov_b32 s7, -1
	s_mov_b32 s26, exec_lo
                                        ; implicit-def: $sgpr24
	v_cmpx_eq_u16_e32 0x80, v119
; %bb.4483:                             ;   in Loop: Header=BB4_3272 Depth=2
	s_mov_b32 s24, 0x7f800001
	s_xor_b32 s7, exec_lo, -1
; %bb.4484:                             ;   in Loop: Header=BB4_3272 Depth=2
	s_or_b32 exec_lo, exec_lo, s26
	s_delay_alu instid0(SALU_CYCLE_1)
	s_and_b32 s7, s7, exec_lo
	s_or_saveexec_b32 s25, s25
	v_mov_b32_e32 v128, s24
	s_xor_b32 exec_lo, exec_lo, s25
	s_cbranch_execz .LBB4_3783
.LBB4_4485:                             ;   in Loop: Header=BB4_3272 Depth=2
	v_cmp_ne_u16_e32 vcc_lo, 0, v119
	v_mov_b32_e32 v128, 0
	s_and_not1_b32 s7, s7, exec_lo
	s_and_b32 s24, vcc_lo, exec_lo
	s_delay_alu instid0(SALU_CYCLE_1)
	s_or_b32 s7, s7, s24
	s_or_b32 exec_lo, exec_lo, s25
	s_and_saveexec_b32 s24, s7
	s_cbranch_execnz .LBB4_3784
	s_branch .LBB4_3785
.LBB4_4486:                             ;   in Loop: Header=BB4_3272 Depth=2
	s_mov_b32 s7, -1
	s_mov_b32 s26, exec_lo
                                        ; implicit-def: $sgpr24
	v_cmpx_eq_u16_e64 0x80, v131
; %bb.4487:                             ;   in Loop: Header=BB4_3272 Depth=2
	s_mov_b32 s24, 0x7f800001
	s_xor_b32 s7, exec_lo, -1
; %bb.4488:                             ;   in Loop: Header=BB4_3272 Depth=2
	s_or_b32 exec_lo, exec_lo, s26
	s_delay_alu instid0(SALU_CYCLE_1)
	s_and_b32 s7, s7, exec_lo
                                        ; implicit-def: $vgpr131
	s_or_saveexec_b32 s25, s25
	v_mov_b32_e32 v130, s24
	s_xor_b32 exec_lo, exec_lo, s25
	s_cbranch_execz .LBB4_3797
.LBB4_4489:                             ;   in Loop: Header=BB4_3272 Depth=2
	v_cmp_ne_u16_e64 vcc_lo, 0, v131
	v_mov_b32_e32 v130, 0
	s_and_not1_b32 s7, s7, exec_lo
	s_delay_alu instid0(VALU_DEP_2) | instskip(NEXT) | instid1(SALU_CYCLE_1)
	s_and_b32 s24, vcc_lo, exec_lo
	s_or_b32 s7, s7, s24
	s_or_b32 exec_lo, exec_lo, s25
	s_and_saveexec_b32 s24, s7
	s_cbranch_execnz .LBB4_3798
	s_branch .LBB4_3799
.LBB4_4490:                             ;   in Loop: Header=BB4_3272 Depth=2
	s_mov_b32 s7, -1
	s_mov_b32 s26, exec_lo
                                        ; implicit-def: $sgpr24
	v_cmpx_eq_u16_e64 0x80, v132
; %bb.4491:                             ;   in Loop: Header=BB4_3272 Depth=2
	s_mov_b32 s24, 0x7f800001
	s_xor_b32 s7, exec_lo, -1
; %bb.4492:                             ;   in Loop: Header=BB4_3272 Depth=2
	s_or_b32 exec_lo, exec_lo, s26
	s_delay_alu instid0(SALU_CYCLE_1)
	s_and_b32 s7, s7, exec_lo
                                        ; implicit-def: $vgpr132
	s_or_saveexec_b32 s25, s25
	v_mov_b32_e32 v131, s24
	s_xor_b32 exec_lo, exec_lo, s25
	s_cbranch_execz .LBB4_3801
.LBB4_4493:                             ;   in Loop: Header=BB4_3272 Depth=2
	v_cmp_ne_u16_e64 vcc_lo, 0, v132
	v_mov_b32_e32 v131, 0
	s_and_not1_b32 s7, s7, exec_lo
	s_delay_alu instid0(VALU_DEP_2) | instskip(NEXT) | instid1(SALU_CYCLE_1)
	s_and_b32 s24, vcc_lo, exec_lo
	s_or_b32 s7, s7, s24
	s_or_b32 exec_lo, exec_lo, s25
	s_and_saveexec_b32 s24, s7
	s_cbranch_execnz .LBB4_3802
	s_branch .LBB4_3803
.LBB4_4494:                             ;   in Loop: Header=BB4_3272 Depth=2
	s_mov_b32 s7, -1
	s_mov_b32 s26, exec_lo
                                        ; implicit-def: $sgpr24
	v_cmpx_eq_u16_e64 0x80, v131
; %bb.4495:                             ;   in Loop: Header=BB4_3272 Depth=2
	s_mov_b32 s24, 0x7f800001
	s_xor_b32 s7, exec_lo, -1
; %bb.4496:                             ;   in Loop: Header=BB4_3272 Depth=2
	s_or_b32 exec_lo, exec_lo, s26
	s_delay_alu instid0(SALU_CYCLE_1)
	s_and_b32 s7, s7, exec_lo
                                        ; implicit-def: $vgpr131
	s_or_saveexec_b32 s25, s25
	v_mov_b32_e32 v130, s24
	s_xor_b32 exec_lo, exec_lo, s25
	s_cbranch_execz .LBB4_3808
.LBB4_4497:                             ;   in Loop: Header=BB4_3272 Depth=2
	v_cmp_ne_u16_e64 vcc_lo, 0, v131
	v_mov_b32_e32 v130, 0
	s_and_not1_b32 s7, s7, exec_lo
	s_delay_alu instid0(VALU_DEP_2) | instskip(NEXT) | instid1(SALU_CYCLE_1)
	s_and_b32 s24, vcc_lo, exec_lo
	s_or_b32 s7, s7, s24
	s_or_b32 exec_lo, exec_lo, s25
	s_and_saveexec_b32 s24, s7
	s_cbranch_execnz .LBB4_3809
	s_branch .LBB4_3810
.LBB4_4498:                             ;   in Loop: Header=BB4_3272 Depth=2
	s_mov_b32 s7, -1
	s_mov_b32 s26, exec_lo
                                        ; implicit-def: $sgpr24
	v_cmpx_eq_u16_e64 0x80, v131
; %bb.4499:                             ;   in Loop: Header=BB4_3272 Depth=2
	s_mov_b32 s24, 0x7f800001
	s_xor_b32 s7, exec_lo, -1
; %bb.4500:                             ;   in Loop: Header=BB4_3272 Depth=2
	s_or_b32 exec_lo, exec_lo, s26
	s_delay_alu instid0(SALU_CYCLE_1)
	s_and_b32 s7, s7, exec_lo
                                        ; implicit-def: $vgpr131
	s_or_saveexec_b32 s25, s25
	v_mov_b32_e32 v129, s24
	s_xor_b32 exec_lo, exec_lo, s25
	s_cbranch_execz .LBB4_3812
.LBB4_4501:                             ;   in Loop: Header=BB4_3272 Depth=2
	v_cmp_ne_u16_e64 vcc_lo, 0, v131
	v_mov_b32_e32 v129, 0
	s_and_not1_b32 s7, s7, exec_lo
	s_delay_alu instid0(VALU_DEP_2) | instskip(NEXT) | instid1(SALU_CYCLE_1)
	s_and_b32 s24, vcc_lo, exec_lo
	s_or_b32 s7, s7, s24
	s_or_b32 exec_lo, exec_lo, s25
	s_and_saveexec_b32 s24, s7
	s_cbranch_execnz .LBB4_3813
	s_branch .LBB4_3814
.LBB4_4502:                             ;   in Loop: Header=BB4_3272 Depth=2
	s_mov_b32 s7, -1
	s_mov_b32 s26, exec_lo
                                        ; implicit-def: $sgpr24
	v_cmpx_eq_u16_e64 0x80, v130
; %bb.4503:                             ;   in Loop: Header=BB4_3272 Depth=2
	s_mov_b32 s24, 0x7f800001
	s_xor_b32 s7, exec_lo, -1
; %bb.4504:                             ;   in Loop: Header=BB4_3272 Depth=2
	s_or_b32 exec_lo, exec_lo, s26
	s_delay_alu instid0(SALU_CYCLE_1)
	s_and_b32 s7, s7, exec_lo
	s_or_saveexec_b32 s25, s25
	v_mov_b32_e32 v131, s24
	s_xor_b32 exec_lo, exec_lo, s25
	s_cbranch_execz .LBB4_3826
.LBB4_4505:                             ;   in Loop: Header=BB4_3272 Depth=2
	v_cmp_ne_u16_e64 vcc_lo, 0, v130
	v_mov_b32_e32 v131, 0
	s_and_not1_b32 s7, s7, exec_lo
	s_delay_alu instid0(VALU_DEP_2) | instskip(NEXT) | instid1(SALU_CYCLE_1)
	s_and_b32 s24, vcc_lo, exec_lo
	s_or_b32 s7, s7, s24
	s_or_b32 exec_lo, exec_lo, s25
	s_and_saveexec_b32 s24, s7
	s_cbranch_execnz .LBB4_3827
	s_branch .LBB4_3828
.LBB4_4506:                             ;   in Loop: Header=BB4_3272 Depth=2
	s_mov_b32 s7, -1
	s_mov_b32 s26, exec_lo
                                        ; implicit-def: $sgpr24
	v_cmpx_eq_u16_e64 0x80, v129
; %bb.4507:                             ;   in Loop: Header=BB4_3272 Depth=2
	s_mov_b32 s24, 0x7f800001
	s_xor_b32 s7, exec_lo, -1
; %bb.4508:                             ;   in Loop: Header=BB4_3272 Depth=2
	s_or_b32 exec_lo, exec_lo, s26
	s_delay_alu instid0(SALU_CYCLE_1)
	s_and_b32 s7, s7, exec_lo
	s_or_saveexec_b32 s25, s25
	v_mov_b32_e32 v132, s24
	s_xor_b32 exec_lo, exec_lo, s25
	s_cbranch_execz .LBB4_3830
.LBB4_4509:                             ;   in Loop: Header=BB4_3272 Depth=2
	v_cmp_ne_u16_e64 vcc_lo, 0, v129
	v_mov_b32_e32 v132, 0
	s_and_not1_b32 s7, s7, exec_lo
	s_delay_alu instid0(VALU_DEP_2) | instskip(NEXT) | instid1(SALU_CYCLE_1)
	s_and_b32 s24, vcc_lo, exec_lo
	s_or_b32 s7, s7, s24
	s_or_b32 exec_lo, exec_lo, s25
	s_and_saveexec_b32 s24, s7
	s_cbranch_execnz .LBB4_3831
	s_branch .LBB4_3832
.LBB4_4510:                             ;   in Loop: Header=BB4_3272 Depth=2
	s_mov_b32 s7, -1
	s_mov_b32 s26, exec_lo
                                        ; implicit-def: $sgpr24
	v_cmpx_eq_u16_e64 0x80, v130
; %bb.4511:                             ;   in Loop: Header=BB4_3272 Depth=2
	s_mov_b32 s24, 0x7f800001
	s_xor_b32 s7, exec_lo, -1
; %bb.4512:                             ;   in Loop: Header=BB4_3272 Depth=2
	s_or_b32 exec_lo, exec_lo, s26
	s_delay_alu instid0(SALU_CYCLE_1)
	s_and_b32 s7, s7, exec_lo
	s_or_saveexec_b32 s25, s25
	v_mov_b32_e32 v131, s24
	s_xor_b32 exec_lo, exec_lo, s25
	s_cbranch_execz .LBB4_3837
.LBB4_4513:                             ;   in Loop: Header=BB4_3272 Depth=2
	v_cmp_ne_u16_e64 vcc_lo, 0, v130
	v_mov_b32_e32 v131, 0
	s_and_not1_b32 s7, s7, exec_lo
	s_delay_alu instid0(VALU_DEP_2) | instskip(NEXT) | instid1(SALU_CYCLE_1)
	s_and_b32 s24, vcc_lo, exec_lo
	s_or_b32 s7, s7, s24
	s_or_b32 exec_lo, exec_lo, s25
	s_and_saveexec_b32 s24, s7
	s_cbranch_execnz .LBB4_3838
	s_branch .LBB4_3839
.LBB4_4514:                             ;   in Loop: Header=BB4_3272 Depth=2
	s_mov_b32 s7, -1
	s_mov_b32 s26, exec_lo
                                        ; implicit-def: $sgpr24
	v_cmpx_eq_u16_e64 0x80, v129
; %bb.4515:                             ;   in Loop: Header=BB4_3272 Depth=2
	s_mov_b32 s24, 0x7f800001
	s_xor_b32 s7, exec_lo, -1
; %bb.4516:                             ;   in Loop: Header=BB4_3272 Depth=2
	s_or_b32 exec_lo, exec_lo, s26
	s_delay_alu instid0(SALU_CYCLE_1)
	s_and_b32 s7, s7, exec_lo
	s_or_saveexec_b32 s25, s25
	v_mov_b32_e32 v14, s24
	s_xor_b32 exec_lo, exec_lo, s25
	s_cbranch_execz .LBB4_3841
.LBB4_4517:                             ;   in Loop: Header=BB4_3272 Depth=2
	v_cmp_ne_u16_e64 vcc_lo, 0, v129
	v_mov_b32_e32 v14, 0
	s_and_not1_b32 s7, s7, exec_lo
	s_delay_alu instid0(VALU_DEP_2) | instskip(NEXT) | instid1(SALU_CYCLE_1)
	s_and_b32 s24, vcc_lo, exec_lo
	s_or_b32 s7, s7, s24
	s_or_b32 exec_lo, exec_lo, s25
	s_and_saveexec_b32 s24, s7
	s_cbranch_execnz .LBB4_3842
	s_branch .LBB4_3843
.LBB4_4518:                             ;   in Loop: Header=BB4_3272 Depth=2
	s_mov_b32 s7, -1
	s_mov_b32 s26, exec_lo
                                        ; implicit-def: $sgpr24
	v_cmpx_eq_u16_e64 0x80, v129
; %bb.4519:                             ;   in Loop: Header=BB4_3272 Depth=2
	s_mov_b32 s24, 0x7f800001
	s_xor_b32 s7, exec_lo, -1
; %bb.4520:                             ;   in Loop: Header=BB4_3272 Depth=2
	s_or_b32 exec_lo, exec_lo, s26
	s_delay_alu instid0(SALU_CYCLE_1)
	s_and_b32 s7, s7, exec_lo
                                        ; implicit-def: $vgpr129
	s_or_saveexec_b32 s25, s25
	v_mov_b32_e32 v14, s24
	s_xor_b32 exec_lo, exec_lo, s25
	s_cbranch_execz .LBB4_3855
.LBB4_4521:                             ;   in Loop: Header=BB4_3272 Depth=2
	v_cmp_ne_u16_e64 vcc_lo, 0, v129
	v_mov_b32_e32 v14, 0
	s_and_not1_b32 s7, s7, exec_lo
	s_delay_alu instid0(VALU_DEP_2) | instskip(NEXT) | instid1(SALU_CYCLE_1)
	s_and_b32 s24, vcc_lo, exec_lo
	s_or_b32 s7, s7, s24
	s_or_b32 exec_lo, exec_lo, s25
	s_and_saveexec_b32 s24, s7
	s_cbranch_execnz .LBB4_3856
	s_branch .LBB4_3857
.LBB4_4522:                             ;   in Loop: Header=BB4_3272 Depth=2
	s_mov_b32 s7, -1
	s_mov_b32 s26, exec_lo
                                        ; implicit-def: $sgpr24
	v_cmpx_eq_u16_e64 0x80, v130
; %bb.4523:                             ;   in Loop: Header=BB4_3272 Depth=2
	s_mov_b32 s24, 0x7f800001
	s_xor_b32 s7, exec_lo, -1
; %bb.4524:                             ;   in Loop: Header=BB4_3272 Depth=2
	s_or_b32 exec_lo, exec_lo, s26
	s_delay_alu instid0(SALU_CYCLE_1)
	s_and_b32 s7, s7, exec_lo
                                        ; implicit-def: $vgpr130
	s_or_saveexec_b32 s25, s25
	v_mov_b32_e32 v129, s24
	s_xor_b32 exec_lo, exec_lo, s25
	s_cbranch_execz .LBB4_3859
.LBB4_4525:                             ;   in Loop: Header=BB4_3272 Depth=2
	v_cmp_ne_u16_e64 vcc_lo, 0, v130
	v_mov_b32_e32 v129, 0
	s_and_not1_b32 s7, s7, exec_lo
	s_delay_alu instid0(VALU_DEP_2) | instskip(NEXT) | instid1(SALU_CYCLE_1)
	s_and_b32 s24, vcc_lo, exec_lo
	s_or_b32 s7, s7, s24
	s_or_b32 exec_lo, exec_lo, s25
	s_and_saveexec_b32 s24, s7
	s_cbranch_execnz .LBB4_3860
	s_branch .LBB4_3861
.LBB4_4526:                             ;   in Loop: Header=BB4_3272 Depth=2
	s_mov_b32 s7, -1
	s_mov_b32 s26, exec_lo
                                        ; implicit-def: $sgpr24
	v_cmpx_eq_u16_e64 0x80, v129
; %bb.4527:                             ;   in Loop: Header=BB4_3272 Depth=2
	s_mov_b32 s24, 0x7f800001
	s_xor_b32 s7, exec_lo, -1
; %bb.4528:                             ;   in Loop: Header=BB4_3272 Depth=2
	s_or_b32 exec_lo, exec_lo, s26
	s_delay_alu instid0(SALU_CYCLE_1)
	s_and_b32 s7, s7, exec_lo
                                        ; implicit-def: $vgpr129
	s_or_saveexec_b32 s25, s25
	v_mov_b32_e32 v14, s24
	s_xor_b32 exec_lo, exec_lo, s25
	s_cbranch_execz .LBB4_3866
.LBB4_4529:                             ;   in Loop: Header=BB4_3272 Depth=2
	v_cmp_ne_u16_e64 vcc_lo, 0, v129
	v_mov_b32_e32 v14, 0
	s_and_not1_b32 s7, s7, exec_lo
	s_delay_alu instid0(VALU_DEP_2) | instskip(NEXT) | instid1(SALU_CYCLE_1)
	s_and_b32 s24, vcc_lo, exec_lo
	s_or_b32 s7, s7, s24
	s_or_b32 exec_lo, exec_lo, s25
	s_and_saveexec_b32 s24, s7
	s_cbranch_execnz .LBB4_3867
	s_branch .LBB4_3868
.LBB4_4530:                             ;   in Loop: Header=BB4_3272 Depth=2
	s_mov_b32 s7, -1
	s_mov_b32 s26, exec_lo
                                        ; implicit-def: $sgpr24
	v_cmpx_eq_u16_e64 0x80, v130
; %bb.4531:                             ;   in Loop: Header=BB4_3272 Depth=2
	s_mov_b32 s24, 0x7f800001
	s_xor_b32 s7, exec_lo, -1
; %bb.4532:                             ;   in Loop: Header=BB4_3272 Depth=2
	s_or_b32 exec_lo, exec_lo, s26
	s_delay_alu instid0(SALU_CYCLE_1)
	s_and_b32 s7, s7, exec_lo
                                        ; implicit-def: $vgpr130
	s_or_saveexec_b32 s25, s25
	v_mov_b32_e32 v129, s24
	s_xor_b32 exec_lo, exec_lo, s25
	s_cbranch_execz .LBB4_3870
.LBB4_4533:                             ;   in Loop: Header=BB4_3272 Depth=2
	v_cmp_ne_u16_e64 vcc_lo, 0, v130
	v_mov_b32_e32 v129, 0
	s_and_not1_b32 s7, s7, exec_lo
	s_delay_alu instid0(VALU_DEP_2) | instskip(NEXT) | instid1(SALU_CYCLE_1)
	s_and_b32 s24, vcc_lo, exec_lo
	s_or_b32 s7, s7, s24
	s_or_b32 exec_lo, exec_lo, s25
	s_and_saveexec_b32 s24, s7
	s_cbranch_execnz .LBB4_3871
	s_branch .LBB4_3872
.LBB4_4534:                             ;   in Loop: Header=BB4_3272 Depth=2
	s_mov_b32 s7, -1
	s_mov_b32 s26, exec_lo
                                        ; implicit-def: $sgpr24
	v_cmpx_eq_u16_e64 0x80, v130
; %bb.4535:                             ;   in Loop: Header=BB4_3272 Depth=2
	s_mov_b32 s24, 0x7f800001
	s_xor_b32 s7, exec_lo, -1
; %bb.4536:                             ;   in Loop: Header=BB4_3272 Depth=2
	s_or_b32 exec_lo, exec_lo, s26
	s_delay_alu instid0(SALU_CYCLE_1)
	s_and_b32 s7, s7, exec_lo
	s_or_saveexec_b32 s25, s25
	v_mov_b32_e32 v131, s24
	s_xor_b32 exec_lo, exec_lo, s25
	s_cbranch_execz .LBB4_3884
.LBB4_4537:                             ;   in Loop: Header=BB4_3272 Depth=2
	v_cmp_ne_u16_e64 vcc_lo, 0, v130
	v_mov_b32_e32 v131, 0
	s_and_not1_b32 s7, s7, exec_lo
	s_delay_alu instid0(VALU_DEP_2) | instskip(NEXT) | instid1(SALU_CYCLE_1)
	s_and_b32 s24, vcc_lo, exec_lo
	s_or_b32 s7, s7, s24
	s_or_b32 exec_lo, exec_lo, s25
	s_and_saveexec_b32 s24, s7
	s_cbranch_execnz .LBB4_3885
	s_branch .LBB4_3886
.LBB4_4538:                             ;   in Loop: Header=BB4_3272 Depth=2
	s_mov_b32 s7, -1
	s_mov_b32 s26, exec_lo
                                        ; implicit-def: $sgpr24
	v_cmpx_eq_u16_e64 0x80, v129
; %bb.4539:                             ;   in Loop: Header=BB4_3272 Depth=2
	s_mov_b32 s24, 0x7f800001
	s_xor_b32 s7, exec_lo, -1
; %bb.4540:                             ;   in Loop: Header=BB4_3272 Depth=2
	s_or_b32 exec_lo, exec_lo, s26
	s_delay_alu instid0(SALU_CYCLE_1)
	s_and_b32 s7, s7, exec_lo
	s_or_saveexec_b32 s25, s25
	v_mov_b32_e32 v132, s24
	s_xor_b32 exec_lo, exec_lo, s25
	s_cbranch_execz .LBB4_3888
.LBB4_4541:                             ;   in Loop: Header=BB4_3272 Depth=2
	v_cmp_ne_u16_e64 vcc_lo, 0, v129
	v_mov_b32_e32 v132, 0
	s_and_not1_b32 s7, s7, exec_lo
	s_delay_alu instid0(VALU_DEP_2) | instskip(NEXT) | instid1(SALU_CYCLE_1)
	s_and_b32 s24, vcc_lo, exec_lo
	s_or_b32 s7, s7, s24
	s_or_b32 exec_lo, exec_lo, s25
	s_and_saveexec_b32 s24, s7
	s_cbranch_execnz .LBB4_3889
	s_branch .LBB4_3890
.LBB4_4542:                             ;   in Loop: Header=BB4_3272 Depth=2
	s_mov_b32 s7, -1
	s_mov_b32 s26, exec_lo
                                        ; implicit-def: $sgpr24
	v_cmpx_eq_u16_e64 0x80, v130
; %bb.4543:                             ;   in Loop: Header=BB4_3272 Depth=2
	s_mov_b32 s24, 0x7f800001
	s_xor_b32 s7, exec_lo, -1
; %bb.4544:                             ;   in Loop: Header=BB4_3272 Depth=2
	s_or_b32 exec_lo, exec_lo, s26
	s_delay_alu instid0(SALU_CYCLE_1)
	s_and_b32 s7, s7, exec_lo
	s_or_saveexec_b32 s25, s25
	v_mov_b32_e32 v131, s24
	s_xor_b32 exec_lo, exec_lo, s25
	s_cbranch_execz .LBB4_3895
.LBB4_4545:                             ;   in Loop: Header=BB4_3272 Depth=2
	v_cmp_ne_u16_e64 vcc_lo, 0, v130
	v_mov_b32_e32 v131, 0
	s_and_not1_b32 s7, s7, exec_lo
	s_delay_alu instid0(VALU_DEP_2) | instskip(NEXT) | instid1(SALU_CYCLE_1)
	s_and_b32 s24, vcc_lo, exec_lo
	s_or_b32 s7, s7, s24
	s_or_b32 exec_lo, exec_lo, s25
	s_and_saveexec_b32 s24, s7
	s_cbranch_execnz .LBB4_3896
	s_branch .LBB4_3897
.LBB4_4546:                             ;   in Loop: Header=BB4_3272 Depth=2
	s_mov_b32 s7, -1
	s_mov_b32 s26, exec_lo
                                        ; implicit-def: $sgpr24
	v_cmpx_eq_u16_e64 0x80, v129
; %bb.4547:                             ;   in Loop: Header=BB4_3272 Depth=2
	s_mov_b32 s24, 0x7f800001
	s_xor_b32 s7, exec_lo, -1
; %bb.4548:                             ;   in Loop: Header=BB4_3272 Depth=2
	s_or_b32 exec_lo, exec_lo, s26
	s_delay_alu instid0(SALU_CYCLE_1)
	s_and_b32 s7, s7, exec_lo
	s_or_saveexec_b32 s25, s25
	v_mov_b32_e32 v130, s24
	s_xor_b32 exec_lo, exec_lo, s25
	s_cbranch_execz .LBB4_3899
.LBB4_4549:                             ;   in Loop: Header=BB4_3272 Depth=2
	v_cmp_ne_u16_e64 vcc_lo, 0, v129
	v_mov_b32_e32 v130, 0
	s_and_not1_b32 s7, s7, exec_lo
	s_delay_alu instid0(VALU_DEP_2) | instskip(NEXT) | instid1(SALU_CYCLE_1)
	s_and_b32 s24, vcc_lo, exec_lo
	s_or_b32 s7, s7, s24
	s_or_b32 exec_lo, exec_lo, s25
	s_and_saveexec_b32 s24, s7
	s_cbranch_execnz .LBB4_3900
	s_branch .LBB4_3901
.LBB4_4550:                             ;   in Loop: Header=BB4_3272 Depth=2
	s_mov_b32 s7, -1
	s_mov_b32 s26, exec_lo
                                        ; implicit-def: $sgpr24
	v_cmpx_eq_u16_e64 0x80, v133
; %bb.4551:                             ;   in Loop: Header=BB4_3272 Depth=2
	s_mov_b32 s24, 0x7f800001
	s_xor_b32 s7, exec_lo, -1
; %bb.4552:                             ;   in Loop: Header=BB4_3272 Depth=2
	s_or_b32 exec_lo, exec_lo, s26
	s_delay_alu instid0(SALU_CYCLE_1)
	s_and_b32 s7, s7, exec_lo
                                        ; implicit-def: $vgpr133
	s_or_saveexec_b32 s25, s25
	v_mov_b32_e32 v132, s24
	s_xor_b32 exec_lo, exec_lo, s25
	s_cbranch_execz .LBB4_3913
.LBB4_4553:                             ;   in Loop: Header=BB4_3272 Depth=2
	v_cmp_ne_u16_e64 vcc_lo, 0, v133
	v_mov_b32_e32 v132, 0
	s_and_not1_b32 s7, s7, exec_lo
	s_delay_alu instid0(VALU_DEP_2) | instskip(NEXT) | instid1(SALU_CYCLE_1)
	s_and_b32 s24, vcc_lo, exec_lo
	s_or_b32 s7, s7, s24
	s_or_b32 exec_lo, exec_lo, s25
	s_and_saveexec_b32 s24, s7
	s_cbranch_execnz .LBB4_3914
	s_branch .LBB4_3915
.LBB4_4554:                             ;   in Loop: Header=BB4_3272 Depth=2
	s_mov_b32 s7, -1
	s_mov_b32 s26, exec_lo
                                        ; implicit-def: $sgpr24
	v_cmpx_eq_u16_e64 0x80, v134
; %bb.4555:                             ;   in Loop: Header=BB4_3272 Depth=2
	s_mov_b32 s24, 0x7f800001
	s_xor_b32 s7, exec_lo, -1
; %bb.4556:                             ;   in Loop: Header=BB4_3272 Depth=2
	s_or_b32 exec_lo, exec_lo, s26
	s_delay_alu instid0(SALU_CYCLE_1)
	s_and_b32 s7, s7, exec_lo
                                        ; implicit-def: $vgpr134
	s_or_saveexec_b32 s25, s25
	v_mov_b32_e32 v133, s24
	s_xor_b32 exec_lo, exec_lo, s25
	s_cbranch_execz .LBB4_3917
.LBB4_4557:                             ;   in Loop: Header=BB4_3272 Depth=2
	v_cmp_ne_u16_e64 vcc_lo, 0, v134
	v_mov_b32_e32 v133, 0
	s_and_not1_b32 s7, s7, exec_lo
	s_delay_alu instid0(VALU_DEP_2) | instskip(NEXT) | instid1(SALU_CYCLE_1)
	s_and_b32 s24, vcc_lo, exec_lo
	s_or_b32 s7, s7, s24
	s_or_b32 exec_lo, exec_lo, s25
	s_and_saveexec_b32 s24, s7
	s_cbranch_execnz .LBB4_3918
	s_branch .LBB4_3919
.LBB4_4558:                             ;   in Loop: Header=BB4_3272 Depth=2
	s_mov_b32 s7, -1
	s_mov_b32 s26, exec_lo
                                        ; implicit-def: $sgpr24
	v_cmpx_eq_u16_e64 0x80, v133
; %bb.4559:                             ;   in Loop: Header=BB4_3272 Depth=2
	s_mov_b32 s24, 0x7f800001
	s_xor_b32 s7, exec_lo, -1
; %bb.4560:                             ;   in Loop: Header=BB4_3272 Depth=2
	s_or_b32 exec_lo, exec_lo, s26
	s_delay_alu instid0(SALU_CYCLE_1)
	s_and_b32 s7, s7, exec_lo
                                        ; implicit-def: $vgpr133
	s_or_saveexec_b32 s25, s25
	v_mov_b32_e32 v132, s24
	s_xor_b32 exec_lo, exec_lo, s25
	s_cbranch_execz .LBB4_3924
.LBB4_4561:                             ;   in Loop: Header=BB4_3272 Depth=2
	v_cmp_ne_u16_e64 vcc_lo, 0, v133
	v_mov_b32_e32 v132, 0
	s_and_not1_b32 s7, s7, exec_lo
	s_delay_alu instid0(VALU_DEP_2) | instskip(NEXT) | instid1(SALU_CYCLE_1)
	s_and_b32 s24, vcc_lo, exec_lo
	s_or_b32 s7, s7, s24
	s_or_b32 exec_lo, exec_lo, s25
	s_and_saveexec_b32 s24, s7
	s_cbranch_execnz .LBB4_3925
	s_branch .LBB4_3926
.LBB4_4562:                             ;   in Loop: Header=BB4_3272 Depth=2
	s_mov_b32 s7, -1
	s_mov_b32 s26, exec_lo
                                        ; implicit-def: $sgpr24
	v_cmpx_eq_u16_e64 0x80, v133
; %bb.4563:                             ;   in Loop: Header=BB4_3272 Depth=2
	s_mov_b32 s24, 0x7f800001
	s_xor_b32 s7, exec_lo, -1
; %bb.4564:                             ;   in Loop: Header=BB4_3272 Depth=2
	s_or_b32 exec_lo, exec_lo, s26
	s_delay_alu instid0(SALU_CYCLE_1)
	s_and_b32 s7, s7, exec_lo
                                        ; implicit-def: $vgpr133
	s_or_saveexec_b32 s25, s25
	v_mov_b32_e32 v131, s24
	s_xor_b32 exec_lo, exec_lo, s25
	s_cbranch_execz .LBB4_3928
.LBB4_4565:                             ;   in Loop: Header=BB4_3272 Depth=2
	v_cmp_ne_u16_e64 vcc_lo, 0, v133
	v_mov_b32_e32 v131, 0
	s_and_not1_b32 s7, s7, exec_lo
	s_delay_alu instid0(VALU_DEP_2) | instskip(NEXT) | instid1(SALU_CYCLE_1)
	s_and_b32 s24, vcc_lo, exec_lo
	s_or_b32 s7, s7, s24
	s_or_b32 exec_lo, exec_lo, s25
	s_and_saveexec_b32 s24, s7
	s_cbranch_execnz .LBB4_3929
	s_branch .LBB4_3930
.LBB4_4566:                             ;   in Loop: Header=BB4_3272 Depth=2
	s_mov_b32 s7, -1
	s_mov_b32 s26, exec_lo
                                        ; implicit-def: $sgpr24
	v_cmpx_eq_u16_e64 0x80, v132
; %bb.4567:                             ;   in Loop: Header=BB4_3272 Depth=2
	s_mov_b32 s24, 0x7f800001
	s_xor_b32 s7, exec_lo, -1
; %bb.4568:                             ;   in Loop: Header=BB4_3272 Depth=2
	s_or_b32 exec_lo, exec_lo, s26
	s_delay_alu instid0(SALU_CYCLE_1)
	s_and_b32 s7, s7, exec_lo
	s_or_saveexec_b32 s25, s25
	v_mov_b32_e32 v133, s24
	s_xor_b32 exec_lo, exec_lo, s25
	s_cbranch_execz .LBB4_3942
.LBB4_4569:                             ;   in Loop: Header=BB4_3272 Depth=2
	v_cmp_ne_u16_e64 vcc_lo, 0, v132
	v_mov_b32_e32 v133, 0
	s_and_not1_b32 s7, s7, exec_lo
	s_delay_alu instid0(VALU_DEP_2) | instskip(NEXT) | instid1(SALU_CYCLE_1)
	s_and_b32 s24, vcc_lo, exec_lo
	s_or_b32 s7, s7, s24
	s_or_b32 exec_lo, exec_lo, s25
	s_and_saveexec_b32 s24, s7
	s_cbranch_execnz .LBB4_3943
	s_branch .LBB4_3944
.LBB4_4570:                             ;   in Loop: Header=BB4_3272 Depth=2
	s_mov_b32 s7, -1
	s_mov_b32 s26, exec_lo
                                        ; implicit-def: $sgpr24
	v_cmpx_eq_u16_e64 0x80, v131
; %bb.4571:                             ;   in Loop: Header=BB4_3272 Depth=2
	s_mov_b32 s24, 0x7f800001
	s_xor_b32 s7, exec_lo, -1
; %bb.4572:                             ;   in Loop: Header=BB4_3272 Depth=2
	s_or_b32 exec_lo, exec_lo, s26
	s_delay_alu instid0(SALU_CYCLE_1)
	s_and_b32 s7, s7, exec_lo
	s_or_saveexec_b32 s25, s25
	v_mov_b32_e32 v134, s24
	s_xor_b32 exec_lo, exec_lo, s25
	s_cbranch_execz .LBB4_3946
.LBB4_4573:                             ;   in Loop: Header=BB4_3272 Depth=2
	v_cmp_ne_u16_e64 vcc_lo, 0, v131
	v_mov_b32_e32 v134, 0
	s_and_not1_b32 s7, s7, exec_lo
	s_delay_alu instid0(VALU_DEP_2) | instskip(NEXT) | instid1(SALU_CYCLE_1)
	s_and_b32 s24, vcc_lo, exec_lo
	s_or_b32 s7, s7, s24
	s_or_b32 exec_lo, exec_lo, s25
	s_and_saveexec_b32 s24, s7
	s_cbranch_execnz .LBB4_3947
	s_branch .LBB4_3948
.LBB4_4574:                             ;   in Loop: Header=BB4_3272 Depth=2
	s_mov_b32 s7, -1
	s_mov_b32 s26, exec_lo
                                        ; implicit-def: $sgpr24
	v_cmpx_eq_u16_e64 0x80, v132
; %bb.4575:                             ;   in Loop: Header=BB4_3272 Depth=2
	s_mov_b32 s24, 0x7f800001
	s_xor_b32 s7, exec_lo, -1
; %bb.4576:                             ;   in Loop: Header=BB4_3272 Depth=2
	s_or_b32 exec_lo, exec_lo, s26
	s_delay_alu instid0(SALU_CYCLE_1)
	s_and_b32 s7, s7, exec_lo
	s_or_saveexec_b32 s25, s25
	v_mov_b32_e32 v133, s24
	s_xor_b32 exec_lo, exec_lo, s25
	s_cbranch_execz .LBB4_3953
.LBB4_4577:                             ;   in Loop: Header=BB4_3272 Depth=2
	v_cmp_ne_u16_e64 vcc_lo, 0, v132
	v_mov_b32_e32 v133, 0
	s_and_not1_b32 s7, s7, exec_lo
	s_delay_alu instid0(VALU_DEP_2) | instskip(NEXT) | instid1(SALU_CYCLE_1)
	s_and_b32 s24, vcc_lo, exec_lo
	s_or_b32 s7, s7, s24
	s_or_b32 exec_lo, exec_lo, s25
	s_and_saveexec_b32 s24, s7
	s_cbranch_execnz .LBB4_3954
	s_branch .LBB4_3955
.LBB4_4578:                             ;   in Loop: Header=BB4_3272 Depth=2
	s_mov_b32 s7, -1
	s_mov_b32 s26, exec_lo
                                        ; implicit-def: $sgpr24
	v_cmpx_eq_u16_e64 0x80, v131
; %bb.4579:                             ;   in Loop: Header=BB4_3272 Depth=2
	s_mov_b32 s24, 0x7f800001
	s_xor_b32 s7, exec_lo, -1
; %bb.4580:                             ;   in Loop: Header=BB4_3272 Depth=2
	s_or_b32 exec_lo, exec_lo, s26
	s_delay_alu instid0(SALU_CYCLE_1)
	s_and_b32 s7, s7, exec_lo
	s_or_saveexec_b32 s25, s25
	v_mov_b32_e32 v15, s24
	s_xor_b32 exec_lo, exec_lo, s25
	s_cbranch_execz .LBB4_3957
.LBB4_4581:                             ;   in Loop: Header=BB4_3272 Depth=2
	v_cmp_ne_u16_e64 vcc_lo, 0, v131
	v_mov_b32_e32 v15, 0
	s_and_not1_b32 s7, s7, exec_lo
	s_delay_alu instid0(VALU_DEP_2) | instskip(NEXT) | instid1(SALU_CYCLE_1)
	s_and_b32 s24, vcc_lo, exec_lo
	s_or_b32 s7, s7, s24
	s_or_b32 exec_lo, exec_lo, s25
	s_and_saveexec_b32 s24, s7
	s_cbranch_execnz .LBB4_3958
	s_branch .LBB4_3959
.LBB4_4582:                             ;   in Loop: Header=BB4_3272 Depth=2
	s_mov_b32 s7, -1
	s_mov_b32 s26, exec_lo
                                        ; implicit-def: $sgpr24
	v_cmpx_eq_u16_e64 0x80, v131
; %bb.4583:                             ;   in Loop: Header=BB4_3272 Depth=2
	s_mov_b32 s24, 0x7f800001
	s_xor_b32 s7, exec_lo, -1
; %bb.4584:                             ;   in Loop: Header=BB4_3272 Depth=2
	s_or_b32 exec_lo, exec_lo, s26
	s_delay_alu instid0(SALU_CYCLE_1)
	s_and_b32 s7, s7, exec_lo
                                        ; implicit-def: $vgpr131
	s_or_saveexec_b32 s25, s25
	v_mov_b32_e32 v15, s24
	s_xor_b32 exec_lo, exec_lo, s25
	s_cbranch_execz .LBB4_3971
.LBB4_4585:                             ;   in Loop: Header=BB4_3272 Depth=2
	v_cmp_ne_u16_e64 vcc_lo, 0, v131
	v_mov_b32_e32 v15, 0
	s_and_not1_b32 s7, s7, exec_lo
	s_delay_alu instid0(VALU_DEP_2) | instskip(NEXT) | instid1(SALU_CYCLE_1)
	s_and_b32 s24, vcc_lo, exec_lo
	s_or_b32 s7, s7, s24
	s_or_b32 exec_lo, exec_lo, s25
	s_and_saveexec_b32 s24, s7
	s_cbranch_execnz .LBB4_3972
	s_branch .LBB4_3973
.LBB4_4586:                             ;   in Loop: Header=BB4_3272 Depth=2
	s_mov_b32 s7, -1
	s_mov_b32 s26, exec_lo
                                        ; implicit-def: $sgpr24
	v_cmpx_eq_u16_e64 0x80, v132
; %bb.4587:                             ;   in Loop: Header=BB4_3272 Depth=2
	s_mov_b32 s24, 0x7f800001
	s_xor_b32 s7, exec_lo, -1
; %bb.4588:                             ;   in Loop: Header=BB4_3272 Depth=2
	s_or_b32 exec_lo, exec_lo, s26
	s_delay_alu instid0(SALU_CYCLE_1)
	s_and_b32 s7, s7, exec_lo
                                        ; implicit-def: $vgpr132
	s_or_saveexec_b32 s25, s25
	v_mov_b32_e32 v131, s24
	s_xor_b32 exec_lo, exec_lo, s25
	s_cbranch_execz .LBB4_3975
.LBB4_4589:                             ;   in Loop: Header=BB4_3272 Depth=2
	v_cmp_ne_u16_e64 vcc_lo, 0, v132
	v_mov_b32_e32 v131, 0
	s_and_not1_b32 s7, s7, exec_lo
	s_delay_alu instid0(VALU_DEP_2) | instskip(NEXT) | instid1(SALU_CYCLE_1)
	s_and_b32 s24, vcc_lo, exec_lo
	s_or_b32 s7, s7, s24
	s_or_b32 exec_lo, exec_lo, s25
	s_and_saveexec_b32 s24, s7
	s_cbranch_execnz .LBB4_3976
	s_branch .LBB4_3977
.LBB4_4590:                             ;   in Loop: Header=BB4_3272 Depth=2
	s_mov_b32 s7, -1
	s_mov_b32 s26, exec_lo
                                        ; implicit-def: $sgpr24
	v_cmpx_eq_u16_e64 0x80, v131
; %bb.4591:                             ;   in Loop: Header=BB4_3272 Depth=2
	s_mov_b32 s24, 0x7f800001
	s_xor_b32 s7, exec_lo, -1
; %bb.4592:                             ;   in Loop: Header=BB4_3272 Depth=2
	s_or_b32 exec_lo, exec_lo, s26
	s_delay_alu instid0(SALU_CYCLE_1)
	s_and_b32 s7, s7, exec_lo
                                        ; implicit-def: $vgpr131
	s_or_saveexec_b32 s25, s25
	v_mov_b32_e32 v15, s24
	s_xor_b32 exec_lo, exec_lo, s25
	s_cbranch_execz .LBB4_3982
.LBB4_4593:                             ;   in Loop: Header=BB4_3272 Depth=2
	v_cmp_ne_u16_e64 vcc_lo, 0, v131
	v_mov_b32_e32 v15, 0
	s_and_not1_b32 s7, s7, exec_lo
	s_delay_alu instid0(VALU_DEP_2) | instskip(NEXT) | instid1(SALU_CYCLE_1)
	s_and_b32 s24, vcc_lo, exec_lo
	s_or_b32 s7, s7, s24
	s_or_b32 exec_lo, exec_lo, s25
	s_and_saveexec_b32 s24, s7
	s_cbranch_execnz .LBB4_3983
	s_branch .LBB4_3984
.LBB4_4594:                             ;   in Loop: Header=BB4_3272 Depth=2
	s_mov_b32 s7, -1
	s_mov_b32 s26, exec_lo
                                        ; implicit-def: $sgpr24
	v_cmpx_eq_u16_e64 0x80, v132
; %bb.4595:                             ;   in Loop: Header=BB4_3272 Depth=2
	s_mov_b32 s24, 0x7f800001
	s_xor_b32 s7, exec_lo, -1
; %bb.4596:                             ;   in Loop: Header=BB4_3272 Depth=2
	s_or_b32 exec_lo, exec_lo, s26
	s_delay_alu instid0(SALU_CYCLE_1)
	s_and_b32 s7, s7, exec_lo
                                        ; implicit-def: $vgpr132
	s_or_saveexec_b32 s25, s25
	v_mov_b32_e32 v131, s24
	s_xor_b32 exec_lo, exec_lo, s25
	s_cbranch_execz .LBB4_3986
.LBB4_4597:                             ;   in Loop: Header=BB4_3272 Depth=2
	v_cmp_ne_u16_e64 vcc_lo, 0, v132
	v_mov_b32_e32 v131, 0
	s_and_not1_b32 s7, s7, exec_lo
	s_delay_alu instid0(VALU_DEP_2) | instskip(NEXT) | instid1(SALU_CYCLE_1)
	s_and_b32 s24, vcc_lo, exec_lo
	s_or_b32 s7, s7, s24
	s_or_b32 exec_lo, exec_lo, s25
	s_and_saveexec_b32 s24, s7
	s_cbranch_execnz .LBB4_3987
	s_branch .LBB4_3988
.LBB4_4598:                             ;   in Loop: Header=BB4_3272 Depth=2
	s_mov_b32 s7, -1
	s_mov_b32 s26, exec_lo
                                        ; implicit-def: $sgpr24
	v_cmpx_eq_u16_e64 0x80, v132
; %bb.4599:                             ;   in Loop: Header=BB4_3272 Depth=2
	s_mov_b32 s24, 0x7f800001
	s_xor_b32 s7, exec_lo, -1
; %bb.4600:                             ;   in Loop: Header=BB4_3272 Depth=2
	s_or_b32 exec_lo, exec_lo, s26
	s_delay_alu instid0(SALU_CYCLE_1)
	s_and_b32 s7, s7, exec_lo
	s_or_saveexec_b32 s25, s25
	v_mov_b32_e32 v133, s24
	s_xor_b32 exec_lo, exec_lo, s25
	s_cbranch_execz .LBB4_4000
.LBB4_4601:                             ;   in Loop: Header=BB4_3272 Depth=2
	v_cmp_ne_u16_e64 vcc_lo, 0, v132
	v_mov_b32_e32 v133, 0
	s_and_not1_b32 s7, s7, exec_lo
	s_delay_alu instid0(VALU_DEP_2) | instskip(NEXT) | instid1(SALU_CYCLE_1)
	s_and_b32 s24, vcc_lo, exec_lo
	s_or_b32 s7, s7, s24
	s_or_b32 exec_lo, exec_lo, s25
	s_and_saveexec_b32 s24, s7
	s_cbranch_execnz .LBB4_4001
	s_branch .LBB4_4002
.LBB4_4602:                             ;   in Loop: Header=BB4_3272 Depth=2
	s_mov_b32 s7, -1
	s_mov_b32 s26, exec_lo
                                        ; implicit-def: $sgpr24
	v_cmpx_eq_u16_e64 0x80, v131
; %bb.4603:                             ;   in Loop: Header=BB4_3272 Depth=2
	s_mov_b32 s24, 0x7f800001
	s_xor_b32 s7, exec_lo, -1
; %bb.4604:                             ;   in Loop: Header=BB4_3272 Depth=2
	s_or_b32 exec_lo, exec_lo, s26
	s_delay_alu instid0(SALU_CYCLE_1)
	s_and_b32 s7, s7, exec_lo
	s_or_saveexec_b32 s25, s25
	v_mov_b32_e32 v134, s24
	s_xor_b32 exec_lo, exec_lo, s25
	s_cbranch_execz .LBB4_4004
.LBB4_4605:                             ;   in Loop: Header=BB4_3272 Depth=2
	v_cmp_ne_u16_e64 vcc_lo, 0, v131
	v_mov_b32_e32 v134, 0
	s_and_not1_b32 s7, s7, exec_lo
	s_delay_alu instid0(VALU_DEP_2) | instskip(NEXT) | instid1(SALU_CYCLE_1)
	s_and_b32 s24, vcc_lo, exec_lo
	s_or_b32 s7, s7, s24
	s_or_b32 exec_lo, exec_lo, s25
	s_and_saveexec_b32 s24, s7
	s_cbranch_execnz .LBB4_4005
	s_branch .LBB4_4006
.LBB4_4606:                             ;   in Loop: Header=BB4_3272 Depth=2
	s_mov_b32 s7, -1
	s_mov_b32 s26, exec_lo
                                        ; implicit-def: $sgpr24
	v_cmpx_eq_u16_e64 0x80, v132
; %bb.4607:                             ;   in Loop: Header=BB4_3272 Depth=2
	s_mov_b32 s24, 0x7f800001
	s_xor_b32 s7, exec_lo, -1
; %bb.4608:                             ;   in Loop: Header=BB4_3272 Depth=2
	s_or_b32 exec_lo, exec_lo, s26
	s_delay_alu instid0(SALU_CYCLE_1)
	s_and_b32 s7, s7, exec_lo
	s_or_saveexec_b32 s25, s25
	v_mov_b32_e32 v133, s24
	s_xor_b32 exec_lo, exec_lo, s25
	s_cbranch_execz .LBB4_4011
.LBB4_4609:                             ;   in Loop: Header=BB4_3272 Depth=2
	v_cmp_ne_u16_e64 vcc_lo, 0, v132
	v_mov_b32_e32 v133, 0
	s_and_not1_b32 s7, s7, exec_lo
	s_delay_alu instid0(VALU_DEP_2) | instskip(NEXT) | instid1(SALU_CYCLE_1)
	s_and_b32 s24, vcc_lo, exec_lo
	s_or_b32 s7, s7, s24
	s_or_b32 exec_lo, exec_lo, s25
	s_and_saveexec_b32 s24, s7
	s_cbranch_execnz .LBB4_4012
	s_branch .LBB4_4013
.LBB4_4610:                             ;   in Loop: Header=BB4_3272 Depth=2
	s_mov_b32 s7, -1
	s_mov_b32 s26, exec_lo
                                        ; implicit-def: $sgpr24
	v_cmpx_eq_u16_e64 0x80, v131
; %bb.4611:                             ;   in Loop: Header=BB4_3272 Depth=2
	s_mov_b32 s24, 0x7f800001
	s_xor_b32 s7, exec_lo, -1
; %bb.4612:                             ;   in Loop: Header=BB4_3272 Depth=2
	s_or_b32 exec_lo, exec_lo, s26
	s_delay_alu instid0(SALU_CYCLE_1)
	s_and_b32 s7, s7, exec_lo
	s_or_saveexec_b32 s25, s25
	v_mov_b32_e32 v132, s24
	s_xor_b32 exec_lo, exec_lo, s25
	s_cbranch_execz .LBB4_4015
.LBB4_4613:                             ;   in Loop: Header=BB4_3272 Depth=2
	v_cmp_ne_u16_e64 vcc_lo, 0, v131
	v_mov_b32_e32 v132, 0
	s_and_not1_b32 s7, s7, exec_lo
	s_delay_alu instid0(VALU_DEP_2) | instskip(NEXT) | instid1(SALU_CYCLE_1)
	s_and_b32 s24, vcc_lo, exec_lo
	s_or_b32 s7, s7, s24
	s_or_b32 exec_lo, exec_lo, s25
	s_and_saveexec_b32 s24, s7
	s_cbranch_execnz .LBB4_4016
	s_branch .LBB4_4017
.LBB4_4614:                             ;   in Loop: Header=BB4_3272 Depth=2
	s_mov_b32 s7, -1
	s_mov_b32 s26, exec_lo
                                        ; implicit-def: $sgpr24
	v_cmpx_eq_u16_e64 0x80, v135
; %bb.4615:                             ;   in Loop: Header=BB4_3272 Depth=2
	s_mov_b32 s24, 0x7f800001
	s_xor_b32 s7, exec_lo, -1
; %bb.4616:                             ;   in Loop: Header=BB4_3272 Depth=2
	s_or_b32 exec_lo, exec_lo, s26
	s_delay_alu instid0(SALU_CYCLE_1)
	s_and_b32 s7, s7, exec_lo
                                        ; implicit-def: $vgpr135
	s_or_saveexec_b32 s25, s25
	v_mov_b32_e32 v134, s24
	s_xor_b32 exec_lo, exec_lo, s25
	s_cbranch_execz .LBB4_4029
.LBB4_4617:                             ;   in Loop: Header=BB4_3272 Depth=2
	v_cmp_ne_u16_e64 vcc_lo, 0, v135
	v_mov_b32_e32 v134, 0
	s_and_not1_b32 s7, s7, exec_lo
	s_delay_alu instid0(VALU_DEP_2) | instskip(NEXT) | instid1(SALU_CYCLE_1)
	s_and_b32 s24, vcc_lo, exec_lo
	s_or_b32 s7, s7, s24
	s_or_b32 exec_lo, exec_lo, s25
	s_and_saveexec_b32 s24, s7
	s_cbranch_execnz .LBB4_4030
	s_branch .LBB4_4031
.LBB4_4618:                             ;   in Loop: Header=BB4_3272 Depth=2
	s_mov_b32 s7, -1
	s_mov_b32 s26, exec_lo
                                        ; implicit-def: $sgpr24
	v_cmpx_eq_u16_e64 0x80, v144
; %bb.4619:                             ;   in Loop: Header=BB4_3272 Depth=2
	s_mov_b32 s24, 0x7f800001
	s_xor_b32 s7, exec_lo, -1
; %bb.4620:                             ;   in Loop: Header=BB4_3272 Depth=2
	s_or_b32 exec_lo, exec_lo, s26
	s_delay_alu instid0(SALU_CYCLE_1)
	s_and_b32 s7, s7, exec_lo
                                        ; implicit-def: $vgpr144
	s_or_saveexec_b32 s25, s25
	v_mov_b32_e32 v135, s24
	s_xor_b32 exec_lo, exec_lo, s25
	s_cbranch_execz .LBB4_4033
.LBB4_4621:                             ;   in Loop: Header=BB4_3272 Depth=2
	v_cmp_ne_u16_e64 vcc_lo, 0, v144
	v_mov_b32_e32 v135, 0
	s_and_not1_b32 s7, s7, exec_lo
	s_delay_alu instid0(VALU_DEP_2) | instskip(NEXT) | instid1(SALU_CYCLE_1)
	s_and_b32 s24, vcc_lo, exec_lo
	s_or_b32 s7, s7, s24
	s_or_b32 exec_lo, exec_lo, s25
	s_and_saveexec_b32 s24, s7
	s_cbranch_execnz .LBB4_4034
	s_branch .LBB4_4035
.LBB4_4622:                             ;   in Loop: Header=BB4_3272 Depth=2
	s_mov_b32 s7, -1
	s_mov_b32 s26, exec_lo
                                        ; implicit-def: $sgpr24
	v_cmpx_eq_u16_e64 0x80, v135
; %bb.4623:                             ;   in Loop: Header=BB4_3272 Depth=2
	s_mov_b32 s24, 0x7f800001
	s_xor_b32 s7, exec_lo, -1
; %bb.4624:                             ;   in Loop: Header=BB4_3272 Depth=2
	s_or_b32 exec_lo, exec_lo, s26
	s_delay_alu instid0(SALU_CYCLE_1)
	s_and_b32 s7, s7, exec_lo
                                        ; implicit-def: $vgpr135
	s_or_saveexec_b32 s25, s25
	v_mov_b32_e32 v134, s24
	s_xor_b32 exec_lo, exec_lo, s25
	s_cbranch_execz .LBB4_4040
.LBB4_4625:                             ;   in Loop: Header=BB4_3272 Depth=2
	v_cmp_ne_u16_e64 vcc_lo, 0, v135
	v_mov_b32_e32 v134, 0
	s_and_not1_b32 s7, s7, exec_lo
	s_delay_alu instid0(VALU_DEP_2) | instskip(NEXT) | instid1(SALU_CYCLE_1)
	s_and_b32 s24, vcc_lo, exec_lo
	s_or_b32 s7, s7, s24
	s_or_b32 exec_lo, exec_lo, s25
	s_and_saveexec_b32 s24, s7
	s_cbranch_execnz .LBB4_4041
	s_branch .LBB4_4042
.LBB4_4626:                             ;   in Loop: Header=BB4_3272 Depth=2
	s_mov_b32 s7, -1
	s_mov_b32 s26, exec_lo
                                        ; implicit-def: $sgpr24
	v_cmpx_eq_u16_e64 0x80, v135
; %bb.4627:                             ;   in Loop: Header=BB4_3272 Depth=2
	s_mov_b32 s24, 0x7f800001
	s_xor_b32 s7, exec_lo, -1
; %bb.4628:                             ;   in Loop: Header=BB4_3272 Depth=2
	s_or_b32 exec_lo, exec_lo, s26
	s_delay_alu instid0(SALU_CYCLE_1)
	s_and_b32 s7, s7, exec_lo
                                        ; implicit-def: $vgpr135
	s_or_saveexec_b32 s25, s25
	v_mov_b32_e32 v133, s24
	s_xor_b32 exec_lo, exec_lo, s25
	s_cbranch_execz .LBB4_4044
.LBB4_4629:                             ;   in Loop: Header=BB4_3272 Depth=2
	v_cmp_ne_u16_e64 vcc_lo, 0, v135
	v_mov_b32_e32 v133, 0
	s_and_not1_b32 s7, s7, exec_lo
	s_delay_alu instid0(VALU_DEP_2) | instskip(NEXT) | instid1(SALU_CYCLE_1)
	s_and_b32 s24, vcc_lo, exec_lo
	s_or_b32 s7, s7, s24
	s_or_b32 exec_lo, exec_lo, s25
	s_and_saveexec_b32 s24, s7
	s_cbranch_execnz .LBB4_4045
	s_branch .LBB4_4046
.LBB4_4630:                             ;   in Loop: Header=BB4_3272 Depth=2
	s_mov_b32 s7, -1
	s_mov_b32 s26, exec_lo
                                        ; implicit-def: $sgpr24
	v_cmpx_eq_u16_e64 0x80, v134
; %bb.4631:                             ;   in Loop: Header=BB4_3272 Depth=2
	s_mov_b32 s24, 0x7f800001
	s_xor_b32 s7, exec_lo, -1
; %bb.4632:                             ;   in Loop: Header=BB4_3272 Depth=2
	s_or_b32 exec_lo, exec_lo, s26
	s_delay_alu instid0(SALU_CYCLE_1)
	s_and_b32 s7, s7, exec_lo
	s_or_saveexec_b32 s25, s25
	v_mov_b32_e32 v135, s24
	s_xor_b32 exec_lo, exec_lo, s25
	s_cbranch_execz .LBB4_4058
.LBB4_4633:                             ;   in Loop: Header=BB4_3272 Depth=2
	v_cmp_ne_u16_e64 vcc_lo, 0, v134
	v_mov_b32_e32 v135, 0
	s_and_not1_b32 s7, s7, exec_lo
	s_delay_alu instid0(VALU_DEP_2) | instskip(NEXT) | instid1(SALU_CYCLE_1)
	s_and_b32 s24, vcc_lo, exec_lo
	s_or_b32 s7, s7, s24
	s_or_b32 exec_lo, exec_lo, s25
	s_and_saveexec_b32 s24, s7
	s_cbranch_execnz .LBB4_4059
	s_branch .LBB4_4060
.LBB4_4634:                             ;   in Loop: Header=BB4_3272 Depth=2
	s_mov_b32 s7, -1
	s_mov_b32 s26, exec_lo
                                        ; implicit-def: $sgpr24
	v_cmpx_eq_u16_e64 0x80, v133
; %bb.4635:                             ;   in Loop: Header=BB4_3272 Depth=2
	s_mov_b32 s24, 0x7f800001
	s_xor_b32 s7, exec_lo, -1
; %bb.4636:                             ;   in Loop: Header=BB4_3272 Depth=2
	s_or_b32 exec_lo, exec_lo, s26
	s_delay_alu instid0(SALU_CYCLE_1)
	s_and_b32 s7, s7, exec_lo
	s_or_saveexec_b32 s25, s25
	v_mov_b32_e32 v144, s24
	s_xor_b32 exec_lo, exec_lo, s25
	s_cbranch_execz .LBB4_4062
.LBB4_4637:                             ;   in Loop: Header=BB4_3272 Depth=2
	v_cmp_ne_u16_e64 vcc_lo, 0, v133
	v_mov_b32_e32 v144, 0
	s_and_not1_b32 s7, s7, exec_lo
	s_delay_alu instid0(VALU_DEP_2) | instskip(NEXT) | instid1(SALU_CYCLE_1)
	s_and_b32 s24, vcc_lo, exec_lo
	s_or_b32 s7, s7, s24
	s_or_b32 exec_lo, exec_lo, s25
	s_and_saveexec_b32 s24, s7
	s_cbranch_execnz .LBB4_4063
	s_branch .LBB4_4064
.LBB4_4638:                             ;   in Loop: Header=BB4_3272 Depth=2
	s_mov_b32 s7, -1
	s_mov_b32 s26, exec_lo
                                        ; implicit-def: $sgpr24
	v_cmpx_eq_u16_e64 0x80, v134
; %bb.4639:                             ;   in Loop: Header=BB4_3272 Depth=2
	s_mov_b32 s24, 0x7f800001
	s_xor_b32 s7, exec_lo, -1
; %bb.4640:                             ;   in Loop: Header=BB4_3272 Depth=2
	s_or_b32 exec_lo, exec_lo, s26
	s_delay_alu instid0(SALU_CYCLE_1)
	s_and_b32 s7, s7, exec_lo
	s_or_saveexec_b32 s25, s25
	v_mov_b32_e32 v135, s24
	s_xor_b32 exec_lo, exec_lo, s25
	s_cbranch_execz .LBB4_4069
.LBB4_4641:                             ;   in Loop: Header=BB4_3272 Depth=2
	v_cmp_ne_u16_e64 vcc_lo, 0, v134
	v_mov_b32_e32 v135, 0
	s_and_not1_b32 s7, s7, exec_lo
	s_delay_alu instid0(VALU_DEP_2) | instskip(NEXT) | instid1(SALU_CYCLE_1)
	s_and_b32 s24, vcc_lo, exec_lo
	s_or_b32 s7, s7, s24
	s_or_b32 exec_lo, exec_lo, s25
	s_and_saveexec_b32 s24, s7
	s_cbranch_execnz .LBB4_4070
	s_branch .LBB4_4071
.LBB4_4642:                             ;   in Loop: Header=BB4_3272 Depth=2
	s_mov_b32 s7, -1
	s_mov_b32 s26, exec_lo
                                        ; implicit-def: $sgpr24
	v_cmpx_eq_u16_e64 0x80, v133
; %bb.4643:                             ;   in Loop: Header=BB4_3272 Depth=2
	s_mov_b32 s24, 0x7f800001
	s_xor_b32 s7, exec_lo, -1
; %bb.4644:                             ;   in Loop: Header=BB4_3272 Depth=2
	s_or_b32 exec_lo, exec_lo, s26
	s_delay_alu instid0(SALU_CYCLE_1)
	s_and_b32 s7, s7, exec_lo
	s_or_saveexec_b32 s25, s25
	v_mov_b32_e32 v16, s24
	s_xor_b32 exec_lo, exec_lo, s25
	s_cbranch_execz .LBB4_4073
.LBB4_4645:                             ;   in Loop: Header=BB4_3272 Depth=2
	v_cmp_ne_u16_e64 vcc_lo, 0, v133
	v_mov_b32_e32 v16, 0
	s_and_not1_b32 s7, s7, exec_lo
	s_delay_alu instid0(VALU_DEP_2) | instskip(NEXT) | instid1(SALU_CYCLE_1)
	s_and_b32 s24, vcc_lo, exec_lo
	s_or_b32 s7, s7, s24
	s_or_b32 exec_lo, exec_lo, s25
	s_and_saveexec_b32 s24, s7
	s_cbranch_execnz .LBB4_4074
	s_branch .LBB4_4075
.LBB4_4646:                             ;   in Loop: Header=BB4_3272 Depth=2
	s_mov_b32 s7, -1
	s_mov_b32 s26, exec_lo
                                        ; implicit-def: $sgpr24
	v_cmpx_eq_u16_e64 0x80, v133
; %bb.4647:                             ;   in Loop: Header=BB4_3272 Depth=2
	s_mov_b32 s24, 0x7f800001
	s_xor_b32 s7, exec_lo, -1
; %bb.4648:                             ;   in Loop: Header=BB4_3272 Depth=2
	s_or_b32 exec_lo, exec_lo, s26
	s_delay_alu instid0(SALU_CYCLE_1)
	s_and_b32 s7, s7, exec_lo
                                        ; implicit-def: $vgpr133
	s_or_saveexec_b32 s25, s25
	v_mov_b32_e32 v16, s24
	s_xor_b32 exec_lo, exec_lo, s25
	s_cbranch_execz .LBB4_4087
.LBB4_4649:                             ;   in Loop: Header=BB4_3272 Depth=2
	v_cmp_ne_u16_e64 vcc_lo, 0, v133
	v_mov_b32_e32 v16, 0
	s_and_not1_b32 s7, s7, exec_lo
	s_delay_alu instid0(VALU_DEP_2) | instskip(NEXT) | instid1(SALU_CYCLE_1)
	s_and_b32 s24, vcc_lo, exec_lo
	s_or_b32 s7, s7, s24
	s_or_b32 exec_lo, exec_lo, s25
	s_and_saveexec_b32 s24, s7
	s_cbranch_execnz .LBB4_4088
	s_branch .LBB4_4089
.LBB4_4650:                             ;   in Loop: Header=BB4_3272 Depth=2
	s_mov_b32 s7, -1
	s_mov_b32 s26, exec_lo
                                        ; implicit-def: $sgpr24
	v_cmpx_eq_u16_e64 0x80, v134
; %bb.4651:                             ;   in Loop: Header=BB4_3272 Depth=2
	s_mov_b32 s24, 0x7f800001
	s_xor_b32 s7, exec_lo, -1
; %bb.4652:                             ;   in Loop: Header=BB4_3272 Depth=2
	s_or_b32 exec_lo, exec_lo, s26
	s_delay_alu instid0(SALU_CYCLE_1)
	s_and_b32 s7, s7, exec_lo
                                        ; implicit-def: $vgpr134
	s_or_saveexec_b32 s25, s25
	v_mov_b32_e32 v133, s24
	s_xor_b32 exec_lo, exec_lo, s25
	s_cbranch_execz .LBB4_4091
.LBB4_4653:                             ;   in Loop: Header=BB4_3272 Depth=2
	v_cmp_ne_u16_e64 vcc_lo, 0, v134
	v_mov_b32_e32 v133, 0
	s_and_not1_b32 s7, s7, exec_lo
	s_delay_alu instid0(VALU_DEP_2) | instskip(NEXT) | instid1(SALU_CYCLE_1)
	s_and_b32 s24, vcc_lo, exec_lo
	s_or_b32 s7, s7, s24
	s_or_b32 exec_lo, exec_lo, s25
	s_and_saveexec_b32 s24, s7
	s_cbranch_execnz .LBB4_4092
	s_branch .LBB4_4093
.LBB4_4654:                             ;   in Loop: Header=BB4_3272 Depth=2
	s_mov_b32 s7, -1
	s_mov_b32 s26, exec_lo
                                        ; implicit-def: $sgpr24
	v_cmpx_eq_u16_e64 0x80, v133
; %bb.4655:                             ;   in Loop: Header=BB4_3272 Depth=2
	s_mov_b32 s24, 0x7f800001
	s_xor_b32 s7, exec_lo, -1
; %bb.4656:                             ;   in Loop: Header=BB4_3272 Depth=2
	s_or_b32 exec_lo, exec_lo, s26
	s_delay_alu instid0(SALU_CYCLE_1)
	s_and_b32 s7, s7, exec_lo
                                        ; implicit-def: $vgpr133
	s_or_saveexec_b32 s25, s25
	v_mov_b32_e32 v16, s24
	s_xor_b32 exec_lo, exec_lo, s25
	s_cbranch_execz .LBB4_4098
.LBB4_4657:                             ;   in Loop: Header=BB4_3272 Depth=2
	v_cmp_ne_u16_e64 vcc_lo, 0, v133
	v_mov_b32_e32 v16, 0
	s_and_not1_b32 s7, s7, exec_lo
	s_delay_alu instid0(VALU_DEP_2) | instskip(NEXT) | instid1(SALU_CYCLE_1)
	s_and_b32 s24, vcc_lo, exec_lo
	s_or_b32 s7, s7, s24
	s_or_b32 exec_lo, exec_lo, s25
	s_and_saveexec_b32 s24, s7
	s_cbranch_execnz .LBB4_4099
	s_branch .LBB4_4100
.LBB4_4658:                             ;   in Loop: Header=BB4_3272 Depth=2
	s_mov_b32 s7, -1
	s_mov_b32 s26, exec_lo
                                        ; implicit-def: $sgpr24
	v_cmpx_eq_u16_e64 0x80, v134
; %bb.4659:                             ;   in Loop: Header=BB4_3272 Depth=2
	s_mov_b32 s24, 0x7f800001
	s_xor_b32 s7, exec_lo, -1
; %bb.4660:                             ;   in Loop: Header=BB4_3272 Depth=2
	s_or_b32 exec_lo, exec_lo, s26
	s_delay_alu instid0(SALU_CYCLE_1)
	s_and_b32 s7, s7, exec_lo
                                        ; implicit-def: $vgpr134
	s_or_saveexec_b32 s25, s25
	v_mov_b32_e32 v133, s24
	s_xor_b32 exec_lo, exec_lo, s25
	s_cbranch_execz .LBB4_4102
.LBB4_4661:                             ;   in Loop: Header=BB4_3272 Depth=2
	v_cmp_ne_u16_e64 vcc_lo, 0, v134
	v_mov_b32_e32 v133, 0
	s_and_not1_b32 s7, s7, exec_lo
	s_delay_alu instid0(VALU_DEP_2) | instskip(NEXT) | instid1(SALU_CYCLE_1)
	s_and_b32 s24, vcc_lo, exec_lo
	s_or_b32 s7, s7, s24
	s_or_b32 exec_lo, exec_lo, s25
	s_and_saveexec_b32 s24, s7
	s_cbranch_execnz .LBB4_4103
	s_branch .LBB4_4104
.LBB4_4662:                             ;   in Loop: Header=BB4_3272 Depth=2
	s_mov_b32 s7, -1
	s_mov_b32 s26, exec_lo
                                        ; implicit-def: $sgpr24
	v_cmpx_eq_u16_e64 0x80, v134
; %bb.4663:                             ;   in Loop: Header=BB4_3272 Depth=2
	s_mov_b32 s24, 0x7f800001
	s_xor_b32 s7, exec_lo, -1
; %bb.4664:                             ;   in Loop: Header=BB4_3272 Depth=2
	s_or_b32 exec_lo, exec_lo, s26
	s_delay_alu instid0(SALU_CYCLE_1)
	s_and_b32 s7, s7, exec_lo
	s_or_saveexec_b32 s25, s25
	v_mov_b32_e32 v135, s24
	s_xor_b32 exec_lo, exec_lo, s25
	s_cbranch_execz .LBB4_4116
.LBB4_4665:                             ;   in Loop: Header=BB4_3272 Depth=2
	v_cmp_ne_u16_e64 vcc_lo, 0, v134
	v_mov_b32_e32 v135, 0
	s_and_not1_b32 s7, s7, exec_lo
	s_delay_alu instid0(VALU_DEP_2) | instskip(NEXT) | instid1(SALU_CYCLE_1)
	s_and_b32 s24, vcc_lo, exec_lo
	s_or_b32 s7, s7, s24
	s_or_b32 exec_lo, exec_lo, s25
	s_and_saveexec_b32 s24, s7
	s_cbranch_execnz .LBB4_4117
	s_branch .LBB4_4118
.LBB4_4666:                             ;   in Loop: Header=BB4_3272 Depth=2
	s_mov_b32 s7, -1
	s_mov_b32 s26, exec_lo
                                        ; implicit-def: $sgpr24
	v_cmpx_eq_u16_e64 0x80, v133
; %bb.4667:                             ;   in Loop: Header=BB4_3272 Depth=2
	s_mov_b32 s24, 0x7f800001
	s_xor_b32 s7, exec_lo, -1
; %bb.4668:                             ;   in Loop: Header=BB4_3272 Depth=2
	s_or_b32 exec_lo, exec_lo, s26
	s_delay_alu instid0(SALU_CYCLE_1)
	s_and_b32 s7, s7, exec_lo
	s_or_saveexec_b32 s25, s25
	v_mov_b32_e32 v144, s24
	s_xor_b32 exec_lo, exec_lo, s25
	s_cbranch_execz .LBB4_4120
.LBB4_4669:                             ;   in Loop: Header=BB4_3272 Depth=2
	v_cmp_ne_u16_e64 vcc_lo, 0, v133
	v_mov_b32_e32 v144, 0
	s_and_not1_b32 s7, s7, exec_lo
	s_delay_alu instid0(VALU_DEP_2) | instskip(NEXT) | instid1(SALU_CYCLE_1)
	s_and_b32 s24, vcc_lo, exec_lo
	s_or_b32 s7, s7, s24
	s_or_b32 exec_lo, exec_lo, s25
	s_and_saveexec_b32 s24, s7
	s_cbranch_execnz .LBB4_4121
	s_branch .LBB4_4122
.LBB4_4670:                             ;   in Loop: Header=BB4_3272 Depth=2
	s_mov_b32 s7, -1
	s_mov_b32 s26, exec_lo
                                        ; implicit-def: $sgpr24
	v_cmpx_eq_u16_e64 0x80, v134
; %bb.4671:                             ;   in Loop: Header=BB4_3272 Depth=2
	s_mov_b32 s24, 0x7f800001
	s_xor_b32 s7, exec_lo, -1
; %bb.4672:                             ;   in Loop: Header=BB4_3272 Depth=2
	s_or_b32 exec_lo, exec_lo, s26
	s_delay_alu instid0(SALU_CYCLE_1)
	s_and_b32 s7, s7, exec_lo
	s_or_saveexec_b32 s25, s25
	v_mov_b32_e32 v135, s24
	s_xor_b32 exec_lo, exec_lo, s25
	s_cbranch_execz .LBB4_4127
.LBB4_4673:                             ;   in Loop: Header=BB4_3272 Depth=2
	v_cmp_ne_u16_e64 vcc_lo, 0, v134
	v_mov_b32_e32 v135, 0
	s_and_not1_b32 s7, s7, exec_lo
	s_delay_alu instid0(VALU_DEP_2) | instskip(NEXT) | instid1(SALU_CYCLE_1)
	s_and_b32 s24, vcc_lo, exec_lo
	s_or_b32 s7, s7, s24
	s_or_b32 exec_lo, exec_lo, s25
	s_and_saveexec_b32 s24, s7
	s_cbranch_execnz .LBB4_4128
	s_branch .LBB4_4129
.LBB4_4674:                             ;   in Loop: Header=BB4_3272 Depth=2
	s_mov_b32 s7, -1
	s_mov_b32 s26, exec_lo
                                        ; implicit-def: $sgpr24
	v_cmpx_eq_u16_e64 0x80, v133
; %bb.4675:                             ;   in Loop: Header=BB4_3272 Depth=2
	s_mov_b32 s24, 0x7f800001
	s_xor_b32 s7, exec_lo, -1
; %bb.4676:                             ;   in Loop: Header=BB4_3272 Depth=2
	s_or_b32 exec_lo, exec_lo, s26
	s_delay_alu instid0(SALU_CYCLE_1)
	s_and_b32 s7, s7, exec_lo
	s_or_saveexec_b32 s25, s25
	v_mov_b32_e32 v134, s24
	s_xor_b32 exec_lo, exec_lo, s25
	s_cbranch_execz .LBB4_4131
.LBB4_4677:                             ;   in Loop: Header=BB4_3272 Depth=2
	v_cmp_ne_u16_e64 vcc_lo, 0, v133
	v_mov_b32_e32 v134, 0
	s_and_not1_b32 s7, s7, exec_lo
	s_delay_alu instid0(VALU_DEP_2) | instskip(NEXT) | instid1(SALU_CYCLE_1)
	s_and_b32 s24, vcc_lo, exec_lo
	s_or_b32 s7, s7, s24
	s_or_b32 exec_lo, exec_lo, s25
	s_and_saveexec_b32 s24, s7
	s_cbranch_execnz .LBB4_4132
	s_branch .LBB4_4133
.LBB4_4678:                             ;   in Loop: Header=BB4_3272 Depth=2
	s_mov_b32 s7, -1
	s_mov_b32 s26, exec_lo
                                        ; implicit-def: $sgpr24
	v_cmpx_eq_u16_e64 0x80, v145
; %bb.4679:                             ;   in Loop: Header=BB4_3272 Depth=2
	s_mov_b32 s24, 0x7f800001
	s_xor_b32 s7, exec_lo, -1
; %bb.4680:                             ;   in Loop: Header=BB4_3272 Depth=2
	s_or_b32 exec_lo, exec_lo, s26
	s_delay_alu instid0(SALU_CYCLE_1)
	s_and_b32 s7, s7, exec_lo
                                        ; implicit-def: $vgpr145
	s_or_saveexec_b32 s25, s25
	v_mov_b32_e32 v144, s24
	s_xor_b32 exec_lo, exec_lo, s25
	s_cbranch_execz .LBB4_4145
.LBB4_4681:                             ;   in Loop: Header=BB4_3272 Depth=2
	v_cmp_ne_u16_e64 vcc_lo, 0, v145
	v_mov_b32_e32 v144, 0
	s_and_not1_b32 s7, s7, exec_lo
	s_delay_alu instid0(VALU_DEP_2) | instskip(NEXT) | instid1(SALU_CYCLE_1)
	s_and_b32 s24, vcc_lo, exec_lo
	s_or_b32 s7, s7, s24
	s_or_b32 exec_lo, exec_lo, s25
	s_and_saveexec_b32 s24, s7
	s_cbranch_execnz .LBB4_4146
	s_branch .LBB4_4147
.LBB4_4682:                             ;   in Loop: Header=BB4_3272 Depth=2
	s_mov_b32 s7, -1
	s_mov_b32 s26, exec_lo
                                        ; implicit-def: $sgpr24
	v_cmpx_eq_u16_e64 0x80, v146
; %bb.4683:                             ;   in Loop: Header=BB4_3272 Depth=2
	s_mov_b32 s24, 0x7f800001
	s_xor_b32 s7, exec_lo, -1
; %bb.4684:                             ;   in Loop: Header=BB4_3272 Depth=2
	s_or_b32 exec_lo, exec_lo, s26
	s_delay_alu instid0(SALU_CYCLE_1)
	s_and_b32 s7, s7, exec_lo
                                        ; implicit-def: $vgpr146
	s_or_saveexec_b32 s25, s25
	v_mov_b32_e32 v145, s24
	s_xor_b32 exec_lo, exec_lo, s25
	s_cbranch_execz .LBB4_4149
.LBB4_4685:                             ;   in Loop: Header=BB4_3272 Depth=2
	v_cmp_ne_u16_e64 vcc_lo, 0, v146
	v_mov_b32_e32 v145, 0
	s_and_not1_b32 s7, s7, exec_lo
	s_delay_alu instid0(VALU_DEP_2) | instskip(NEXT) | instid1(SALU_CYCLE_1)
	s_and_b32 s24, vcc_lo, exec_lo
	s_or_b32 s7, s7, s24
	s_or_b32 exec_lo, exec_lo, s25
	s_and_saveexec_b32 s24, s7
	s_cbranch_execnz .LBB4_4150
	s_branch .LBB4_4151
.LBB4_4686:                             ;   in Loop: Header=BB4_3272 Depth=2
	s_mov_b32 s7, -1
	s_mov_b32 s26, exec_lo
                                        ; implicit-def: $sgpr24
	v_cmpx_eq_u16_e64 0x80, v145
; %bb.4687:                             ;   in Loop: Header=BB4_3272 Depth=2
	s_mov_b32 s24, 0x7f800001
	s_xor_b32 s7, exec_lo, -1
; %bb.4688:                             ;   in Loop: Header=BB4_3272 Depth=2
	s_or_b32 exec_lo, exec_lo, s26
	s_delay_alu instid0(SALU_CYCLE_1)
	s_and_b32 s7, s7, exec_lo
                                        ; implicit-def: $vgpr145
	s_or_saveexec_b32 s25, s25
	v_mov_b32_e32 v144, s24
	s_xor_b32 exec_lo, exec_lo, s25
	s_cbranch_execz .LBB4_4156
.LBB4_4689:                             ;   in Loop: Header=BB4_3272 Depth=2
	v_cmp_ne_u16_e64 vcc_lo, 0, v145
	v_mov_b32_e32 v144, 0
	s_and_not1_b32 s7, s7, exec_lo
	s_delay_alu instid0(VALU_DEP_2) | instskip(NEXT) | instid1(SALU_CYCLE_1)
	s_and_b32 s24, vcc_lo, exec_lo
	s_or_b32 s7, s7, s24
	s_or_b32 exec_lo, exec_lo, s25
	s_and_saveexec_b32 s24, s7
	s_cbranch_execnz .LBB4_4157
	s_branch .LBB4_4158
.LBB4_4690:                             ;   in Loop: Header=BB4_3272 Depth=2
	s_mov_b32 s7, -1
	s_mov_b32 s26, exec_lo
                                        ; implicit-def: $sgpr24
	v_cmpx_eq_u16_e64 0x80, v145
; %bb.4691:                             ;   in Loop: Header=BB4_3272 Depth=2
	s_mov_b32 s24, 0x7f800001
	s_xor_b32 s7, exec_lo, -1
; %bb.4692:                             ;   in Loop: Header=BB4_3272 Depth=2
	s_or_b32 exec_lo, exec_lo, s26
	s_delay_alu instid0(SALU_CYCLE_1)
	s_and_b32 s7, s7, exec_lo
                                        ; implicit-def: $vgpr145
	s_or_saveexec_b32 s25, s25
	v_mov_b32_e32 v135, s24
	s_xor_b32 exec_lo, exec_lo, s25
	s_cbranch_execz .LBB4_4160
.LBB4_4693:                             ;   in Loop: Header=BB4_3272 Depth=2
	v_cmp_ne_u16_e64 vcc_lo, 0, v145
	v_mov_b32_e32 v135, 0
	s_and_not1_b32 s7, s7, exec_lo
	s_delay_alu instid0(VALU_DEP_2) | instskip(NEXT) | instid1(SALU_CYCLE_1)
	s_and_b32 s24, vcc_lo, exec_lo
	s_or_b32 s7, s7, s24
	s_or_b32 exec_lo, exec_lo, s25
	s_and_saveexec_b32 s24, s7
	s_cbranch_execnz .LBB4_4161
	s_branch .LBB4_4162
.LBB4_4694:                             ;   in Loop: Header=BB4_3272 Depth=2
	s_mov_b32 s7, -1
	s_mov_b32 s26, exec_lo
                                        ; implicit-def: $sgpr24
	v_cmpx_eq_u16_e64 0x80, v144
; %bb.4695:                             ;   in Loop: Header=BB4_3272 Depth=2
	s_mov_b32 s24, 0x7f800001
	s_xor_b32 s7, exec_lo, -1
; %bb.4696:                             ;   in Loop: Header=BB4_3272 Depth=2
	s_or_b32 exec_lo, exec_lo, s26
	s_delay_alu instid0(SALU_CYCLE_1)
	s_and_b32 s7, s7, exec_lo
	s_or_saveexec_b32 s25, s25
	v_mov_b32_e32 v145, s24
	s_xor_b32 exec_lo, exec_lo, s25
	s_cbranch_execz .LBB4_4174
.LBB4_4697:                             ;   in Loop: Header=BB4_3272 Depth=2
	v_cmp_ne_u16_e64 vcc_lo, 0, v144
	v_mov_b32_e32 v145, 0
	s_and_not1_b32 s7, s7, exec_lo
	s_delay_alu instid0(VALU_DEP_2) | instskip(NEXT) | instid1(SALU_CYCLE_1)
	s_and_b32 s24, vcc_lo, exec_lo
	s_or_b32 s7, s7, s24
	s_or_b32 exec_lo, exec_lo, s25
	s_and_saveexec_b32 s24, s7
	s_cbranch_execnz .LBB4_4175
	s_branch .LBB4_4176
.LBB4_4698:                             ;   in Loop: Header=BB4_3272 Depth=2
	s_mov_b32 s7, -1
	s_mov_b32 s26, exec_lo
                                        ; implicit-def: $sgpr24
	v_cmpx_eq_u16_e64 0x80, v135
; %bb.4699:                             ;   in Loop: Header=BB4_3272 Depth=2
	s_mov_b32 s24, 0x7f800001
	s_xor_b32 s7, exec_lo, -1
; %bb.4700:                             ;   in Loop: Header=BB4_3272 Depth=2
	s_or_b32 exec_lo, exec_lo, s26
	s_delay_alu instid0(SALU_CYCLE_1)
	s_and_b32 s7, s7, exec_lo
	s_or_saveexec_b32 s25, s25
	v_mov_b32_e32 v146, s24
	s_xor_b32 exec_lo, exec_lo, s25
	s_cbranch_execz .LBB4_4178
.LBB4_4701:                             ;   in Loop: Header=BB4_3272 Depth=2
	v_cmp_ne_u16_e64 vcc_lo, 0, v135
	v_mov_b32_e32 v146, 0
	s_and_not1_b32 s7, s7, exec_lo
	s_delay_alu instid0(VALU_DEP_2) | instskip(NEXT) | instid1(SALU_CYCLE_1)
	s_and_b32 s24, vcc_lo, exec_lo
	s_or_b32 s7, s7, s24
	s_or_b32 exec_lo, exec_lo, s25
	s_and_saveexec_b32 s24, s7
	s_cbranch_execnz .LBB4_4179
	s_branch .LBB4_4180
.LBB4_4702:                             ;   in Loop: Header=BB4_3272 Depth=2
	s_mov_b32 s7, -1
	s_mov_b32 s26, exec_lo
                                        ; implicit-def: $sgpr24
	v_cmpx_eq_u16_e64 0x80, v144
; %bb.4703:                             ;   in Loop: Header=BB4_3272 Depth=2
	s_mov_b32 s24, 0x7f800001
	s_xor_b32 s7, exec_lo, -1
; %bb.4704:                             ;   in Loop: Header=BB4_3272 Depth=2
	s_or_b32 exec_lo, exec_lo, s26
	s_delay_alu instid0(SALU_CYCLE_1)
	s_and_b32 s7, s7, exec_lo
	s_or_saveexec_b32 s25, s25
	v_mov_b32_e32 v145, s24
	s_xor_b32 exec_lo, exec_lo, s25
	s_cbranch_execz .LBB4_4185
.LBB4_4705:                             ;   in Loop: Header=BB4_3272 Depth=2
	v_cmp_ne_u16_e64 vcc_lo, 0, v144
	v_mov_b32_e32 v145, 0
	s_and_not1_b32 s7, s7, exec_lo
	s_delay_alu instid0(VALU_DEP_2) | instskip(NEXT) | instid1(SALU_CYCLE_1)
	s_and_b32 s24, vcc_lo, exec_lo
	s_or_b32 s7, s7, s24
	s_or_b32 exec_lo, exec_lo, s25
	s_and_saveexec_b32 s24, s7
	s_cbranch_execnz .LBB4_4186
	s_branch .LBB4_4187
.LBB4_4706:                             ;   in Loop: Header=BB4_3272 Depth=2
	s_mov_b32 s7, -1
	s_mov_b32 s26, exec_lo
                                        ; implicit-def: $sgpr24
	v_cmpx_eq_u16_e64 0x80, v135
; %bb.4707:                             ;   in Loop: Header=BB4_3272 Depth=2
	s_mov_b32 s24, 0x7f800001
	s_xor_b32 s7, exec_lo, -1
; %bb.4708:                             ;   in Loop: Header=BB4_3272 Depth=2
	s_or_b32 exec_lo, exec_lo, s26
	s_delay_alu instid0(SALU_CYCLE_1)
	s_and_b32 s7, s7, exec_lo
	s_or_saveexec_b32 s25, s25
	v_mov_b32_e32 v17, s24
	s_xor_b32 exec_lo, exec_lo, s25
	s_cbranch_execz .LBB4_4189
.LBB4_4709:                             ;   in Loop: Header=BB4_3272 Depth=2
	v_cmp_ne_u16_e64 vcc_lo, 0, v135
	v_mov_b32_e32 v17, 0
	s_and_not1_b32 s7, s7, exec_lo
	s_delay_alu instid0(VALU_DEP_2) | instskip(NEXT) | instid1(SALU_CYCLE_1)
	s_and_b32 s24, vcc_lo, exec_lo
	s_or_b32 s7, s7, s24
	s_or_b32 exec_lo, exec_lo, s25
	s_and_saveexec_b32 s24, s7
	s_cbranch_execnz .LBB4_4190
	s_branch .LBB4_4191
.LBB4_4710:                             ;   in Loop: Header=BB4_3185 Depth=1
	s_or_b32 exec_lo, exec_lo, s22
.LBB4_4711:                             ;   in Loop: Header=BB4_3185 Depth=1
	s_delay_alu instid0(SALU_CYCLE_1) | instskip(SKIP_3) | instid1(VALU_DEP_1)
	s_or_b32 exec_lo, exec_lo, s10
	v_dual_mov_b32 v16, 0 :: v_dual_and_b32 v11, 0x3ffffc00, v50
	s_mov_b32 s7, 0
	s_mov_b32 s22, exec_lo
                                        ; implicit-def: $vgpr17
                                        ; implicit-def: $vgpr18
                                        ; implicit-def: $vgpr10
	v_cmpx_ne_u32_e64 v11, v50
	s_cbranch_execz .LBB4_5440
; %bb.4712:                             ;   in Loop: Header=BB4_3185 Depth=1
	v_lshlrev_b32_e32 v10, 5, v101
	v_bfe_u32 v15, v50, 9, 1
	s_mov_b32 s23, exec_lo
	s_delay_alu instid0(VALU_DEP_2) | instskip(NEXT) | instid1(VALU_DEP_1)
	v_sub_nc_u32_e32 v10, v84, v10
	v_ashrrev_i32_e32 v12, 31, v10
	s_delay_alu instid0(VALU_DEP_1) | instskip(NEXT) | instid1(VALU_DEP_1)
	v_lshrrev_b32_e32 v12, 27, v12
	v_add_nc_u32_e32 v12, v10, v12
	s_delay_alu instid0(VALU_DEP_1) | instskip(SKIP_1) | instid1(VALU_DEP_2)
	v_and_b32_e32 v13, 0xffffffe0, v12
	v_ashrrev_i32_e32 v12, 5, v12
	v_sub_nc_u32_e32 v24, v10, v13
	v_and_b32_e32 v13, 0x3ff, v50
	v_and_b32_e32 v10, 0x200, v50
	s_delay_alu instid0(VALU_DEP_3) | instskip(NEXT) | instid1(VALU_DEP_2)
	v_lshlrev_b32_e32 v14, 4, v24
	v_sub_nc_u32_e32 v25, v13, v10
	s_delay_alu instid0(VALU_DEP_2) | instskip(NEXT) | instid1(VALU_DEP_2)
	v_lshl_add_u32 v10, v12, 9, v14
	v_cmp_lt_i32_e64 s7, 15, v25
	s_delay_alu instid0(VALU_DEP_2) | instskip(NEXT) | instid1(VALU_DEP_2)
	v_sub_nc_u32_e32 v65, v13, v10
	v_add_co_ci_u32_e64 v14, vcc_lo, 0, v15, s7
	s_delay_alu instid0(VALU_DEP_1) | instskip(NEXT) | instid1(VALU_DEP_3)
	v_sub_nc_u32_e32 v64, v14, v12
	v_cmpx_lt_i32_e32 15, v65
	s_cbranch_execz .LBB4_5437
; %bb.4713:                             ;   in Loop: Header=BB4_3185 Depth=1
	s_cbranch_execnz .LBB4_6759
; %bb.4714:                             ;   in Loop: Header=BB4_3185 Depth=1
	ds_load_b128 v[12:15], v0
	ds_load_b64 v[16:17], v0
	v_add_nc_u32_e32 v10, v10, v11
	s_bitcmp1_b32 s21, 0
	s_mov_b32 s24, 0
	s_cselect_b32 s25, -1, 0
	s_delay_alu instid0(VALU_DEP_1) | instskip(SKIP_3) | instid1(VALU_DEP_2)
	v_ashrrev_i32_e32 v11, 31, v10
	s_waitcnt lgkmcnt(1)
	v_add_co_u32 v18, vcc_lo, v12, v10
	s_waitcnt vmcnt(0)
	v_add_co_ci_u32_e32 v19, vcc_lo, v13, v11, vcc_lo
	v_add_co_u32 v20, vcc_lo, v14, v10
	v_add_co_ci_u32_e32 v21, vcc_lo, v15, v11, vcc_lo
	s_waitcnt lgkmcnt(0)
	v_add_co_u32 v22, vcc_lo, v16, v10
	v_add_co_ci_u32_e32 v23, vcc_lo, v17, v11, vcc_lo
	s_branch .LBB4_4718
.LBB4_4715:                             ;   in Loop: Header=BB4_4718 Depth=2
	s_or_b32 exec_lo, exec_lo, s10
	s_delay_alu instid0(VALU_DEP_1) | instskip(NEXT) | instid1(VALU_DEP_2)
	v_lshrrev_b32_e32 v17, 20, v17
	v_cmp_gt_i32_e32 vcc_lo, 16, v13
	v_min_i32_e32 v114, 15, v13
	v_lshrrev_b32_e32 v115, 24, v116
	s_delay_alu instid0(VALU_DEP_2) | instskip(NEXT) | instid1(VALU_DEP_2)
	v_dual_cndmask_b32 v17, 7, v17 :: v_dual_lshlrev_b32 v114, 3, v114
	v_and_b32_e32 v115, 0x80, v115
	s_delay_alu instid0(VALU_DEP_2) | instskip(SKIP_1) | instid1(VALU_DEP_2)
	v_or_b32_e32 v13, v13, v17
	v_and_b32_e32 v116, 7, v17
	v_cmp_ne_u32_e32 vcc_lo, 0, v13
	v_and_b32_e32 v114, 0xf8, v114
	s_delay_alu instid0(VALU_DEP_1) | instskip(NEXT) | instid1(VALU_DEP_1)
	v_or3_b32 v114, v115, v114, v116
	v_lshlrev_b32_e32 v17, 8, v114
	s_delay_alu instid0(VALU_DEP_1)
	v_cndmask_b32_e32 v13, 0, v17, vcc_lo
.LBB4_4716:                             ;   in Loop: Header=BB4_4718 Depth=2
	s_or_b32 exec_lo, exec_lo, s27
.LBB4_4717:                             ;   in Loop: Header=BB4_4718 Depth=2
	s_delay_alu instid0(SALU_CYCLE_1)
	s_or_b32 exec_lo, exec_lo, s26
	v_lshlrev_b32_e32 v17, 8, v69
	v_and_b32_e32 v68, 0xff, v68
	v_or_b32_e32 v11, v11, v101
	v_lshlrev_b32_e32 v67, 8, v67
	v_lshlrev_b32_e32 v69, 8, v102
	v_perm_b32 v14, v17, v14, 0xc0c0500
	v_lshlrev_b32_e32 v17, 16, v68
	v_and_b32_e32 v68, 0xff, v103
	v_lshlrev_b32_e32 v101, 8, v112
	v_lshlrev_b32_e32 v10, 24, v10
	v_perm_b32 v66, v67, v66, 0xc0c0500
	v_lshlrev_b32_e32 v12, 24, v12
	v_lshlrev_b32_e32 v67, 16, v68
	v_perm_b32 v15, v69, v15, 0xc0c0500
	v_perm_b32 v16, v101, v16, 0xc0c0500
	v_or_b32_e32 v13, v13, v113
	v_add_co_u32 v18, vcc_lo, v18, v97
	v_lshl_or_b32 v11, v11, 16, v14
	v_or3_b32 v10, v10, v17, v66
	v_or3_b32 v12, v12, v67, v15
	v_lshl_or_b32 v13, v13, 16, v16
	v_sub_nc_u32_e32 v65, v65, v83
	v_add_co_ci_u32_e32 v19, vcc_lo, v19, v98, vcc_lo
	v_add_co_u32 v20, vcc_lo, v20, v97
	v_add_co_ci_u32_e32 v21, vcc_lo, v21, v98, vcc_lo
	global_store_b128 v[22:23], v[10:13], off glc slc dlc
	v_cmp_gt_i32_e32 vcc_lo, 16, v65
	v_add_co_u32 v22, s10, v22, v97
	s_delay_alu instid0(VALU_DEP_1) | instskip(SKIP_2) | instid1(SALU_CYCLE_1)
	v_add_co_ci_u32_e64 v23, s10, v23, v98, s10
	v_sub_nc_u32_e32 v64, v64, v70
	s_or_b32 s24, vcc_lo, s24
	s_and_not1_b32 exec_lo, exec_lo, s24
	s_cbranch_execz .LBB4_5436
.LBB4_4718:                             ;   Parent Loop BB4_3185 Depth=1
                                        ; =>  This Inner Loop Header: Depth=2
	global_load_b128 v[14:17], v[18:19], off slc dlc
	global_load_b128 v[10:13], v[20:21], off slc dlc
	s_and_b32 vcc_lo, exec_lo, s25
	s_cbranch_vccz .LBB4_4728
; %bb.4719:                             ;   in Loop: Header=BB4_4718 Depth=2
	s_waitcnt vmcnt(1)
	v_and_b32_e32 v67, 0xff, v14
	s_mov_b32 s10, 0
	s_mov_b32 s27, exec_lo
                                        ; implicit-def: $sgpr26
	s_delay_alu instid0(VALU_DEP_1)
	v_cmpx_lt_i16_e32 0x7f, v67
	s_xor_b32 s27, exec_lo, s27
	s_cbranch_execnz .LBB4_5180
; %bb.4720:                             ;   in Loop: Header=BB4_4718 Depth=2
	s_or_saveexec_b32 s27, s27
	v_mov_b32_e32 v66, s26
	s_xor_b32 exec_lo, exec_lo, s27
	s_cbranch_execnz .LBB4_5183
.LBB4_4721:                             ;   in Loop: Header=BB4_4718 Depth=2
	s_or_b32 exec_lo, exec_lo, s27
	s_and_saveexec_b32 s26, s10
	s_cbranch_execz .LBB4_4723
.LBB4_4722:                             ;   in Loop: Header=BB4_4718 Depth=2
	v_bfe_u32 v69, v14, 3, 4
	s_delay_alu instid0(VALU_DEP_1) | instskip(SKIP_1) | instid1(VALU_DEP_1)
	v_cmp_eq_u32_e32 vcc_lo, 0, v69
	v_and_b32_e32 v66, 7, v14
	v_clz_i32_u32_e32 v67, v66
	s_delay_alu instid0(VALU_DEP_1) | instskip(NEXT) | instid1(VALU_DEP_1)
	v_min_u32_e32 v67, 32, v67
	v_subrev_nc_u32_e32 v68, 28, v67
	v_sub_nc_u32_e32 v67, 29, v67
	s_delay_alu instid0(VALU_DEP_1) | instskip(NEXT) | instid1(VALU_DEP_1)
	v_dual_cndmask_b32 v67, v69, v67 :: v_dual_lshlrev_b32 v68, v68, v14
	v_and_b32_e32 v68, 7, v68
	v_lshlrev_b32_e32 v101, 24, v14
	s_delay_alu instid0(VALU_DEP_3) | instskip(NEXT) | instid1(VALU_DEP_3)
	v_lshl_add_u32 v67, v67, 23, 0x3b800000
	v_cndmask_b32_e32 v66, v66, v68, vcc_lo
	s_delay_alu instid0(VALU_DEP_3) | instskip(NEXT) | instid1(VALU_DEP_2)
	v_and_b32_e32 v68, 0x80000000, v101
	v_lshlrev_b32_e32 v66, 20, v66
	s_delay_alu instid0(VALU_DEP_1)
	v_or3_b32 v66, v68, v67, v66
.LBB4_4723:                             ;   in Loop: Header=BB4_4718 Depth=2
	s_or_b32 exec_lo, exec_lo, s26
	s_waitcnt vmcnt(0)
	v_and_b32_e32 v68, 0xff, v10
	s_mov_b32 s10, 0
	s_mov_b32 s27, exec_lo
                                        ; implicit-def: $sgpr26
	s_delay_alu instid0(VALU_DEP_1)
	v_cmpx_lt_i16_e32 0x7f, v68
	s_xor_b32 s27, exec_lo, s27
	s_cbranch_execnz .LBB4_5184
; %bb.4724:                             ;   in Loop: Header=BB4_4718 Depth=2
	s_or_saveexec_b32 s27, s27
	v_mov_b32_e32 v67, s26
	s_xor_b32 exec_lo, exec_lo, s27
	s_cbranch_execnz .LBB4_5187
.LBB4_4725:                             ;   in Loop: Header=BB4_4718 Depth=2
	s_or_b32 exec_lo, exec_lo, s27
	s_and_saveexec_b32 s26, s10
	s_cbranch_execz .LBB4_4727
.LBB4_4726:                             ;   in Loop: Header=BB4_4718 Depth=2
	v_bfe_u32 v101, v10, 3, 4
	s_delay_alu instid0(VALU_DEP_1) | instskip(SKIP_1) | instid1(VALU_DEP_1)
	v_cmp_eq_u32_e32 vcc_lo, 0, v101
	v_and_b32_e32 v67, 7, v10
	v_clz_i32_u32_e32 v68, v67
	s_delay_alu instid0(VALU_DEP_1) | instskip(NEXT) | instid1(VALU_DEP_1)
	v_min_u32_e32 v68, 32, v68
	v_subrev_nc_u32_e32 v69, 28, v68
	v_sub_nc_u32_e32 v68, 29, v68
	s_delay_alu instid0(VALU_DEP_2) | instskip(NEXT) | instid1(VALU_DEP_1)
	v_lshlrev_b32_e32 v69, v69, v10
	v_dual_cndmask_b32 v68, v101, v68 :: v_dual_and_b32 v69, 7, v69
	v_lshlrev_b32_e32 v102, 24, v10
	s_delay_alu instid0(VALU_DEP_2) | instskip(NEXT) | instid1(VALU_DEP_3)
	v_lshl_add_u32 v68, v68, 23, 0x3b800000
	v_cndmask_b32_e32 v67, v67, v69, vcc_lo
	s_delay_alu instid0(VALU_DEP_3) | instskip(NEXT) | instid1(VALU_DEP_2)
	v_and_b32_e32 v69, 0x80000000, v102
	v_lshlrev_b32_e32 v67, 20, v67
	s_delay_alu instid0(VALU_DEP_1)
	v_or3_b32 v67, v69, v68, v67
.LBB4_4727:                             ;   in Loop: Header=BB4_4718 Depth=2
	s_or_b32 exec_lo, exec_lo, s26
	s_delay_alu instid0(VALU_DEP_1) | instskip(SKIP_1) | instid1(VALU_DEP_1)
	v_dual_max_f32 v67, v67, v67 :: v_dual_max_f32 v66, v66, v66
	s_mov_b32 s10, 0
	v_max_f32_e32 v67, v66, v67
	s_branch .LBB4_4729
.LBB4_4728:                             ;   in Loop: Header=BB4_4718 Depth=2
	s_mov_b32 s10, -1
                                        ; implicit-def: $vgpr67
.LBB4_4729:                             ;   in Loop: Header=BB4_4718 Depth=2
	s_delay_alu instid0(SALU_CYCLE_1)
	s_and_b32 vcc_lo, exec_lo, s10
	s_cbranch_vccz .LBB4_4739
; %bb.4730:                             ;   in Loop: Header=BB4_4718 Depth=2
	s_waitcnt vmcnt(1)
	v_and_b32_e32 v67, 0xff, v14
	s_mov_b32 s10, 0
	s_mov_b32 s27, exec_lo
                                        ; implicit-def: $sgpr26
	s_delay_alu instid0(VALU_DEP_1)
	v_cmpx_lt_i16_e32 0x7f, v67
	s_xor_b32 s27, exec_lo, s27
	s_cbranch_execnz .LBB4_5188
; %bb.4731:                             ;   in Loop: Header=BB4_4718 Depth=2
	s_or_saveexec_b32 s27, s27
	v_mov_b32_e32 v66, s26
	s_xor_b32 exec_lo, exec_lo, s27
	s_cbranch_execnz .LBB4_5191
.LBB4_4732:                             ;   in Loop: Header=BB4_4718 Depth=2
	s_or_b32 exec_lo, exec_lo, s27
	s_and_saveexec_b32 s26, s10
	s_cbranch_execz .LBB4_4734
.LBB4_4733:                             ;   in Loop: Header=BB4_4718 Depth=2
	v_bfe_u32 v69, v14, 3, 4
	s_delay_alu instid0(VALU_DEP_1) | instskip(SKIP_1) | instid1(VALU_DEP_1)
	v_cmp_eq_u32_e32 vcc_lo, 0, v69
	v_and_b32_e32 v66, 7, v14
	v_clz_i32_u32_e32 v67, v66
	s_delay_alu instid0(VALU_DEP_1) | instskip(NEXT) | instid1(VALU_DEP_1)
	v_min_u32_e32 v67, 32, v67
	v_subrev_nc_u32_e32 v68, 28, v67
	v_sub_nc_u32_e32 v67, 29, v67
	s_delay_alu instid0(VALU_DEP_1) | instskip(NEXT) | instid1(VALU_DEP_1)
	v_dual_cndmask_b32 v67, v69, v67 :: v_dual_lshlrev_b32 v68, v68, v14
	v_and_b32_e32 v68, 7, v68
	v_lshlrev_b32_e32 v101, 24, v14
	s_delay_alu instid0(VALU_DEP_3) | instskip(NEXT) | instid1(VALU_DEP_3)
	v_lshl_add_u32 v67, v67, 23, 0x3b800000
	v_cndmask_b32_e32 v66, v66, v68, vcc_lo
	s_delay_alu instid0(VALU_DEP_3) | instskip(NEXT) | instid1(VALU_DEP_2)
	v_and_b32_e32 v68, 0x80000000, v101
	v_lshlrev_b32_e32 v66, 20, v66
	s_delay_alu instid0(VALU_DEP_1)
	v_or3_b32 v66, v68, v67, v66
.LBB4_4734:                             ;   in Loop: Header=BB4_4718 Depth=2
	s_or_b32 exec_lo, exec_lo, s26
	s_waitcnt vmcnt(0)
	v_and_b32_e32 v68, 0xff, v10
	s_mov_b32 s10, 0
	s_mov_b32 s27, exec_lo
                                        ; implicit-def: $sgpr26
	s_delay_alu instid0(VALU_DEP_1)
	v_cmpx_lt_i16_e32 0x7f, v68
	s_xor_b32 s27, exec_lo, s27
	s_cbranch_execnz .LBB4_5192
; %bb.4735:                             ;   in Loop: Header=BB4_4718 Depth=2
	s_or_saveexec_b32 s27, s27
	v_mov_b32_e32 v67, s26
	s_xor_b32 exec_lo, exec_lo, s27
	s_cbranch_execnz .LBB4_5195
.LBB4_4736:                             ;   in Loop: Header=BB4_4718 Depth=2
	s_or_b32 exec_lo, exec_lo, s27
	s_and_saveexec_b32 s26, s10
	s_cbranch_execz .LBB4_4738
.LBB4_4737:                             ;   in Loop: Header=BB4_4718 Depth=2
	v_bfe_u32 v101, v10, 3, 4
	s_delay_alu instid0(VALU_DEP_1) | instskip(SKIP_1) | instid1(VALU_DEP_1)
	v_cmp_eq_u32_e32 vcc_lo, 0, v101
	v_and_b32_e32 v67, 7, v10
	v_clz_i32_u32_e32 v68, v67
	s_delay_alu instid0(VALU_DEP_1) | instskip(NEXT) | instid1(VALU_DEP_1)
	v_min_u32_e32 v68, 32, v68
	v_subrev_nc_u32_e32 v69, 28, v68
	v_sub_nc_u32_e32 v68, 29, v68
	s_delay_alu instid0(VALU_DEP_2) | instskip(NEXT) | instid1(VALU_DEP_1)
	v_lshlrev_b32_e32 v69, v69, v10
	v_dual_cndmask_b32 v68, v101, v68 :: v_dual_and_b32 v69, 7, v69
	v_lshlrev_b32_e32 v102, 24, v10
	s_delay_alu instid0(VALU_DEP_2) | instskip(NEXT) | instid1(VALU_DEP_3)
	v_lshl_add_u32 v68, v68, 23, 0x3b800000
	v_cndmask_b32_e32 v67, v67, v69, vcc_lo
	s_delay_alu instid0(VALU_DEP_3) | instskip(NEXT) | instid1(VALU_DEP_2)
	v_and_b32_e32 v69, 0x80000000, v102
	v_lshlrev_b32_e32 v67, 20, v67
	s_delay_alu instid0(VALU_DEP_1)
	v_or3_b32 v67, v69, v68, v67
.LBB4_4738:                             ;   in Loop: Header=BB4_4718 Depth=2
	s_or_b32 exec_lo, exec_lo, s26
	s_delay_alu instid0(VALU_DEP_1) | instskip(NEXT) | instid1(VALU_DEP_1)
	v_dual_max_f32 v67, v67, v67 :: v_dual_max_f32 v66, v66, v66
	v_min_f32_e32 v67, v66, v67
.LBB4_4739:                             ;   in Loop: Header=BB4_4718 Depth=2
	s_delay_alu instid0(VALU_DEP_1) | instskip(NEXT) | instid1(VALU_DEP_1)
	v_and_b32_e32 v66, 0x7f800000, v67
	v_cmp_ne_u32_e32 vcc_lo, 0x7f800000, v66
	v_mov_b32_e32 v66, 0x80
	s_and_saveexec_b32 s26, vcc_lo
	s_cbranch_execz .LBB4_4747
; %bb.4740:                             ;   in Loop: Header=BB4_4718 Depth=2
	v_mov_b32_e32 v66, 0
	s_mov_b32 s27, exec_lo
	v_cmpx_ne_u32_e32 0, v67
	s_cbranch_execz .LBB4_4746
; %bb.4741:                             ;   in Loop: Header=BB4_4718 Depth=2
	v_bfe_u32 v66, v67, 23, 8
	s_delay_alu instid0(VALU_DEP_1) | instskip(SKIP_1) | instid1(VALU_DEP_2)
	v_sub_nc_u32_e32 v69, 0x78, v66
	v_cmp_gt_u32_e32 vcc_lo, 0x79, v66
	v_dual_cndmask_b32 v69, 0, v69 :: v_dual_and_b32 v68, 0x7fffff, v67
	s_delay_alu instid0(VALU_DEP_1) | instskip(SKIP_2) | instid1(VALU_DEP_4)
	v_or_b32_e32 v101, 0x800000, v68
	v_cmp_eq_u32_e32 vcc_lo, 0, v66
	v_add_nc_u32_e32 v66, 0xffffff89, v66
	v_cndmask_b32_e64 v69, v69, 0x77, vcc_lo
	s_delay_alu instid0(VALU_DEP_4) | instskip(NEXT) | instid1(VALU_DEP_3)
	v_cndmask_b32_e32 v68, v101, v68, vcc_lo
	v_cndmask_b32_e64 v66, v66, 0xffffff8a, vcc_lo
	s_delay_alu instid0(VALU_DEP_3) | instskip(NEXT) | instid1(VALU_DEP_3)
	v_lshl_add_u32 v101, 0x100000, v69, -1
	v_lshrrev_b32_e32 v102, v69, v68
	v_lshlrev_b32_e64 v112, v69, 0x80000
	s_delay_alu instid0(VALU_DEP_4) | instskip(NEXT) | instid1(VALU_DEP_4)
	v_add_nc_u32_e32 v69, v69, v66
	v_and_b32_e32 v68, v101, v68
	s_delay_alu instid0(VALU_DEP_4) | instskip(NEXT) | instid1(VALU_DEP_2)
	v_bfe_u32 v103, v102, 20, 1
	v_cmp_eq_u32_e64 s10, v68, v112
	s_delay_alu instid0(VALU_DEP_2) | instskip(NEXT) | instid1(VALU_DEP_1)
	v_add_nc_u32_e32 v101, -1, v103
	v_cndmask_b32_e64 v68, 0, v101, s10
	v_lshrrev_b32_e32 v101, 23, v102
	s_mov_b32 s10, exec_lo
	s_delay_alu instid0(VALU_DEP_2) | instskip(NEXT) | instid1(VALU_DEP_2)
	v_add_nc_u32_e32 v68, v68, v102
	v_xor_b32_e32 v101, 1, v101
	s_delay_alu instid0(VALU_DEP_2) | instskip(NEXT) | instid1(VALU_DEP_1)
	v_and_b32_e32 v66, 0xfffff, v68
	v_add_nc_u32_e32 v68, v66, v102
                                        ; implicit-def: $vgpr66
	s_delay_alu instid0(VALU_DEP_3)
	v_cmpx_ne_u32_e64 v69, v101
	s_xor_b32 s10, exec_lo, s10
; %bb.4742:                             ;   in Loop: Header=BB4_4718 Depth=2
	s_delay_alu instid0(VALU_DEP_2) | instskip(SKIP_2) | instid1(VALU_DEP_2)
	v_cmp_lt_u32_e32 vcc_lo, 0xffffff, v68
	v_sub_nc_u32_e32 v66, v69, v101
	v_cndmask_b32_e64 v69, 0, 1, vcc_lo
	v_add_co_ci_u32_e32 v66, vcc_lo, 0, v66, vcc_lo
	s_delay_alu instid0(VALU_DEP_2)
	v_lshrrev_b32_e32 v68, v69, v68
; %bb.4743:                             ;   in Loop: Header=BB4_4718 Depth=2
	s_and_not1_saveexec_b32 s10, s10
; %bb.4744:                             ;   in Loop: Header=BB4_4718 Depth=2
	s_delay_alu instid0(VALU_DEP_1)
	v_bfe_u32 v66, v68, 23, 1
; %bb.4745:                             ;   in Loop: Header=BB4_4718 Depth=2
	s_or_b32 exec_lo, exec_lo, s10
	v_lshrrev_b32_e32 v68, 20, v68
	s_delay_alu instid0(VALU_DEP_2) | instskip(SKIP_2) | instid1(VALU_DEP_2)
	v_cmp_gt_i32_e32 vcc_lo, 16, v66
	v_lshrrev_b32_e32 v67, 24, v67
	v_min_i32_e32 v69, 15, v66
	v_dual_cndmask_b32 v68, 7, v68 :: v_dual_and_b32 v67, 0x80, v67
	s_delay_alu instid0(VALU_DEP_2) | instskip(NEXT) | instid1(VALU_DEP_2)
	v_lshlrev_b32_e32 v69, 3, v69
	v_or_b32_e32 v66, v66, v68
	s_delay_alu instid0(VALU_DEP_1) | instskip(SKIP_1) | instid1(VALU_DEP_1)
	v_cmp_ne_u32_e32 vcc_lo, 0, v66
	v_and_b32_e32 v101, 7, v68
	v_or3_b32 v67, v69, v67, v101
	s_delay_alu instid0(VALU_DEP_1)
	v_cndmask_b32_e32 v66, 0, v67, vcc_lo
.LBB4_4746:                             ;   in Loop: Header=BB4_4718 Depth=2
	s_or_b32 exec_lo, exec_lo, s27
.LBB4_4747:                             ;   in Loop: Header=BB4_4718 Depth=2
	s_delay_alu instid0(SALU_CYCLE_1)
	s_or_b32 exec_lo, exec_lo, s26
	s_waitcnt vmcnt(1)
	v_lshrrev_b16 v68, 8, v14
	s_waitcnt vmcnt(0)
	v_lshrrev_b16 v67, 8, v10
	s_and_b32 vcc_lo, exec_lo, s25
	s_cbranch_vccz .LBB4_4757
; %bb.4748:                             ;   in Loop: Header=BB4_4718 Depth=2
	s_mov_b32 s10, 0
	s_mov_b32 s27, exec_lo
                                        ; implicit-def: $sgpr26
	v_cmpx_lt_i16_e32 0x7f, v68
	s_xor_b32 s27, exec_lo, s27
	s_cbranch_execnz .LBB4_5196
; %bb.4749:                             ;   in Loop: Header=BB4_4718 Depth=2
	s_or_saveexec_b32 s27, s27
	v_mov_b32_e32 v69, s26
	s_xor_b32 exec_lo, exec_lo, s27
	s_cbranch_execnz .LBB4_5199
.LBB4_4750:                             ;   in Loop: Header=BB4_4718 Depth=2
	s_or_b32 exec_lo, exec_lo, s27
	s_and_saveexec_b32 s26, s10
	s_cbranch_execz .LBB4_4752
.LBB4_4751:                             ;   in Loop: Header=BB4_4718 Depth=2
	v_and_b32_e32 v69, 0xffff, v68
	s_delay_alu instid0(VALU_DEP_1) | instskip(NEXT) | instid1(VALU_DEP_1)
	v_and_b32_e32 v101, 7, v69
	v_clz_i32_u32_e32 v102, v101
	s_delay_alu instid0(VALU_DEP_1) | instskip(NEXT) | instid1(VALU_DEP_1)
	v_min_u32_e32 v102, 32, v102
	v_subrev_nc_u32_e32 v103, 28, v102
	v_sub_nc_u32_e32 v102, 29, v102
	s_delay_alu instid0(VALU_DEP_2) | instskip(SKIP_1) | instid1(VALU_DEP_2)
	v_lshlrev_b32_e32 v103, v103, v69
	v_bfe_u32 v69, v69, 3, 4
	v_and_b32_e32 v103, 7, v103
	s_delay_alu instid0(VALU_DEP_2) | instskip(NEXT) | instid1(VALU_DEP_2)
	v_cmp_eq_u32_e32 vcc_lo, 0, v69
	v_dual_cndmask_b32 v101, v101, v103 :: v_dual_lshlrev_b32 v112, 16, v14
	s_delay_alu instid0(VALU_DEP_1) | instskip(NEXT) | instid1(VALU_DEP_2)
	v_dual_cndmask_b32 v69, v69, v102 :: v_dual_and_b32 v102, 0x80000000, v112
	v_lshlrev_b32_e32 v101, 20, v101
	s_delay_alu instid0(VALU_DEP_2) | instskip(NEXT) | instid1(VALU_DEP_1)
	v_lshl_add_u32 v69, v69, 23, 0x3b800000
	v_or3_b32 v69, v102, v69, v101
.LBB4_4752:                             ;   in Loop: Header=BB4_4718 Depth=2
	s_or_b32 exec_lo, exec_lo, s26
	s_mov_b32 s10, 0
	s_mov_b32 s27, exec_lo
                                        ; implicit-def: $sgpr26
	v_cmpx_lt_i16_e32 0x7f, v67
	s_xor_b32 s27, exec_lo, s27
	s_cbranch_execnz .LBB4_5200
; %bb.4753:                             ;   in Loop: Header=BB4_4718 Depth=2
	s_or_saveexec_b32 s27, s27
	v_mov_b32_e32 v101, s26
	s_xor_b32 exec_lo, exec_lo, s27
	s_cbranch_execnz .LBB4_5203
.LBB4_4754:                             ;   in Loop: Header=BB4_4718 Depth=2
	s_or_b32 exec_lo, exec_lo, s27
	s_and_saveexec_b32 s26, s10
	s_cbranch_execz .LBB4_4756
.LBB4_4755:                             ;   in Loop: Header=BB4_4718 Depth=2
	v_and_b32_e32 v101, 0xffff, v67
	v_lshlrev_b32_e32 v113, 16, v10
	s_delay_alu instid0(VALU_DEP_2) | instskip(NEXT) | instid1(VALU_DEP_1)
	v_and_b32_e32 v102, 7, v101
	v_clz_i32_u32_e32 v103, v102
	s_delay_alu instid0(VALU_DEP_1) | instskip(NEXT) | instid1(VALU_DEP_1)
	v_min_u32_e32 v103, 32, v103
	v_subrev_nc_u32_e32 v112, 28, v103
	v_sub_nc_u32_e32 v103, 29, v103
	s_delay_alu instid0(VALU_DEP_2) | instskip(SKIP_1) | instid1(VALU_DEP_2)
	v_lshlrev_b32_e32 v112, v112, v101
	v_bfe_u32 v101, v101, 3, 4
	v_and_b32_e32 v112, 7, v112
	s_delay_alu instid0(VALU_DEP_2) | instskip(NEXT) | instid1(VALU_DEP_2)
	v_cmp_eq_u32_e32 vcc_lo, 0, v101
	v_dual_cndmask_b32 v101, v101, v103 :: v_dual_cndmask_b32 v102, v102, v112
	v_and_b32_e32 v103, 0x80000000, v113
	s_delay_alu instid0(VALU_DEP_2) | instskip(NEXT) | instid1(VALU_DEP_3)
	v_lshl_add_u32 v101, v101, 23, 0x3b800000
	v_lshlrev_b32_e32 v102, 20, v102
	s_delay_alu instid0(VALU_DEP_1)
	v_or3_b32 v101, v103, v101, v102
.LBB4_4756:                             ;   in Loop: Header=BB4_4718 Depth=2
	s_or_b32 exec_lo, exec_lo, s26
	s_delay_alu instid0(VALU_DEP_1) | instskip(SKIP_2) | instid1(VALU_DEP_1)
	v_max_f32_e32 v101, v101, v101
	v_max_f32_e32 v69, v69, v69
	s_mov_b32 s10, 0
	v_max_f32_e32 v69, v69, v101
	s_branch .LBB4_4758
.LBB4_4757:                             ;   in Loop: Header=BB4_4718 Depth=2
	s_mov_b32 s10, -1
                                        ; implicit-def: $vgpr69
.LBB4_4758:                             ;   in Loop: Header=BB4_4718 Depth=2
	s_delay_alu instid0(SALU_CYCLE_1)
	s_and_b32 vcc_lo, exec_lo, s10
	s_cbranch_vccz .LBB4_4768
; %bb.4759:                             ;   in Loop: Header=BB4_4718 Depth=2
	s_mov_b32 s10, 0
	s_mov_b32 s27, exec_lo
                                        ; implicit-def: $sgpr26
	v_cmpx_lt_i16_e32 0x7f, v68
	s_xor_b32 s27, exec_lo, s27
	s_cbranch_execnz .LBB4_5204
; %bb.4760:                             ;   in Loop: Header=BB4_4718 Depth=2
	s_or_saveexec_b32 s27, s27
	v_mov_b32_e32 v69, s26
	s_xor_b32 exec_lo, exec_lo, s27
	s_cbranch_execnz .LBB4_5207
.LBB4_4761:                             ;   in Loop: Header=BB4_4718 Depth=2
	s_or_b32 exec_lo, exec_lo, s27
	s_and_saveexec_b32 s26, s10
	s_cbranch_execz .LBB4_4763
.LBB4_4762:                             ;   in Loop: Header=BB4_4718 Depth=2
	v_and_b32_e32 v68, 0xffff, v68
	v_lshlrev_b32_e32 v103, 16, v14
	s_delay_alu instid0(VALU_DEP_2) | instskip(NEXT) | instid1(VALU_DEP_1)
	v_and_b32_e32 v69, 7, v68
	v_clz_i32_u32_e32 v101, v69
	s_delay_alu instid0(VALU_DEP_1) | instskip(NEXT) | instid1(VALU_DEP_1)
	v_min_u32_e32 v101, 32, v101
	v_subrev_nc_u32_e32 v102, 28, v101
	v_sub_nc_u32_e32 v101, 29, v101
	s_delay_alu instid0(VALU_DEP_2) | instskip(SKIP_1) | instid1(VALU_DEP_2)
	v_lshlrev_b32_e32 v102, v102, v68
	v_bfe_u32 v68, v68, 3, 4
	v_and_b32_e32 v102, 7, v102
	s_delay_alu instid0(VALU_DEP_2) | instskip(NEXT) | instid1(VALU_DEP_2)
	v_cmp_eq_u32_e32 vcc_lo, 0, v68
	v_dual_cndmask_b32 v68, v68, v101 :: v_dual_cndmask_b32 v69, v69, v102
	v_and_b32_e32 v101, 0x80000000, v103
	s_delay_alu instid0(VALU_DEP_2) | instskip(NEXT) | instid1(VALU_DEP_3)
	v_lshl_add_u32 v68, v68, 23, 0x3b800000
	v_lshlrev_b32_e32 v69, 20, v69
	s_delay_alu instid0(VALU_DEP_1)
	v_or3_b32 v69, v101, v68, v69
.LBB4_4763:                             ;   in Loop: Header=BB4_4718 Depth=2
	s_or_b32 exec_lo, exec_lo, s26
	s_mov_b32 s10, 0
	s_mov_b32 s27, exec_lo
                                        ; implicit-def: $sgpr26
	v_cmpx_lt_i16_e32 0x7f, v67
	s_xor_b32 s27, exec_lo, s27
	s_cbranch_execnz .LBB4_5208
; %bb.4764:                             ;   in Loop: Header=BB4_4718 Depth=2
	s_or_saveexec_b32 s27, s27
	v_mov_b32_e32 v68, s26
	s_xor_b32 exec_lo, exec_lo, s27
	s_cbranch_execnz .LBB4_5211
.LBB4_4765:                             ;   in Loop: Header=BB4_4718 Depth=2
	s_or_b32 exec_lo, exec_lo, s27
	s_and_saveexec_b32 s26, s10
	s_cbranch_execz .LBB4_4767
.LBB4_4766:                             ;   in Loop: Header=BB4_4718 Depth=2
	v_and_b32_e32 v67, 0xffff, v67
	v_lshlrev_b32_e32 v103, 16, v10
	s_delay_alu instid0(VALU_DEP_2) | instskip(NEXT) | instid1(VALU_DEP_1)
	v_and_b32_e32 v68, 7, v67
	v_clz_i32_u32_e32 v101, v68
	s_delay_alu instid0(VALU_DEP_1) | instskip(NEXT) | instid1(VALU_DEP_1)
	v_min_u32_e32 v101, 32, v101
	v_subrev_nc_u32_e32 v102, 28, v101
	v_sub_nc_u32_e32 v101, 29, v101
	s_delay_alu instid0(VALU_DEP_2) | instskip(SKIP_1) | instid1(VALU_DEP_2)
	v_lshlrev_b32_e32 v102, v102, v67
	v_bfe_u32 v67, v67, 3, 4
	v_and_b32_e32 v102, 7, v102
	s_delay_alu instid0(VALU_DEP_2) | instskip(NEXT) | instid1(VALU_DEP_2)
	v_cmp_eq_u32_e32 vcc_lo, 0, v67
	v_dual_cndmask_b32 v67, v67, v101 :: v_dual_cndmask_b32 v68, v68, v102
	v_and_b32_e32 v101, 0x80000000, v103
	s_delay_alu instid0(VALU_DEP_2) | instskip(NEXT) | instid1(VALU_DEP_3)
	v_lshl_add_u32 v67, v67, 23, 0x3b800000
	v_lshlrev_b32_e32 v68, 20, v68
	s_delay_alu instid0(VALU_DEP_1)
	v_or3_b32 v68, v101, v67, v68
.LBB4_4767:                             ;   in Loop: Header=BB4_4718 Depth=2
	s_or_b32 exec_lo, exec_lo, s26
	s_delay_alu instid0(VALU_DEP_1) | instskip(NEXT) | instid1(VALU_DEP_1)
	v_dual_max_f32 v67, v68, v68 :: v_dual_max_f32 v68, v69, v69
	v_min_f32_e32 v69, v68, v67
.LBB4_4768:                             ;   in Loop: Header=BB4_4718 Depth=2
	s_delay_alu instid0(VALU_DEP_1) | instskip(NEXT) | instid1(VALU_DEP_1)
	v_and_b32_e32 v67, 0x7f800000, v69
	v_cmp_ne_u32_e32 vcc_lo, 0x7f800000, v67
	v_mov_b32_e32 v67, 0x80
	s_and_saveexec_b32 s26, vcc_lo
	s_cbranch_execz .LBB4_4776
; %bb.4769:                             ;   in Loop: Header=BB4_4718 Depth=2
	v_mov_b32_e32 v67, 0
	s_mov_b32 s27, exec_lo
	v_cmpx_ne_u32_e32 0, v69
	s_cbranch_execz .LBB4_4775
; %bb.4770:                             ;   in Loop: Header=BB4_4718 Depth=2
	v_bfe_u32 v67, v69, 23, 8
	v_and_b32_e32 v68, 0x7fffff, v69
	s_delay_alu instid0(VALU_DEP_2) | instskip(SKIP_1) | instid1(VALU_DEP_3)
	v_sub_nc_u32_e32 v101, 0x78, v67
	v_cmp_gt_u32_e32 vcc_lo, 0x79, v67
	v_or_b32_e32 v102, 0x800000, v68
	s_delay_alu instid0(VALU_DEP_3) | instskip(SKIP_1) | instid1(VALU_DEP_3)
	v_cndmask_b32_e32 v101, 0, v101, vcc_lo
	v_cmp_eq_u32_e32 vcc_lo, 0, v67
	v_dual_cndmask_b32 v68, v102, v68 :: v_dual_add_nc_u32 v67, 0xffffff89, v67
	s_delay_alu instid0(VALU_DEP_3) | instskip(NEXT) | instid1(VALU_DEP_2)
	v_cndmask_b32_e64 v101, v101, 0x77, vcc_lo
	v_cndmask_b32_e64 v67, v67, 0xffffff8a, vcc_lo
	s_delay_alu instid0(VALU_DEP_2) | instskip(SKIP_2) | instid1(VALU_DEP_4)
	v_lshrrev_b32_e32 v103, v101, v68
	v_lshl_add_u32 v102, 0x100000, v101, -1
	v_lshlrev_b32_e64 v113, v101, 0x80000
	v_add_nc_u32_e32 v101, v101, v67
	s_delay_alu instid0(VALU_DEP_4) | instskip(NEXT) | instid1(VALU_DEP_4)
	v_bfe_u32 v112, v103, 20, 1
	v_and_b32_e32 v68, v102, v68
	s_delay_alu instid0(VALU_DEP_2) | instskip(NEXT) | instid1(VALU_DEP_2)
	v_add_nc_u32_e32 v102, -1, v112
	v_cmp_eq_u32_e64 s10, v68, v113
	s_delay_alu instid0(VALU_DEP_1) | instskip(SKIP_2) | instid1(VALU_DEP_2)
	v_cndmask_b32_e64 v68, 0, v102, s10
	v_lshrrev_b32_e32 v102, 23, v103
	s_mov_b32 s10, exec_lo
	v_add_nc_u32_e32 v68, v68, v103
	s_delay_alu instid0(VALU_DEP_2) | instskip(NEXT) | instid1(VALU_DEP_2)
	v_xor_b32_e32 v102, 1, v102
	v_and_b32_e32 v67, 0xfffff, v68
	s_delay_alu instid0(VALU_DEP_1) | instskip(NEXT) | instid1(VALU_DEP_3)
	v_add_nc_u32_e32 v68, v67, v103
                                        ; implicit-def: $vgpr67
	v_cmpx_ne_u32_e64 v101, v102
	s_xor_b32 s10, exec_lo, s10
; %bb.4771:                             ;   in Loop: Header=BB4_4718 Depth=2
	s_delay_alu instid0(VALU_DEP_2) | instskip(SKIP_2) | instid1(VALU_DEP_2)
	v_cmp_lt_u32_e32 vcc_lo, 0xffffff, v68
	v_sub_nc_u32_e32 v67, v101, v102
	v_cndmask_b32_e64 v101, 0, 1, vcc_lo
	v_add_co_ci_u32_e32 v67, vcc_lo, 0, v67, vcc_lo
	s_delay_alu instid0(VALU_DEP_2)
	v_lshrrev_b32_e32 v68, v101, v68
; %bb.4772:                             ;   in Loop: Header=BB4_4718 Depth=2
	s_and_not1_saveexec_b32 s10, s10
; %bb.4773:                             ;   in Loop: Header=BB4_4718 Depth=2
	s_delay_alu instid0(VALU_DEP_1)
	v_bfe_u32 v67, v68, 23, 1
; %bb.4774:                             ;   in Loop: Header=BB4_4718 Depth=2
	s_or_b32 exec_lo, exec_lo, s10
	v_lshrrev_b32_e32 v68, 20, v68
	s_delay_alu instid0(VALU_DEP_2) | instskip(SKIP_2) | instid1(VALU_DEP_2)
	v_cmp_gt_i32_e32 vcc_lo, 16, v67
	v_lshrrev_b32_e32 v69, 24, v69
	v_min_i32_e32 v101, 15, v67
	v_dual_cndmask_b32 v68, 7, v68 :: v_dual_and_b32 v69, 0x80, v69
	s_delay_alu instid0(VALU_DEP_2) | instskip(NEXT) | instid1(VALU_DEP_2)
	v_lshlrev_b32_e32 v101, 3, v101
	v_and_b32_e32 v102, 7, v68
	v_or_b32_e32 v67, v67, v68
	s_delay_alu instid0(VALU_DEP_2) | instskip(NEXT) | instid1(VALU_DEP_2)
	v_or3_b32 v68, v101, v69, v102
	v_cmp_ne_u32_e32 vcc_lo, 0, v67
	s_delay_alu instid0(VALU_DEP_2)
	v_cndmask_b32_e32 v67, 0, v68, vcc_lo
.LBB4_4775:                             ;   in Loop: Header=BB4_4718 Depth=2
	s_or_b32 exec_lo, exec_lo, s27
.LBB4_4776:                             ;   in Loop: Header=BB4_4718 Depth=2
	s_delay_alu instid0(SALU_CYCLE_1)
	s_or_b32 exec_lo, exec_lo, s26
	v_lshrrev_b32_e32 v69, 16, v14
	v_lshrrev_b32_e32 v68, 16, v10
	s_and_b32 vcc_lo, exec_lo, s25
	s_cbranch_vccz .LBB4_4786
; %bb.4777:                             ;   in Loop: Header=BB4_4718 Depth=2
	s_delay_alu instid0(VALU_DEP_2) | instskip(SKIP_2) | instid1(VALU_DEP_1)
	v_and_b32_e32 v102, 0xff, v69
	s_mov_b32 s10, 0
	s_mov_b32 s27, exec_lo
                                        ; implicit-def: $sgpr26
	v_cmpx_lt_i16_e32 0x7f, v102
	s_xor_b32 s27, exec_lo, s27
	s_cbranch_execnz .LBB4_5212
; %bb.4778:                             ;   in Loop: Header=BB4_4718 Depth=2
	s_or_saveexec_b32 s27, s27
	v_mov_b32_e32 v101, s26
	s_xor_b32 exec_lo, exec_lo, s27
	s_cbranch_execnz .LBB4_5215
.LBB4_4779:                             ;   in Loop: Header=BB4_4718 Depth=2
	s_or_b32 exec_lo, exec_lo, s27
	s_and_saveexec_b32 s26, s10
	s_cbranch_execz .LBB4_4781
.LBB4_4780:                             ;   in Loop: Header=BB4_4718 Depth=2
	v_bfe_u32 v101, v14, 16, 3
	v_bfe_u32 v112, v14, 19, 4
	v_lshlrev_b32_e32 v113, 24, v69
	s_delay_alu instid0(VALU_DEP_3) | instskip(NEXT) | instid1(VALU_DEP_3)
	v_clz_i32_u32_e32 v102, v101
	v_cmp_eq_u32_e32 vcc_lo, 0, v112
	s_delay_alu instid0(VALU_DEP_2) | instskip(NEXT) | instid1(VALU_DEP_1)
	v_min_u32_e32 v102, 32, v102
	v_subrev_nc_u32_e32 v103, 28, v102
	v_sub_nc_u32_e32 v102, 29, v102
	s_delay_alu instid0(VALU_DEP_1) | instskip(NEXT) | instid1(VALU_DEP_1)
	v_dual_cndmask_b32 v102, v112, v102 :: v_dual_lshlrev_b32 v103, v103, v69
	v_and_b32_e32 v103, 7, v103
	s_delay_alu instid0(VALU_DEP_2) | instskip(NEXT) | instid1(VALU_DEP_2)
	v_lshl_add_u32 v102, v102, 23, 0x3b800000
	v_cndmask_b32_e32 v101, v101, v103, vcc_lo
	v_and_b32_e32 v103, 0x80000000, v113
	s_delay_alu instid0(VALU_DEP_2) | instskip(NEXT) | instid1(VALU_DEP_1)
	v_lshlrev_b32_e32 v101, 20, v101
	v_or3_b32 v101, v103, v102, v101
.LBB4_4781:                             ;   in Loop: Header=BB4_4718 Depth=2
	s_or_b32 exec_lo, exec_lo, s26
	v_and_b32_e32 v103, 0xff, v68
	s_mov_b32 s10, 0
	s_mov_b32 s27, exec_lo
                                        ; implicit-def: $sgpr26
	s_delay_alu instid0(VALU_DEP_1)
	v_cmpx_lt_i16_e32 0x7f, v103
	s_xor_b32 s27, exec_lo, s27
	s_cbranch_execnz .LBB4_5216
; %bb.4782:                             ;   in Loop: Header=BB4_4718 Depth=2
	s_or_saveexec_b32 s27, s27
	v_mov_b32_e32 v102, s26
	s_xor_b32 exec_lo, exec_lo, s27
	s_cbranch_execnz .LBB4_5219
.LBB4_4783:                             ;   in Loop: Header=BB4_4718 Depth=2
	s_or_b32 exec_lo, exec_lo, s27
	s_and_saveexec_b32 s26, s10
	s_cbranch_execz .LBB4_4785
.LBB4_4784:                             ;   in Loop: Header=BB4_4718 Depth=2
	v_bfe_u32 v102, v10, 16, 3
	v_bfe_u32 v113, v10, 19, 4
	v_lshlrev_b32_e32 v114, 24, v68
	s_delay_alu instid0(VALU_DEP_3) | instskip(NEXT) | instid1(VALU_DEP_3)
	v_clz_i32_u32_e32 v103, v102
	v_cmp_eq_u32_e32 vcc_lo, 0, v113
	s_delay_alu instid0(VALU_DEP_2) | instskip(NEXT) | instid1(VALU_DEP_1)
	v_min_u32_e32 v103, 32, v103
	v_subrev_nc_u32_e32 v112, 28, v103
	v_sub_nc_u32_e32 v103, 29, v103
	s_delay_alu instid0(VALU_DEP_1) | instskip(NEXT) | instid1(VALU_DEP_1)
	v_dual_cndmask_b32 v103, v113, v103 :: v_dual_lshlrev_b32 v112, v112, v68
	v_and_b32_e32 v112, 7, v112
	s_delay_alu instid0(VALU_DEP_2) | instskip(NEXT) | instid1(VALU_DEP_2)
	v_lshl_add_u32 v103, v103, 23, 0x3b800000
	v_cndmask_b32_e32 v102, v102, v112, vcc_lo
	v_and_b32_e32 v112, 0x80000000, v114
	s_delay_alu instid0(VALU_DEP_2) | instskip(NEXT) | instid1(VALU_DEP_1)
	v_lshlrev_b32_e32 v102, 20, v102
	v_or3_b32 v102, v112, v103, v102
.LBB4_4785:                             ;   in Loop: Header=BB4_4718 Depth=2
	s_or_b32 exec_lo, exec_lo, s26
	s_delay_alu instid0(VALU_DEP_1) | instskip(SKIP_1) | instid1(VALU_DEP_1)
	v_dual_max_f32 v102, v102, v102 :: v_dual_max_f32 v101, v101, v101
	s_mov_b32 s10, 0
	v_max_f32_e32 v101, v101, v102
	s_branch .LBB4_4787
.LBB4_4786:                             ;   in Loop: Header=BB4_4718 Depth=2
	s_mov_b32 s10, -1
                                        ; implicit-def: $vgpr101
.LBB4_4787:                             ;   in Loop: Header=BB4_4718 Depth=2
	s_delay_alu instid0(SALU_CYCLE_1)
	s_and_b32 vcc_lo, exec_lo, s10
	s_cbranch_vccz .LBB4_4797
; %bb.4788:                             ;   in Loop: Header=BB4_4718 Depth=2
	v_and_b32_e32 v102, 0xff, v69
	s_mov_b32 s10, 0
	s_mov_b32 s27, exec_lo
                                        ; implicit-def: $sgpr26
	s_delay_alu instid0(VALU_DEP_1)
	v_cmpx_lt_i16_e32 0x7f, v102
	s_xor_b32 s27, exec_lo, s27
	s_cbranch_execnz .LBB4_5220
; %bb.4789:                             ;   in Loop: Header=BB4_4718 Depth=2
	s_or_saveexec_b32 s27, s27
	v_mov_b32_e32 v101, s26
	s_xor_b32 exec_lo, exec_lo, s27
	s_cbranch_execnz .LBB4_5223
.LBB4_4790:                             ;   in Loop: Header=BB4_4718 Depth=2
	s_or_b32 exec_lo, exec_lo, s27
	s_and_saveexec_b32 s26, s10
	s_cbranch_execz .LBB4_4792
.LBB4_4791:                             ;   in Loop: Header=BB4_4718 Depth=2
	v_bfe_u32 v101, v14, 16, 3
	v_bfe_u32 v112, v14, 19, 4
	s_delay_alu instid0(VALU_DEP_2) | instskip(NEXT) | instid1(VALU_DEP_2)
	v_clz_i32_u32_e32 v102, v101
	v_cmp_eq_u32_e32 vcc_lo, 0, v112
	s_delay_alu instid0(VALU_DEP_2) | instskip(NEXT) | instid1(VALU_DEP_1)
	v_min_u32_e32 v102, 32, v102
	v_subrev_nc_u32_e32 v103, 28, v102
	v_sub_nc_u32_e32 v102, 29, v102
	s_delay_alu instid0(VALU_DEP_1) | instskip(SKIP_1) | instid1(VALU_DEP_2)
	v_dual_cndmask_b32 v102, v112, v102 :: v_dual_lshlrev_b32 v103, v103, v69
	v_lshlrev_b32_e32 v69, 24, v69
	v_and_b32_e32 v103, 7, v103
	s_delay_alu instid0(VALU_DEP_3) | instskip(NEXT) | instid1(VALU_DEP_3)
	v_lshl_add_u32 v102, v102, 23, 0x3b800000
	v_and_b32_e32 v69, 0x80000000, v69
	s_delay_alu instid0(VALU_DEP_3) | instskip(NEXT) | instid1(VALU_DEP_1)
	v_cndmask_b32_e32 v101, v101, v103, vcc_lo
	v_lshlrev_b32_e32 v101, 20, v101
	s_delay_alu instid0(VALU_DEP_1)
	v_or3_b32 v101, v69, v102, v101
.LBB4_4792:                             ;   in Loop: Header=BB4_4718 Depth=2
	s_or_b32 exec_lo, exec_lo, s26
	v_and_b32_e32 v102, 0xff, v68
	s_mov_b32 s10, 0
	s_mov_b32 s27, exec_lo
                                        ; implicit-def: $sgpr26
	s_delay_alu instid0(VALU_DEP_1)
	v_cmpx_lt_i16_e32 0x7f, v102
	s_xor_b32 s27, exec_lo, s27
	s_cbranch_execnz .LBB4_5224
; %bb.4793:                             ;   in Loop: Header=BB4_4718 Depth=2
	s_or_saveexec_b32 s27, s27
	v_mov_b32_e32 v69, s26
	s_xor_b32 exec_lo, exec_lo, s27
	s_cbranch_execnz .LBB4_5227
.LBB4_4794:                             ;   in Loop: Header=BB4_4718 Depth=2
	s_or_b32 exec_lo, exec_lo, s27
	s_and_saveexec_b32 s26, s10
	s_cbranch_execz .LBB4_4796
.LBB4_4795:                             ;   in Loop: Header=BB4_4718 Depth=2
	v_bfe_u32 v69, v10, 16, 3
	v_bfe_u32 v112, v10, 19, 4
	s_delay_alu instid0(VALU_DEP_2) | instskip(NEXT) | instid1(VALU_DEP_2)
	v_clz_i32_u32_e32 v102, v69
	v_cmp_eq_u32_e32 vcc_lo, 0, v112
	s_delay_alu instid0(VALU_DEP_2) | instskip(NEXT) | instid1(VALU_DEP_1)
	v_min_u32_e32 v102, 32, v102
	v_subrev_nc_u32_e32 v103, 28, v102
	v_sub_nc_u32_e32 v102, 29, v102
	s_delay_alu instid0(VALU_DEP_1) | instskip(NEXT) | instid1(VALU_DEP_1)
	v_dual_cndmask_b32 v102, v112, v102 :: v_dual_lshlrev_b32 v103, v103, v68
	v_and_b32_e32 v103, 7, v103
	v_lshlrev_b32_e32 v68, 24, v68
	s_delay_alu instid0(VALU_DEP_3) | instskip(NEXT) | instid1(VALU_DEP_2)
	v_lshl_add_u32 v102, v102, 23, 0x3b800000
	v_dual_cndmask_b32 v69, v69, v103 :: v_dual_and_b32 v68, 0x80000000, v68
	s_delay_alu instid0(VALU_DEP_1) | instskip(NEXT) | instid1(VALU_DEP_1)
	v_lshlrev_b32_e32 v69, 20, v69
	v_or3_b32 v69, v68, v102, v69
.LBB4_4796:                             ;   in Loop: Header=BB4_4718 Depth=2
	s_or_b32 exec_lo, exec_lo, s26
	s_delay_alu instid0(VALU_DEP_1) | instskip(SKIP_1) | instid1(VALU_DEP_1)
	v_max_f32_e32 v68, v69, v69
	v_max_f32_e32 v69, v101, v101
	v_min_f32_e32 v101, v69, v68
.LBB4_4797:                             ;   in Loop: Header=BB4_4718 Depth=2
	s_delay_alu instid0(VALU_DEP_1) | instskip(NEXT) | instid1(VALU_DEP_1)
	v_and_b32_e32 v68, 0x7f800000, v101
	v_cmp_ne_u32_e32 vcc_lo, 0x7f800000, v68
	v_mov_b32_e32 v68, 0x80
	s_and_saveexec_b32 s26, vcc_lo
	s_cbranch_execz .LBB4_4805
; %bb.4798:                             ;   in Loop: Header=BB4_4718 Depth=2
	v_mov_b32_e32 v68, 0
	s_mov_b32 s27, exec_lo
	v_cmpx_ne_u32_e32 0, v101
	s_cbranch_execz .LBB4_4804
; %bb.4799:                             ;   in Loop: Header=BB4_4718 Depth=2
	v_bfe_u32 v68, v101, 23, 8
	s_delay_alu instid0(VALU_DEP_1) | instskip(SKIP_1) | instid1(VALU_DEP_2)
	v_sub_nc_u32_e32 v102, 0x78, v68
	v_cmp_gt_u32_e32 vcc_lo, 0x79, v68
	v_dual_cndmask_b32 v102, 0, v102 :: v_dual_and_b32 v69, 0x7fffff, v101
	s_delay_alu instid0(VALU_DEP_1) | instskip(SKIP_2) | instid1(VALU_DEP_4)
	v_or_b32_e32 v103, 0x800000, v69
	v_cmp_eq_u32_e32 vcc_lo, 0, v68
	v_add_nc_u32_e32 v68, 0xffffff89, v68
	v_cndmask_b32_e64 v102, v102, 0x77, vcc_lo
	s_delay_alu instid0(VALU_DEP_4) | instskip(NEXT) | instid1(VALU_DEP_3)
	v_cndmask_b32_e32 v69, v103, v69, vcc_lo
	v_cndmask_b32_e64 v68, v68, 0xffffff8a, vcc_lo
	s_delay_alu instid0(VALU_DEP_3) | instskip(NEXT) | instid1(VALU_DEP_3)
	v_lshl_add_u32 v103, 0x100000, v102, -1
	v_lshrrev_b32_e32 v112, v102, v69
	v_lshlrev_b32_e64 v114, v102, 0x80000
	s_delay_alu instid0(VALU_DEP_4) | instskip(NEXT) | instid1(VALU_DEP_4)
	v_add_nc_u32_e32 v102, v102, v68
	v_and_b32_e32 v69, v103, v69
	s_delay_alu instid0(VALU_DEP_4) | instskip(NEXT) | instid1(VALU_DEP_2)
	v_bfe_u32 v113, v112, 20, 1
	v_cmp_eq_u32_e64 s10, v69, v114
	s_delay_alu instid0(VALU_DEP_2) | instskip(NEXT) | instid1(VALU_DEP_1)
	v_add_nc_u32_e32 v103, -1, v113
	v_cndmask_b32_e64 v69, 0, v103, s10
	v_lshrrev_b32_e32 v103, 23, v112
	s_mov_b32 s10, exec_lo
	s_delay_alu instid0(VALU_DEP_2) | instskip(NEXT) | instid1(VALU_DEP_2)
	v_add_nc_u32_e32 v69, v69, v112
	v_xor_b32_e32 v103, 1, v103
	s_delay_alu instid0(VALU_DEP_2) | instskip(NEXT) | instid1(VALU_DEP_1)
	v_and_b32_e32 v68, 0xfffff, v69
	v_add_nc_u32_e32 v69, v68, v112
                                        ; implicit-def: $vgpr68
	s_delay_alu instid0(VALU_DEP_3)
	v_cmpx_ne_u32_e64 v102, v103
	s_xor_b32 s10, exec_lo, s10
; %bb.4800:                             ;   in Loop: Header=BB4_4718 Depth=2
	s_delay_alu instid0(VALU_DEP_2) | instskip(SKIP_2) | instid1(VALU_DEP_2)
	v_cmp_lt_u32_e32 vcc_lo, 0xffffff, v69
	v_sub_nc_u32_e32 v68, v102, v103
	v_cndmask_b32_e64 v102, 0, 1, vcc_lo
	v_add_co_ci_u32_e32 v68, vcc_lo, 0, v68, vcc_lo
	s_delay_alu instid0(VALU_DEP_2)
	v_lshrrev_b32_e32 v69, v102, v69
; %bb.4801:                             ;   in Loop: Header=BB4_4718 Depth=2
	s_and_not1_saveexec_b32 s10, s10
; %bb.4802:                             ;   in Loop: Header=BB4_4718 Depth=2
	s_delay_alu instid0(VALU_DEP_1)
	v_bfe_u32 v68, v69, 23, 1
; %bb.4803:                             ;   in Loop: Header=BB4_4718 Depth=2
	s_or_b32 exec_lo, exec_lo, s10
	v_lshrrev_b32_e32 v69, 20, v69
	s_delay_alu instid0(VALU_DEP_2) | instskip(SKIP_2) | instid1(VALU_DEP_4)
	v_cmp_gt_i32_e32 vcc_lo, 16, v68
	v_lshrrev_b32_e32 v101, 24, v101
	v_min_i32_e32 v102, 15, v68
	v_cndmask_b32_e32 v69, 7, v69, vcc_lo
	s_delay_alu instid0(VALU_DEP_3) | instskip(NEXT) | instid1(VALU_DEP_3)
	v_and_b32_e32 v101, 0x80, v101
	v_lshlrev_b32_e32 v102, 3, v102
	s_delay_alu instid0(VALU_DEP_3) | instskip(SKIP_1) | instid1(VALU_DEP_2)
	v_and_b32_e32 v103, 7, v69
	v_or_b32_e32 v68, v68, v69
	v_or3_b32 v69, v102, v101, v103
	s_delay_alu instid0(VALU_DEP_2) | instskip(NEXT) | instid1(VALU_DEP_2)
	v_cmp_ne_u32_e32 vcc_lo, 0, v68
	v_cndmask_b32_e32 v68, 0, v69, vcc_lo
.LBB4_4804:                             ;   in Loop: Header=BB4_4718 Depth=2
	s_or_b32 exec_lo, exec_lo, s27
.LBB4_4805:                             ;   in Loop: Header=BB4_4718 Depth=2
	s_delay_alu instid0(SALU_CYCLE_1)
	s_or_b32 exec_lo, exec_lo, s26
	v_lshrrev_b32_e32 v101, 24, v14
	v_lshrrev_b32_e32 v69, 24, v10
	s_and_b32 vcc_lo, exec_lo, s25
	s_cbranch_vccz .LBB4_4815
; %bb.4806:                             ;   in Loop: Header=BB4_4718 Depth=2
	s_mov_b32 s10, 0
	s_mov_b32 s27, exec_lo
                                        ; implicit-def: $sgpr26
	v_cmpx_lt_i16_e32 0x7f, v101
	s_xor_b32 s27, exec_lo, s27
	s_cbranch_execnz .LBB4_5228
; %bb.4807:                             ;   in Loop: Header=BB4_4718 Depth=2
	s_or_saveexec_b32 s27, s27
	v_mov_b32_e32 v102, s26
	s_xor_b32 exec_lo, exec_lo, s27
	s_cbranch_execnz .LBB4_5231
.LBB4_4808:                             ;   in Loop: Header=BB4_4718 Depth=2
	s_or_b32 exec_lo, exec_lo, s27
	s_and_saveexec_b32 s26, s10
	s_cbranch_execz .LBB4_4810
.LBB4_4809:                             ;   in Loop: Header=BB4_4718 Depth=2
	v_bfe_u32 v102, v14, 24, 3
	v_bfe_u32 v113, v14, 27, 4
	s_delay_alu instid0(VALU_DEP_2) | instskip(NEXT) | instid1(VALU_DEP_2)
	v_clz_i32_u32_e32 v103, v102
	v_cmp_eq_u32_e32 vcc_lo, 0, v113
	s_delay_alu instid0(VALU_DEP_2) | instskip(NEXT) | instid1(VALU_DEP_1)
	v_min_u32_e32 v103, 32, v103
	v_subrev_nc_u32_e32 v112, 28, v103
	v_sub_nc_u32_e32 v103, 29, v103
	s_delay_alu instid0(VALU_DEP_1) | instskip(NEXT) | instid1(VALU_DEP_1)
	v_dual_cndmask_b32 v103, v113, v103 :: v_dual_lshlrev_b32 v112, v112, v101
	v_and_b32_e32 v112, 7, v112
	s_delay_alu instid0(VALU_DEP_2) | instskip(NEXT) | instid1(VALU_DEP_2)
	v_lshl_add_u32 v103, v103, 23, 0x3b800000
	v_cndmask_b32_e32 v102, v102, v112, vcc_lo
	v_and_b32_e32 v112, 0x80000000, v14
	s_delay_alu instid0(VALU_DEP_2) | instskip(NEXT) | instid1(VALU_DEP_1)
	v_lshlrev_b32_e32 v102, 20, v102
	v_or3_b32 v102, v112, v103, v102
.LBB4_4810:                             ;   in Loop: Header=BB4_4718 Depth=2
	s_or_b32 exec_lo, exec_lo, s26
	s_mov_b32 s10, 0
	s_mov_b32 s27, exec_lo
                                        ; implicit-def: $sgpr26
	v_cmpx_lt_i16_e32 0x7f, v69
	s_xor_b32 s27, exec_lo, s27
	s_cbranch_execnz .LBB4_5232
; %bb.4811:                             ;   in Loop: Header=BB4_4718 Depth=2
	s_or_saveexec_b32 s27, s27
	v_mov_b32_e32 v103, s26
	s_xor_b32 exec_lo, exec_lo, s27
	s_cbranch_execnz .LBB4_5235
.LBB4_4812:                             ;   in Loop: Header=BB4_4718 Depth=2
	s_or_b32 exec_lo, exec_lo, s27
	s_and_saveexec_b32 s26, s10
	s_cbranch_execz .LBB4_4814
.LBB4_4813:                             ;   in Loop: Header=BB4_4718 Depth=2
	v_bfe_u32 v103, v10, 24, 3
	v_bfe_u32 v114, v10, 27, 4
	s_delay_alu instid0(VALU_DEP_2) | instskip(NEXT) | instid1(VALU_DEP_2)
	v_clz_i32_u32_e32 v112, v103
	v_cmp_eq_u32_e32 vcc_lo, 0, v114
	s_delay_alu instid0(VALU_DEP_2) | instskip(NEXT) | instid1(VALU_DEP_1)
	v_min_u32_e32 v112, 32, v112
	v_subrev_nc_u32_e32 v113, 28, v112
	v_sub_nc_u32_e32 v112, 29, v112
	s_delay_alu instid0(VALU_DEP_1) | instskip(NEXT) | instid1(VALU_DEP_1)
	v_dual_cndmask_b32 v112, v114, v112 :: v_dual_lshlrev_b32 v113, v113, v69
	v_and_b32_e32 v113, 7, v113
	s_delay_alu instid0(VALU_DEP_2) | instskip(NEXT) | instid1(VALU_DEP_2)
	v_lshl_add_u32 v112, v112, 23, 0x3b800000
	v_cndmask_b32_e32 v103, v103, v113, vcc_lo
	v_and_b32_e32 v113, 0x80000000, v10
	s_delay_alu instid0(VALU_DEP_2) | instskip(NEXT) | instid1(VALU_DEP_1)
	v_lshlrev_b32_e32 v103, 20, v103
	v_or3_b32 v103, v113, v112, v103
.LBB4_4814:                             ;   in Loop: Header=BB4_4718 Depth=2
	s_or_b32 exec_lo, exec_lo, s26
	s_delay_alu instid0(VALU_DEP_1) | instskip(SKIP_1) | instid1(VALU_DEP_1)
	v_dual_max_f32 v103, v103, v103 :: v_dual_max_f32 v102, v102, v102
	s_mov_b32 s10, 0
	v_max_f32_e32 v102, v102, v103
	s_branch .LBB4_4816
.LBB4_4815:                             ;   in Loop: Header=BB4_4718 Depth=2
	s_mov_b32 s10, -1
                                        ; implicit-def: $vgpr102
.LBB4_4816:                             ;   in Loop: Header=BB4_4718 Depth=2
	s_delay_alu instid0(SALU_CYCLE_1)
	s_and_b32 vcc_lo, exec_lo, s10
	s_cbranch_vccz .LBB4_4826
; %bb.4817:                             ;   in Loop: Header=BB4_4718 Depth=2
	s_mov_b32 s10, 0
	s_mov_b32 s27, exec_lo
                                        ; implicit-def: $sgpr26
	v_cmpx_lt_i16_e32 0x7f, v101
	s_xor_b32 s27, exec_lo, s27
	s_cbranch_execnz .LBB4_5236
; %bb.4818:                             ;   in Loop: Header=BB4_4718 Depth=2
	s_or_saveexec_b32 s27, s27
	v_mov_b32_e32 v102, s26
	s_xor_b32 exec_lo, exec_lo, s27
	s_cbranch_execnz .LBB4_5239
.LBB4_4819:                             ;   in Loop: Header=BB4_4718 Depth=2
	s_or_b32 exec_lo, exec_lo, s27
	s_and_saveexec_b32 s26, s10
	s_cbranch_execz .LBB4_4821
.LBB4_4820:                             ;   in Loop: Header=BB4_4718 Depth=2
	v_bfe_u32 v102, v14, 24, 3
	s_delay_alu instid0(VALU_DEP_1) | instskip(NEXT) | instid1(VALU_DEP_1)
	v_clz_i32_u32_e32 v103, v102
	v_min_u32_e32 v103, 32, v103
	s_delay_alu instid0(VALU_DEP_1) | instskip(SKIP_1) | instid1(VALU_DEP_2)
	v_subrev_nc_u32_e32 v112, 28, v103
	v_sub_nc_u32_e32 v103, 29, v103
	v_lshlrev_b32_e32 v101, v112, v101
	v_bfe_u32 v112, v14, 27, 4
	v_and_b32_e32 v14, 0x80000000, v14
	s_delay_alu instid0(VALU_DEP_3) | instskip(NEXT) | instid1(VALU_DEP_3)
	v_and_b32_e32 v101, 7, v101
	v_cmp_eq_u32_e32 vcc_lo, 0, v112
	v_cndmask_b32_e32 v103, v112, v103, vcc_lo
	s_delay_alu instid0(VALU_DEP_3) | instskip(NEXT) | instid1(VALU_DEP_2)
	v_cndmask_b32_e32 v101, v102, v101, vcc_lo
	v_lshl_add_u32 v102, v103, 23, 0x3b800000
	s_delay_alu instid0(VALU_DEP_2) | instskip(NEXT) | instid1(VALU_DEP_1)
	v_lshlrev_b32_e32 v101, 20, v101
	v_or3_b32 v102, v14, v102, v101
.LBB4_4821:                             ;   in Loop: Header=BB4_4718 Depth=2
	s_or_b32 exec_lo, exec_lo, s26
	s_mov_b32 s10, 0
	s_mov_b32 s27, exec_lo
                                        ; implicit-def: $sgpr26
	v_cmpx_lt_i16_e32 0x7f, v69
	s_xor_b32 s27, exec_lo, s27
	s_cbranch_execnz .LBB4_5240
; %bb.4822:                             ;   in Loop: Header=BB4_4718 Depth=2
	s_or_saveexec_b32 s27, s27
	v_mov_b32_e32 v14, s26
	s_xor_b32 exec_lo, exec_lo, s27
	s_cbranch_execnz .LBB4_5243
.LBB4_4823:                             ;   in Loop: Header=BB4_4718 Depth=2
	s_or_b32 exec_lo, exec_lo, s27
	s_and_saveexec_b32 s26, s10
	s_cbranch_execz .LBB4_4825
.LBB4_4824:                             ;   in Loop: Header=BB4_4718 Depth=2
	v_bfe_u32 v14, v10, 24, 3
	s_delay_alu instid0(VALU_DEP_1) | instskip(NEXT) | instid1(VALU_DEP_1)
	v_clz_i32_u32_e32 v101, v14
	v_min_u32_e32 v101, 32, v101
	s_delay_alu instid0(VALU_DEP_1) | instskip(SKIP_1) | instid1(VALU_DEP_2)
	v_subrev_nc_u32_e32 v103, 28, v101
	v_sub_nc_u32_e32 v101, 29, v101
	v_lshlrev_b32_e32 v69, v103, v69
	v_bfe_u32 v103, v10, 27, 4
	v_and_b32_e32 v10, 0x80000000, v10
	s_delay_alu instid0(VALU_DEP_3) | instskip(NEXT) | instid1(VALU_DEP_3)
	v_and_b32_e32 v69, 7, v69
	v_cmp_eq_u32_e32 vcc_lo, 0, v103
	v_cndmask_b32_e32 v101, v103, v101, vcc_lo
	s_delay_alu instid0(VALU_DEP_3) | instskip(NEXT) | instid1(VALU_DEP_2)
	v_cndmask_b32_e32 v14, v14, v69, vcc_lo
	v_lshl_add_u32 v69, v101, 23, 0x3b800000
	s_delay_alu instid0(VALU_DEP_2) | instskip(NEXT) | instid1(VALU_DEP_1)
	v_lshlrev_b32_e32 v14, 20, v14
	v_or3_b32 v14, v10, v69, v14
.LBB4_4825:                             ;   in Loop: Header=BB4_4718 Depth=2
	s_or_b32 exec_lo, exec_lo, s26
	s_delay_alu instid0(VALU_DEP_1) | instskip(SKIP_1) | instid1(VALU_DEP_1)
	v_max_f32_e32 v10, v14, v14
	v_max_f32_e32 v14, v102, v102
	v_min_f32_e32 v102, v14, v10
.LBB4_4826:                             ;   in Loop: Header=BB4_4718 Depth=2
	s_delay_alu instid0(VALU_DEP_1) | instskip(NEXT) | instid1(VALU_DEP_1)
	v_and_b32_e32 v10, 0x7f800000, v102
	v_cmp_ne_u32_e32 vcc_lo, 0x7f800000, v10
	v_mov_b32_e32 v10, 0x80
	s_and_saveexec_b32 s26, vcc_lo
	s_cbranch_execz .LBB4_4834
; %bb.4827:                             ;   in Loop: Header=BB4_4718 Depth=2
	v_mov_b32_e32 v10, 0
	s_mov_b32 s27, exec_lo
	v_cmpx_ne_u32_e32 0, v102
	s_cbranch_execz .LBB4_4833
; %bb.4828:                             ;   in Loop: Header=BB4_4718 Depth=2
	v_bfe_u32 v10, v102, 23, 8
	s_delay_alu instid0(VALU_DEP_1) | instskip(SKIP_1) | instid1(VALU_DEP_2)
	v_sub_nc_u32_e32 v69, 0x78, v10
	v_cmp_gt_u32_e32 vcc_lo, 0x79, v10
	v_dual_cndmask_b32 v69, 0, v69 :: v_dual_and_b32 v14, 0x7fffff, v102
	s_delay_alu instid0(VALU_DEP_1) | instskip(SKIP_2) | instid1(VALU_DEP_4)
	v_or_b32_e32 v101, 0x800000, v14
	v_cmp_eq_u32_e32 vcc_lo, 0, v10
	v_add_nc_u32_e32 v10, 0xffffff89, v10
	v_cndmask_b32_e64 v69, v69, 0x77, vcc_lo
	s_delay_alu instid0(VALU_DEP_4) | instskip(NEXT) | instid1(VALU_DEP_3)
	v_cndmask_b32_e32 v14, v101, v14, vcc_lo
	v_cndmask_b32_e64 v10, v10, 0xffffff8a, vcc_lo
	s_delay_alu instid0(VALU_DEP_3) | instskip(NEXT) | instid1(VALU_DEP_3)
	v_lshl_add_u32 v101, 0x100000, v69, -1
	v_lshrrev_b32_e32 v103, v69, v14
	v_lshlrev_b32_e64 v113, v69, 0x80000
	s_delay_alu instid0(VALU_DEP_4) | instskip(NEXT) | instid1(VALU_DEP_4)
	v_add_nc_u32_e32 v69, v69, v10
	v_and_b32_e32 v14, v101, v14
	s_delay_alu instid0(VALU_DEP_4) | instskip(NEXT) | instid1(VALU_DEP_2)
	v_bfe_u32 v112, v103, 20, 1
	v_cmp_eq_u32_e64 s10, v14, v113
	s_delay_alu instid0(VALU_DEP_2) | instskip(NEXT) | instid1(VALU_DEP_1)
	v_add_nc_u32_e32 v101, -1, v112
	v_cndmask_b32_e64 v14, 0, v101, s10
	v_lshrrev_b32_e32 v101, 23, v103
	s_mov_b32 s10, exec_lo
	s_delay_alu instid0(VALU_DEP_2) | instskip(NEXT) | instid1(VALU_DEP_2)
	v_add_nc_u32_e32 v14, v14, v103
	v_xor_b32_e32 v101, 1, v101
	s_delay_alu instid0(VALU_DEP_2) | instskip(NEXT) | instid1(VALU_DEP_1)
	v_and_b32_e32 v10, 0xfffff, v14
	v_add_nc_u32_e32 v14, v10, v103
                                        ; implicit-def: $vgpr10
	s_delay_alu instid0(VALU_DEP_3)
	v_cmpx_ne_u32_e64 v69, v101
	s_xor_b32 s10, exec_lo, s10
; %bb.4829:                             ;   in Loop: Header=BB4_4718 Depth=2
	s_delay_alu instid0(VALU_DEP_2) | instskip(SKIP_2) | instid1(VALU_DEP_2)
	v_cmp_lt_u32_e32 vcc_lo, 0xffffff, v14
	v_sub_nc_u32_e32 v10, v69, v101
	v_cndmask_b32_e64 v69, 0, 1, vcc_lo
	v_add_co_ci_u32_e32 v10, vcc_lo, 0, v10, vcc_lo
	s_delay_alu instid0(VALU_DEP_2)
	v_lshrrev_b32_e32 v14, v69, v14
; %bb.4830:                             ;   in Loop: Header=BB4_4718 Depth=2
	s_and_not1_saveexec_b32 s10, s10
; %bb.4831:                             ;   in Loop: Header=BB4_4718 Depth=2
	s_delay_alu instid0(VALU_DEP_1)
	v_bfe_u32 v10, v14, 23, 1
; %bb.4832:                             ;   in Loop: Header=BB4_4718 Depth=2
	s_or_b32 exec_lo, exec_lo, s10
	v_lshrrev_b32_e32 v14, 20, v14
	s_delay_alu instid0(VALU_DEP_2) | instskip(SKIP_2) | instid1(VALU_DEP_2)
	v_cmp_gt_i32_e32 vcc_lo, 16, v10
	v_lshrrev_b32_e32 v69, 24, v102
	v_min_i32_e32 v101, 15, v10
	v_dual_cndmask_b32 v14, 7, v14 :: v_dual_and_b32 v69, 0x80, v69
	s_delay_alu instid0(VALU_DEP_1) | instskip(SKIP_1) | instid1(VALU_DEP_2)
	v_or_b32_e32 v10, v10, v14
	v_and_b32_e32 v102, 7, v14
	v_cmp_ne_u32_e32 vcc_lo, 0, v10
	v_lshlrev_b32_e32 v101, 3, v101
	s_delay_alu instid0(VALU_DEP_1) | instskip(NEXT) | instid1(VALU_DEP_1)
	v_or3_b32 v14, v101, v69, v102
	v_cndmask_b32_e32 v10, 0, v14, vcc_lo
.LBB4_4833:                             ;   in Loop: Header=BB4_4718 Depth=2
	s_or_b32 exec_lo, exec_lo, s27
.LBB4_4834:                             ;   in Loop: Header=BB4_4718 Depth=2
	s_delay_alu instid0(SALU_CYCLE_1) | instskip(NEXT) | instid1(SALU_CYCLE_1)
	s_or_b32 exec_lo, exec_lo, s26
	s_and_b32 vcc_lo, exec_lo, s25
	s_cbranch_vccz .LBB4_4844
; %bb.4835:                             ;   in Loop: Header=BB4_4718 Depth=2
	v_and_b32_e32 v69, 0xff, v15
	s_mov_b32 s10, 0
	s_mov_b32 s27, exec_lo
                                        ; implicit-def: $sgpr26
	s_delay_alu instid0(VALU_DEP_1)
	v_cmpx_lt_i16_e32 0x7f, v69
	s_xor_b32 s27, exec_lo, s27
	s_cbranch_execnz .LBB4_5244
; %bb.4836:                             ;   in Loop: Header=BB4_4718 Depth=2
	s_or_saveexec_b32 s27, s27
	v_mov_b32_e32 v14, s26
	s_xor_b32 exec_lo, exec_lo, s27
	s_cbranch_execnz .LBB4_5247
.LBB4_4837:                             ;   in Loop: Header=BB4_4718 Depth=2
	s_or_b32 exec_lo, exec_lo, s27
	s_and_saveexec_b32 s26, s10
	s_cbranch_execz .LBB4_4839
.LBB4_4838:                             ;   in Loop: Header=BB4_4718 Depth=2
	v_bfe_u32 v102, v15, 3, 4
	s_delay_alu instid0(VALU_DEP_1) | instskip(SKIP_1) | instid1(VALU_DEP_1)
	v_cmp_eq_u32_e32 vcc_lo, 0, v102
	v_and_b32_e32 v14, 7, v15
	v_clz_i32_u32_e32 v69, v14
	s_delay_alu instid0(VALU_DEP_1) | instskip(NEXT) | instid1(VALU_DEP_1)
	v_min_u32_e32 v69, 32, v69
	v_subrev_nc_u32_e32 v101, 28, v69
	v_sub_nc_u32_e32 v69, 29, v69
	s_delay_alu instid0(VALU_DEP_2) | instskip(NEXT) | instid1(VALU_DEP_2)
	v_lshlrev_b32_e32 v101, v101, v15
	v_cndmask_b32_e32 v69, v102, v69, vcc_lo
	s_delay_alu instid0(VALU_DEP_2) | instskip(SKIP_1) | instid1(VALU_DEP_3)
	v_and_b32_e32 v101, 7, v101
	v_lshlrev_b32_e32 v103, 24, v15
	v_lshl_add_u32 v69, v69, 23, 0x3b800000
	s_delay_alu instid0(VALU_DEP_2) | instskip(NEXT) | instid1(VALU_DEP_1)
	v_dual_cndmask_b32 v14, v14, v101 :: v_dual_and_b32 v101, 0x80000000, v103
	v_lshlrev_b32_e32 v14, 20, v14
	s_delay_alu instid0(VALU_DEP_1)
	v_or3_b32 v14, v101, v69, v14
.LBB4_4839:                             ;   in Loop: Header=BB4_4718 Depth=2
	s_or_b32 exec_lo, exec_lo, s26
	v_and_b32_e32 v101, 0xff, v11
	s_mov_b32 s10, 0
	s_mov_b32 s27, exec_lo
                                        ; implicit-def: $sgpr26
	s_delay_alu instid0(VALU_DEP_1)
	v_cmpx_lt_i16_e32 0x7f, v101
	s_xor_b32 s27, exec_lo, s27
	s_cbranch_execnz .LBB4_5248
; %bb.4840:                             ;   in Loop: Header=BB4_4718 Depth=2
	s_or_saveexec_b32 s27, s27
	v_mov_b32_e32 v69, s26
	s_xor_b32 exec_lo, exec_lo, s27
	s_cbranch_execnz .LBB4_5251
.LBB4_4841:                             ;   in Loop: Header=BB4_4718 Depth=2
	s_or_b32 exec_lo, exec_lo, s27
	s_and_saveexec_b32 s26, s10
	s_cbranch_execz .LBB4_4843
.LBB4_4842:                             ;   in Loop: Header=BB4_4718 Depth=2
	v_and_b32_e32 v69, 7, v11
	v_bfe_u32 v103, v11, 3, 4
	s_delay_alu instid0(VALU_DEP_2) | instskip(NEXT) | instid1(VALU_DEP_2)
	v_clz_i32_u32_e32 v101, v69
	v_cmp_eq_u32_e32 vcc_lo, 0, v103
	s_delay_alu instid0(VALU_DEP_2) | instskip(NEXT) | instid1(VALU_DEP_1)
	v_min_u32_e32 v101, 32, v101
	v_subrev_nc_u32_e32 v102, 28, v101
	v_sub_nc_u32_e32 v101, 29, v101
	s_delay_alu instid0(VALU_DEP_1) | instskip(NEXT) | instid1(VALU_DEP_1)
	v_dual_cndmask_b32 v101, v103, v101 :: v_dual_lshlrev_b32 v102, v102, v11
	v_and_b32_e32 v102, 7, v102
	v_lshlrev_b32_e32 v112, 24, v11
	s_delay_alu instid0(VALU_DEP_3) | instskip(NEXT) | instid1(VALU_DEP_2)
	v_lshl_add_u32 v101, v101, 23, 0x3b800000
	v_dual_cndmask_b32 v69, v69, v102 :: v_dual_and_b32 v102, 0x80000000, v112
	s_delay_alu instid0(VALU_DEP_1) | instskip(NEXT) | instid1(VALU_DEP_1)
	v_lshlrev_b32_e32 v69, 20, v69
	v_or3_b32 v69, v102, v101, v69
.LBB4_4843:                             ;   in Loop: Header=BB4_4718 Depth=2
	s_or_b32 exec_lo, exec_lo, s26
	s_delay_alu instid0(VALU_DEP_1) | instskip(SKIP_1) | instid1(VALU_DEP_1)
	v_dual_max_f32 v69, v69, v69 :: v_dual_max_f32 v14, v14, v14
	s_mov_b32 s10, 0
	v_max_f32_e32 v69, v14, v69
	s_branch .LBB4_4845
.LBB4_4844:                             ;   in Loop: Header=BB4_4718 Depth=2
	s_mov_b32 s10, -1
                                        ; implicit-def: $vgpr69
.LBB4_4845:                             ;   in Loop: Header=BB4_4718 Depth=2
	s_delay_alu instid0(SALU_CYCLE_1)
	s_and_b32 vcc_lo, exec_lo, s10
	s_cbranch_vccz .LBB4_4855
; %bb.4846:                             ;   in Loop: Header=BB4_4718 Depth=2
	v_and_b32_e32 v69, 0xff, v15
	s_mov_b32 s10, 0
	s_mov_b32 s27, exec_lo
                                        ; implicit-def: $sgpr26
	s_delay_alu instid0(VALU_DEP_1)
	v_cmpx_lt_i16_e32 0x7f, v69
	s_xor_b32 s27, exec_lo, s27
	s_cbranch_execnz .LBB4_5252
; %bb.4847:                             ;   in Loop: Header=BB4_4718 Depth=2
	s_or_saveexec_b32 s27, s27
	v_mov_b32_e32 v14, s26
	s_xor_b32 exec_lo, exec_lo, s27
	s_cbranch_execnz .LBB4_5255
.LBB4_4848:                             ;   in Loop: Header=BB4_4718 Depth=2
	s_or_b32 exec_lo, exec_lo, s27
	s_and_saveexec_b32 s26, s10
	s_cbranch_execz .LBB4_4850
.LBB4_4849:                             ;   in Loop: Header=BB4_4718 Depth=2
	v_bfe_u32 v102, v15, 3, 4
	s_delay_alu instid0(VALU_DEP_1) | instskip(SKIP_1) | instid1(VALU_DEP_1)
	v_cmp_eq_u32_e32 vcc_lo, 0, v102
	v_and_b32_e32 v14, 7, v15
	v_clz_i32_u32_e32 v69, v14
	s_delay_alu instid0(VALU_DEP_1) | instskip(NEXT) | instid1(VALU_DEP_1)
	v_min_u32_e32 v69, 32, v69
	v_subrev_nc_u32_e32 v101, 28, v69
	v_sub_nc_u32_e32 v69, 29, v69
	s_delay_alu instid0(VALU_DEP_2) | instskip(NEXT) | instid1(VALU_DEP_2)
	v_lshlrev_b32_e32 v101, v101, v15
	v_cndmask_b32_e32 v69, v102, v69, vcc_lo
	s_delay_alu instid0(VALU_DEP_2) | instskip(SKIP_1) | instid1(VALU_DEP_3)
	v_and_b32_e32 v101, 7, v101
	v_lshlrev_b32_e32 v103, 24, v15
	v_lshl_add_u32 v69, v69, 23, 0x3b800000
	s_delay_alu instid0(VALU_DEP_2) | instskip(NEXT) | instid1(VALU_DEP_1)
	v_dual_cndmask_b32 v14, v14, v101 :: v_dual_and_b32 v101, 0x80000000, v103
	v_lshlrev_b32_e32 v14, 20, v14
	s_delay_alu instid0(VALU_DEP_1)
	v_or3_b32 v14, v101, v69, v14
.LBB4_4850:                             ;   in Loop: Header=BB4_4718 Depth=2
	s_or_b32 exec_lo, exec_lo, s26
	v_and_b32_e32 v101, 0xff, v11
	s_mov_b32 s10, 0
	s_mov_b32 s27, exec_lo
                                        ; implicit-def: $sgpr26
	s_delay_alu instid0(VALU_DEP_1)
	v_cmpx_lt_i16_e32 0x7f, v101
	s_xor_b32 s27, exec_lo, s27
	s_cbranch_execnz .LBB4_5256
; %bb.4851:                             ;   in Loop: Header=BB4_4718 Depth=2
	s_or_saveexec_b32 s27, s27
	v_mov_b32_e32 v69, s26
	s_xor_b32 exec_lo, exec_lo, s27
	s_cbranch_execnz .LBB4_5259
.LBB4_4852:                             ;   in Loop: Header=BB4_4718 Depth=2
	s_or_b32 exec_lo, exec_lo, s27
	s_and_saveexec_b32 s26, s10
	s_cbranch_execz .LBB4_4854
.LBB4_4853:                             ;   in Loop: Header=BB4_4718 Depth=2
	v_and_b32_e32 v69, 7, v11
	v_bfe_u32 v103, v11, 3, 4
	s_delay_alu instid0(VALU_DEP_2) | instskip(NEXT) | instid1(VALU_DEP_2)
	v_clz_i32_u32_e32 v101, v69
	v_cmp_eq_u32_e32 vcc_lo, 0, v103
	s_delay_alu instid0(VALU_DEP_2) | instskip(NEXT) | instid1(VALU_DEP_1)
	v_min_u32_e32 v101, 32, v101
	v_subrev_nc_u32_e32 v102, 28, v101
	v_sub_nc_u32_e32 v101, 29, v101
	s_delay_alu instid0(VALU_DEP_1) | instskip(NEXT) | instid1(VALU_DEP_1)
	v_dual_cndmask_b32 v101, v103, v101 :: v_dual_lshlrev_b32 v102, v102, v11
	v_and_b32_e32 v102, 7, v102
	v_lshlrev_b32_e32 v112, 24, v11
	s_delay_alu instid0(VALU_DEP_3) | instskip(NEXT) | instid1(VALU_DEP_2)
	v_lshl_add_u32 v101, v101, 23, 0x3b800000
	v_dual_cndmask_b32 v69, v69, v102 :: v_dual_and_b32 v102, 0x80000000, v112
	s_delay_alu instid0(VALU_DEP_1) | instskip(NEXT) | instid1(VALU_DEP_1)
	v_lshlrev_b32_e32 v69, 20, v69
	v_or3_b32 v69, v102, v101, v69
.LBB4_4854:                             ;   in Loop: Header=BB4_4718 Depth=2
	s_or_b32 exec_lo, exec_lo, s26
	s_delay_alu instid0(VALU_DEP_1) | instskip(NEXT) | instid1(VALU_DEP_1)
	v_dual_max_f32 v69, v69, v69 :: v_dual_max_f32 v14, v14, v14
	v_min_f32_e32 v69, v14, v69
.LBB4_4855:                             ;   in Loop: Header=BB4_4718 Depth=2
	s_delay_alu instid0(VALU_DEP_1) | instskip(NEXT) | instid1(VALU_DEP_1)
	v_and_b32_e32 v14, 0x7f800000, v69
	v_cmp_ne_u32_e32 vcc_lo, 0x7f800000, v14
	v_mov_b32_e32 v14, 0x80
	s_and_saveexec_b32 s26, vcc_lo
	s_cbranch_execz .LBB4_4863
; %bb.4856:                             ;   in Loop: Header=BB4_4718 Depth=2
	v_mov_b32_e32 v14, 0
	s_mov_b32 s27, exec_lo
	v_cmpx_ne_u32_e32 0, v69
	s_cbranch_execz .LBB4_4862
; %bb.4857:                             ;   in Loop: Header=BB4_4718 Depth=2
	v_bfe_u32 v14, v69, 23, 8
	s_delay_alu instid0(VALU_DEP_1) | instskip(SKIP_1) | instid1(VALU_DEP_2)
	v_sub_nc_u32_e32 v102, 0x78, v14
	v_cmp_gt_u32_e32 vcc_lo, 0x79, v14
	v_dual_cndmask_b32 v102, 0, v102 :: v_dual_and_b32 v101, 0x7fffff, v69
	s_delay_alu instid0(VALU_DEP_1) | instskip(SKIP_2) | instid1(VALU_DEP_4)
	v_or_b32_e32 v103, 0x800000, v101
	v_cmp_eq_u32_e32 vcc_lo, 0, v14
	v_add_nc_u32_e32 v14, 0xffffff89, v14
	v_cndmask_b32_e64 v102, v102, 0x77, vcc_lo
	s_delay_alu instid0(VALU_DEP_4) | instskip(NEXT) | instid1(VALU_DEP_3)
	v_cndmask_b32_e32 v101, v103, v101, vcc_lo
	v_cndmask_b32_e64 v14, v14, 0xffffff8a, vcc_lo
	s_delay_alu instid0(VALU_DEP_3) | instskip(NEXT) | instid1(VALU_DEP_3)
	v_lshl_add_u32 v103, 0x100000, v102, -1
	v_lshrrev_b32_e32 v112, v102, v101
	v_lshlrev_b32_e64 v114, v102, 0x80000
	s_delay_alu instid0(VALU_DEP_4) | instskip(NEXT) | instid1(VALU_DEP_4)
	v_add_nc_u32_e32 v102, v102, v14
	v_and_b32_e32 v101, v103, v101
	s_delay_alu instid0(VALU_DEP_4) | instskip(NEXT) | instid1(VALU_DEP_2)
	v_bfe_u32 v113, v112, 20, 1
	v_cmp_eq_u32_e64 s10, v101, v114
	s_delay_alu instid0(VALU_DEP_2) | instskip(NEXT) | instid1(VALU_DEP_1)
	v_add_nc_u32_e32 v103, -1, v113
	v_cndmask_b32_e64 v101, 0, v103, s10
	v_lshrrev_b32_e32 v103, 23, v112
	s_mov_b32 s10, exec_lo
	s_delay_alu instid0(VALU_DEP_2) | instskip(NEXT) | instid1(VALU_DEP_2)
	v_add_nc_u32_e32 v101, v101, v112
	v_xor_b32_e32 v103, 1, v103
	s_delay_alu instid0(VALU_DEP_2) | instskip(NEXT) | instid1(VALU_DEP_1)
	v_and_b32_e32 v14, 0xfffff, v101
	v_add_nc_u32_e32 v101, v14, v112
                                        ; implicit-def: $vgpr14
	s_delay_alu instid0(VALU_DEP_3)
	v_cmpx_ne_u32_e64 v102, v103
	s_xor_b32 s10, exec_lo, s10
; %bb.4858:                             ;   in Loop: Header=BB4_4718 Depth=2
	s_delay_alu instid0(VALU_DEP_2) | instskip(SKIP_2) | instid1(VALU_DEP_2)
	v_cmp_lt_u32_e32 vcc_lo, 0xffffff, v101
	v_sub_nc_u32_e32 v14, v102, v103
	v_cndmask_b32_e64 v102, 0, 1, vcc_lo
	v_add_co_ci_u32_e32 v14, vcc_lo, 0, v14, vcc_lo
	s_delay_alu instid0(VALU_DEP_2)
	v_lshrrev_b32_e32 v101, v102, v101
; %bb.4859:                             ;   in Loop: Header=BB4_4718 Depth=2
	s_and_not1_saveexec_b32 s10, s10
; %bb.4860:                             ;   in Loop: Header=BB4_4718 Depth=2
	s_delay_alu instid0(VALU_DEP_1)
	v_bfe_u32 v14, v101, 23, 1
; %bb.4861:                             ;   in Loop: Header=BB4_4718 Depth=2
	s_or_b32 exec_lo, exec_lo, s10
	v_lshrrev_b32_e32 v101, 20, v101
	s_delay_alu instid0(VALU_DEP_2) | instskip(SKIP_2) | instid1(VALU_DEP_4)
	v_cmp_gt_i32_e32 vcc_lo, 16, v14
	v_lshrrev_b32_e32 v69, 24, v69
	v_min_i32_e32 v102, 15, v14
	v_cndmask_b32_e32 v101, 7, v101, vcc_lo
	s_delay_alu instid0(VALU_DEP_3) | instskip(NEXT) | instid1(VALU_DEP_3)
	v_and_b32_e32 v69, 0x80, v69
	v_lshlrev_b32_e32 v102, 3, v102
	s_delay_alu instid0(VALU_DEP_3) | instskip(SKIP_1) | instid1(VALU_DEP_2)
	v_and_b32_e32 v103, 7, v101
	v_or_b32_e32 v14, v14, v101
	v_or3_b32 v69, v102, v69, v103
	s_delay_alu instid0(VALU_DEP_2) | instskip(NEXT) | instid1(VALU_DEP_2)
	v_cmp_ne_u32_e32 vcc_lo, 0, v14
	v_cndmask_b32_e32 v14, 0, v69, vcc_lo
.LBB4_4862:                             ;   in Loop: Header=BB4_4718 Depth=2
	s_or_b32 exec_lo, exec_lo, s27
.LBB4_4863:                             ;   in Loop: Header=BB4_4718 Depth=2
	s_delay_alu instid0(SALU_CYCLE_1)
	s_or_b32 exec_lo, exec_lo, s26
	v_lshrrev_b16 v101, 8, v15
	v_lshrrev_b16 v69, 8, v11
	s_and_b32 vcc_lo, exec_lo, s25
	s_cbranch_vccz .LBB4_4873
; %bb.4864:                             ;   in Loop: Header=BB4_4718 Depth=2
	s_mov_b32 s10, 0
	s_mov_b32 s27, exec_lo
                                        ; implicit-def: $sgpr26
	v_cmpx_lt_i16_e32 0x7f, v101
	s_xor_b32 s27, exec_lo, s27
	s_cbranch_execnz .LBB4_5260
; %bb.4865:                             ;   in Loop: Header=BB4_4718 Depth=2
	s_or_saveexec_b32 s27, s27
	v_mov_b32_e32 v102, s26
	s_xor_b32 exec_lo, exec_lo, s27
	s_cbranch_execnz .LBB4_5263
.LBB4_4866:                             ;   in Loop: Header=BB4_4718 Depth=2
	s_or_b32 exec_lo, exec_lo, s27
	s_and_saveexec_b32 s26, s10
	s_cbranch_execz .LBB4_4868
.LBB4_4867:                             ;   in Loop: Header=BB4_4718 Depth=2
	v_and_b32_e32 v102, 0xffff, v101
	s_delay_alu instid0(VALU_DEP_1) | instskip(NEXT) | instid1(VALU_DEP_1)
	v_and_b32_e32 v103, 7, v102
	v_clz_i32_u32_e32 v112, v103
	s_delay_alu instid0(VALU_DEP_1) | instskip(NEXT) | instid1(VALU_DEP_1)
	v_min_u32_e32 v112, 32, v112
	v_subrev_nc_u32_e32 v113, 28, v112
	v_sub_nc_u32_e32 v112, 29, v112
	s_delay_alu instid0(VALU_DEP_2) | instskip(SKIP_1) | instid1(VALU_DEP_2)
	v_lshlrev_b32_e32 v113, v113, v102
	v_bfe_u32 v102, v102, 3, 4
	v_and_b32_e32 v113, 7, v113
	s_delay_alu instid0(VALU_DEP_2) | instskip(SKIP_1) | instid1(VALU_DEP_3)
	v_cmp_eq_u32_e32 vcc_lo, 0, v102
	v_cndmask_b32_e32 v102, v102, v112, vcc_lo
	v_dual_cndmask_b32 v103, v103, v113 :: v_dual_lshlrev_b32 v114, 16, v15
	s_delay_alu instid0(VALU_DEP_2) | instskip(NEXT) | instid1(VALU_DEP_2)
	v_lshl_add_u32 v102, v102, 23, 0x3b800000
	v_and_b32_e32 v112, 0x80000000, v114
	s_delay_alu instid0(VALU_DEP_3) | instskip(NEXT) | instid1(VALU_DEP_1)
	v_lshlrev_b32_e32 v103, 20, v103
	v_or3_b32 v102, v112, v102, v103
.LBB4_4868:                             ;   in Loop: Header=BB4_4718 Depth=2
	s_or_b32 exec_lo, exec_lo, s26
	s_mov_b32 s10, 0
	s_mov_b32 s27, exec_lo
                                        ; implicit-def: $sgpr26
	v_cmpx_lt_i16_e32 0x7f, v69
	s_xor_b32 s27, exec_lo, s27
	s_cbranch_execnz .LBB4_5264
; %bb.4869:                             ;   in Loop: Header=BB4_4718 Depth=2
	s_or_saveexec_b32 s27, s27
	v_mov_b32_e32 v103, s26
	s_xor_b32 exec_lo, exec_lo, s27
	s_cbranch_execnz .LBB4_5267
.LBB4_4870:                             ;   in Loop: Header=BB4_4718 Depth=2
	s_or_b32 exec_lo, exec_lo, s27
	s_and_saveexec_b32 s26, s10
	s_cbranch_execz .LBB4_4872
.LBB4_4871:                             ;   in Loop: Header=BB4_4718 Depth=2
	v_and_b32_e32 v103, 0xffff, v69
	v_lshlrev_b32_e32 v115, 16, v11
	s_delay_alu instid0(VALU_DEP_2) | instskip(NEXT) | instid1(VALU_DEP_1)
	v_and_b32_e32 v112, 7, v103
	v_clz_i32_u32_e32 v113, v112
	s_delay_alu instid0(VALU_DEP_1) | instskip(NEXT) | instid1(VALU_DEP_1)
	v_min_u32_e32 v113, 32, v113
	v_subrev_nc_u32_e32 v114, 28, v113
	v_sub_nc_u32_e32 v113, 29, v113
	s_delay_alu instid0(VALU_DEP_2) | instskip(SKIP_1) | instid1(VALU_DEP_2)
	v_lshlrev_b32_e32 v114, v114, v103
	v_bfe_u32 v103, v103, 3, 4
	v_and_b32_e32 v114, 7, v114
	s_delay_alu instid0(VALU_DEP_2) | instskip(NEXT) | instid1(VALU_DEP_2)
	v_cmp_eq_u32_e32 vcc_lo, 0, v103
	v_dual_cndmask_b32 v103, v103, v113 :: v_dual_cndmask_b32 v112, v112, v114
	v_and_b32_e32 v113, 0x80000000, v115
	s_delay_alu instid0(VALU_DEP_2) | instskip(NEXT) | instid1(VALU_DEP_3)
	v_lshl_add_u32 v103, v103, 23, 0x3b800000
	v_lshlrev_b32_e32 v112, 20, v112
	s_delay_alu instid0(VALU_DEP_1)
	v_or3_b32 v103, v113, v103, v112
.LBB4_4872:                             ;   in Loop: Header=BB4_4718 Depth=2
	s_or_b32 exec_lo, exec_lo, s26
	s_delay_alu instid0(VALU_DEP_1) | instskip(SKIP_1) | instid1(VALU_DEP_1)
	v_dual_max_f32 v103, v103, v103 :: v_dual_max_f32 v102, v102, v102
	s_mov_b32 s10, 0
	v_max_f32_e32 v102, v102, v103
	s_branch .LBB4_4874
.LBB4_4873:                             ;   in Loop: Header=BB4_4718 Depth=2
	s_mov_b32 s10, -1
                                        ; implicit-def: $vgpr102
.LBB4_4874:                             ;   in Loop: Header=BB4_4718 Depth=2
	s_delay_alu instid0(SALU_CYCLE_1)
	s_and_b32 vcc_lo, exec_lo, s10
	s_cbranch_vccz .LBB4_4884
; %bb.4875:                             ;   in Loop: Header=BB4_4718 Depth=2
	s_mov_b32 s10, 0
	s_mov_b32 s27, exec_lo
                                        ; implicit-def: $sgpr26
	v_cmpx_lt_i16_e32 0x7f, v101
	s_xor_b32 s27, exec_lo, s27
	s_cbranch_execnz .LBB4_5268
; %bb.4876:                             ;   in Loop: Header=BB4_4718 Depth=2
	s_or_saveexec_b32 s27, s27
	v_mov_b32_e32 v102, s26
	s_xor_b32 exec_lo, exec_lo, s27
	s_cbranch_execnz .LBB4_5271
.LBB4_4877:                             ;   in Loop: Header=BB4_4718 Depth=2
	s_or_b32 exec_lo, exec_lo, s27
	s_and_saveexec_b32 s26, s10
	s_cbranch_execz .LBB4_4879
.LBB4_4878:                             ;   in Loop: Header=BB4_4718 Depth=2
	v_and_b32_e32 v101, 0xffff, v101
	v_lshlrev_b32_e32 v113, 16, v15
	s_delay_alu instid0(VALU_DEP_2) | instskip(NEXT) | instid1(VALU_DEP_1)
	v_and_b32_e32 v102, 7, v101
	v_clz_i32_u32_e32 v103, v102
	s_delay_alu instid0(VALU_DEP_1) | instskip(NEXT) | instid1(VALU_DEP_1)
	v_min_u32_e32 v103, 32, v103
	v_subrev_nc_u32_e32 v112, 28, v103
	v_sub_nc_u32_e32 v103, 29, v103
	s_delay_alu instid0(VALU_DEP_2) | instskip(SKIP_1) | instid1(VALU_DEP_2)
	v_lshlrev_b32_e32 v112, v112, v101
	v_bfe_u32 v101, v101, 3, 4
	v_and_b32_e32 v112, 7, v112
	s_delay_alu instid0(VALU_DEP_2) | instskip(NEXT) | instid1(VALU_DEP_2)
	v_cmp_eq_u32_e32 vcc_lo, 0, v101
	v_dual_cndmask_b32 v101, v101, v103 :: v_dual_cndmask_b32 v102, v102, v112
	v_and_b32_e32 v103, 0x80000000, v113
	s_delay_alu instid0(VALU_DEP_2) | instskip(NEXT) | instid1(VALU_DEP_3)
	v_lshl_add_u32 v101, v101, 23, 0x3b800000
	v_lshlrev_b32_e32 v102, 20, v102
	s_delay_alu instid0(VALU_DEP_1)
	v_or3_b32 v102, v103, v101, v102
.LBB4_4879:                             ;   in Loop: Header=BB4_4718 Depth=2
	s_or_b32 exec_lo, exec_lo, s26
	s_mov_b32 s10, 0
	s_mov_b32 s27, exec_lo
                                        ; implicit-def: $sgpr26
	v_cmpx_lt_i16_e32 0x7f, v69
	s_xor_b32 s27, exec_lo, s27
	s_cbranch_execnz .LBB4_5272
; %bb.4880:                             ;   in Loop: Header=BB4_4718 Depth=2
	s_or_saveexec_b32 s27, s27
	v_mov_b32_e32 v101, s26
	s_xor_b32 exec_lo, exec_lo, s27
	s_cbranch_execnz .LBB4_5275
.LBB4_4881:                             ;   in Loop: Header=BB4_4718 Depth=2
	s_or_b32 exec_lo, exec_lo, s27
	s_and_saveexec_b32 s26, s10
	s_cbranch_execz .LBB4_4883
.LBB4_4882:                             ;   in Loop: Header=BB4_4718 Depth=2
	v_and_b32_e32 v69, 0xffff, v69
	v_lshlrev_b32_e32 v113, 16, v11
	s_delay_alu instid0(VALU_DEP_2) | instskip(NEXT) | instid1(VALU_DEP_1)
	v_and_b32_e32 v101, 7, v69
	v_clz_i32_u32_e32 v103, v101
	s_delay_alu instid0(VALU_DEP_1) | instskip(NEXT) | instid1(VALU_DEP_1)
	v_min_u32_e32 v103, 32, v103
	v_subrev_nc_u32_e32 v112, 28, v103
	v_sub_nc_u32_e32 v103, 29, v103
	s_delay_alu instid0(VALU_DEP_2) | instskip(SKIP_1) | instid1(VALU_DEP_1)
	v_lshlrev_b32_e32 v112, v112, v69
	v_bfe_u32 v69, v69, 3, 4
	v_cmp_eq_u32_e32 vcc_lo, 0, v69
	s_delay_alu instid0(VALU_DEP_3) | instskip(SKIP_1) | instid1(VALU_DEP_2)
	v_dual_cndmask_b32 v69, v69, v103 :: v_dual_and_b32 v112, 7, v112
	v_and_b32_e32 v103, 0x80000000, v113
	v_lshl_add_u32 v69, v69, 23, 0x3b800000
	s_delay_alu instid0(VALU_DEP_3) | instskip(NEXT) | instid1(VALU_DEP_1)
	v_cndmask_b32_e32 v101, v101, v112, vcc_lo
	v_lshlrev_b32_e32 v101, 20, v101
	s_delay_alu instid0(VALU_DEP_1)
	v_or3_b32 v101, v103, v69, v101
.LBB4_4883:                             ;   in Loop: Header=BB4_4718 Depth=2
	s_or_b32 exec_lo, exec_lo, s26
	s_delay_alu instid0(VALU_DEP_1) | instskip(SKIP_1) | instid1(VALU_DEP_1)
	v_max_f32_e32 v69, v101, v101
	v_max_f32_e32 v101, v102, v102
	v_min_f32_e32 v102, v101, v69
.LBB4_4884:                             ;   in Loop: Header=BB4_4718 Depth=2
	s_delay_alu instid0(VALU_DEP_1) | instskip(NEXT) | instid1(VALU_DEP_1)
	v_and_b32_e32 v69, 0x7f800000, v102
	v_cmp_ne_u32_e32 vcc_lo, 0x7f800000, v69
	v_mov_b32_e32 v69, 0x80
	s_and_saveexec_b32 s26, vcc_lo
	s_cbranch_execz .LBB4_4892
; %bb.4885:                             ;   in Loop: Header=BB4_4718 Depth=2
	v_mov_b32_e32 v69, 0
	s_mov_b32 s27, exec_lo
	v_cmpx_ne_u32_e32 0, v102
	s_cbranch_execz .LBB4_4891
; %bb.4886:                             ;   in Loop: Header=BB4_4718 Depth=2
	v_bfe_u32 v69, v102, 23, 8
	v_and_b32_e32 v101, 0x7fffff, v102
	s_delay_alu instid0(VALU_DEP_2) | instskip(SKIP_1) | instid1(VALU_DEP_3)
	v_sub_nc_u32_e32 v103, 0x78, v69
	v_cmp_gt_u32_e32 vcc_lo, 0x79, v69
	v_or_b32_e32 v112, 0x800000, v101
	s_delay_alu instid0(VALU_DEP_3) | instskip(SKIP_2) | instid1(VALU_DEP_3)
	v_cndmask_b32_e32 v103, 0, v103, vcc_lo
	v_cmp_eq_u32_e32 vcc_lo, 0, v69
	v_add_nc_u32_e32 v69, 0xffffff89, v69
	v_cndmask_b32_e64 v103, v103, 0x77, vcc_lo
	v_cndmask_b32_e32 v101, v112, v101, vcc_lo
	s_delay_alu instid0(VALU_DEP_3) | instskip(NEXT) | instid1(VALU_DEP_3)
	v_cndmask_b32_e64 v69, v69, 0xffffff8a, vcc_lo
	v_lshl_add_u32 v112, 0x100000, v103, -1
	s_delay_alu instid0(VALU_DEP_3) | instskip(SKIP_1) | instid1(VALU_DEP_4)
	v_lshrrev_b32_e32 v113, v103, v101
	v_lshlrev_b32_e64 v115, v103, 0x80000
	v_add_nc_u32_e32 v103, v103, v69
	s_delay_alu instid0(VALU_DEP_4) | instskip(NEXT) | instid1(VALU_DEP_4)
	v_and_b32_e32 v101, v112, v101
	v_bfe_u32 v114, v113, 20, 1
	s_delay_alu instid0(VALU_DEP_2) | instskip(NEXT) | instid1(VALU_DEP_2)
	v_cmp_eq_u32_e64 s10, v101, v115
	v_add_nc_u32_e32 v112, -1, v114
	s_delay_alu instid0(VALU_DEP_1) | instskip(SKIP_2) | instid1(VALU_DEP_2)
	v_cndmask_b32_e64 v101, 0, v112, s10
	v_lshrrev_b32_e32 v112, 23, v113
	s_mov_b32 s10, exec_lo
	v_add_nc_u32_e32 v101, v101, v113
	s_delay_alu instid0(VALU_DEP_2) | instskip(NEXT) | instid1(VALU_DEP_2)
	v_xor_b32_e32 v112, 1, v112
	v_and_b32_e32 v69, 0xfffff, v101
	s_delay_alu instid0(VALU_DEP_1) | instskip(NEXT) | instid1(VALU_DEP_3)
	v_add_nc_u32_e32 v101, v69, v113
                                        ; implicit-def: $vgpr69
	v_cmpx_ne_u32_e64 v103, v112
	s_xor_b32 s10, exec_lo, s10
; %bb.4887:                             ;   in Loop: Header=BB4_4718 Depth=2
	s_delay_alu instid0(VALU_DEP_2) | instskip(SKIP_2) | instid1(VALU_DEP_2)
	v_cmp_lt_u32_e32 vcc_lo, 0xffffff, v101
	v_sub_nc_u32_e32 v69, v103, v112
	v_cndmask_b32_e64 v103, 0, 1, vcc_lo
	v_add_co_ci_u32_e32 v69, vcc_lo, 0, v69, vcc_lo
	s_delay_alu instid0(VALU_DEP_2)
	v_lshrrev_b32_e32 v101, v103, v101
; %bb.4888:                             ;   in Loop: Header=BB4_4718 Depth=2
	s_and_not1_saveexec_b32 s10, s10
; %bb.4889:                             ;   in Loop: Header=BB4_4718 Depth=2
	s_delay_alu instid0(VALU_DEP_1)
	v_bfe_u32 v69, v101, 23, 1
; %bb.4890:                             ;   in Loop: Header=BB4_4718 Depth=2
	s_or_b32 exec_lo, exec_lo, s10
	v_lshrrev_b32_e32 v101, 20, v101
	s_delay_alu instid0(VALU_DEP_2) | instskip(SKIP_2) | instid1(VALU_DEP_2)
	v_cmp_gt_i32_e32 vcc_lo, 16, v69
	v_lshrrev_b32_e32 v102, 24, v102
	v_min_i32_e32 v103, 15, v69
	v_dual_cndmask_b32 v101, 7, v101 :: v_dual_and_b32 v102, 0x80, v102
	s_delay_alu instid0(VALU_DEP_2) | instskip(NEXT) | instid1(VALU_DEP_2)
	v_lshlrev_b32_e32 v103, 3, v103
	v_and_b32_e32 v112, 7, v101
	v_or_b32_e32 v69, v69, v101
	s_delay_alu instid0(VALU_DEP_2) | instskip(NEXT) | instid1(VALU_DEP_2)
	v_or3_b32 v101, v103, v102, v112
	v_cmp_ne_u32_e32 vcc_lo, 0, v69
	s_delay_alu instid0(VALU_DEP_2)
	v_cndmask_b32_e32 v69, 0, v101, vcc_lo
.LBB4_4891:                             ;   in Loop: Header=BB4_4718 Depth=2
	s_or_b32 exec_lo, exec_lo, s27
.LBB4_4892:                             ;   in Loop: Header=BB4_4718 Depth=2
	s_delay_alu instid0(SALU_CYCLE_1)
	s_or_b32 exec_lo, exec_lo, s26
	v_lshrrev_b32_e32 v102, 16, v15
	v_lshrrev_b32_e32 v101, 16, v11
	s_and_b32 vcc_lo, exec_lo, s25
	s_cbranch_vccz .LBB4_4902
; %bb.4893:                             ;   in Loop: Header=BB4_4718 Depth=2
	s_delay_alu instid0(VALU_DEP_2) | instskip(SKIP_2) | instid1(VALU_DEP_1)
	v_and_b32_e32 v112, 0xff, v102
	s_mov_b32 s10, 0
	s_mov_b32 s27, exec_lo
                                        ; implicit-def: $sgpr26
	v_cmpx_lt_i16_e32 0x7f, v112
	s_xor_b32 s27, exec_lo, s27
	s_cbranch_execnz .LBB4_5276
; %bb.4894:                             ;   in Loop: Header=BB4_4718 Depth=2
	s_or_saveexec_b32 s27, s27
	v_mov_b32_e32 v103, s26
	s_xor_b32 exec_lo, exec_lo, s27
	s_cbranch_execnz .LBB4_5279
.LBB4_4895:                             ;   in Loop: Header=BB4_4718 Depth=2
	s_or_b32 exec_lo, exec_lo, s27
	s_and_saveexec_b32 s26, s10
	s_cbranch_execz .LBB4_4897
.LBB4_4896:                             ;   in Loop: Header=BB4_4718 Depth=2
	v_bfe_u32 v103, v15, 16, 3
	v_bfe_u32 v114, v15, 19, 4
	v_lshlrev_b32_e32 v115, 24, v102
	s_delay_alu instid0(VALU_DEP_3) | instskip(NEXT) | instid1(VALU_DEP_3)
	v_clz_i32_u32_e32 v112, v103
	v_cmp_eq_u32_e32 vcc_lo, 0, v114
	s_delay_alu instid0(VALU_DEP_2) | instskip(NEXT) | instid1(VALU_DEP_1)
	v_min_u32_e32 v112, 32, v112
	v_subrev_nc_u32_e32 v113, 28, v112
	v_sub_nc_u32_e32 v112, 29, v112
	s_delay_alu instid0(VALU_DEP_1) | instskip(NEXT) | instid1(VALU_DEP_1)
	v_dual_cndmask_b32 v112, v114, v112 :: v_dual_lshlrev_b32 v113, v113, v102
	v_and_b32_e32 v113, 7, v113
	s_delay_alu instid0(VALU_DEP_2) | instskip(NEXT) | instid1(VALU_DEP_2)
	v_lshl_add_u32 v112, v112, 23, 0x3b800000
	v_cndmask_b32_e32 v103, v103, v113, vcc_lo
	v_and_b32_e32 v113, 0x80000000, v115
	s_delay_alu instid0(VALU_DEP_2) | instskip(NEXT) | instid1(VALU_DEP_1)
	v_lshlrev_b32_e32 v103, 20, v103
	v_or3_b32 v103, v113, v112, v103
.LBB4_4897:                             ;   in Loop: Header=BB4_4718 Depth=2
	s_or_b32 exec_lo, exec_lo, s26
	v_and_b32_e32 v113, 0xff, v101
	s_mov_b32 s10, 0
	s_mov_b32 s27, exec_lo
                                        ; implicit-def: $sgpr26
	s_delay_alu instid0(VALU_DEP_1)
	v_cmpx_lt_i16_e32 0x7f, v113
	s_xor_b32 s27, exec_lo, s27
	s_cbranch_execnz .LBB4_5280
; %bb.4898:                             ;   in Loop: Header=BB4_4718 Depth=2
	s_or_saveexec_b32 s27, s27
	v_mov_b32_e32 v112, s26
	s_xor_b32 exec_lo, exec_lo, s27
	s_cbranch_execnz .LBB4_5283
.LBB4_4899:                             ;   in Loop: Header=BB4_4718 Depth=2
	s_or_b32 exec_lo, exec_lo, s27
	s_and_saveexec_b32 s26, s10
	s_cbranch_execz .LBB4_4901
.LBB4_4900:                             ;   in Loop: Header=BB4_4718 Depth=2
	v_bfe_u32 v112, v11, 16, 3
	v_bfe_u32 v115, v11, 19, 4
	v_lshlrev_b32_e32 v116, 24, v101
	s_delay_alu instid0(VALU_DEP_3) | instskip(NEXT) | instid1(VALU_DEP_3)
	v_clz_i32_u32_e32 v113, v112
	v_cmp_eq_u32_e32 vcc_lo, 0, v115
	s_delay_alu instid0(VALU_DEP_2) | instskip(NEXT) | instid1(VALU_DEP_1)
	v_min_u32_e32 v113, 32, v113
	v_subrev_nc_u32_e32 v114, 28, v113
	v_sub_nc_u32_e32 v113, 29, v113
	s_delay_alu instid0(VALU_DEP_2) | instskip(NEXT) | instid1(VALU_DEP_1)
	v_lshlrev_b32_e32 v114, v114, v101
	v_dual_cndmask_b32 v113, v115, v113 :: v_dual_and_b32 v114, 7, v114
	s_delay_alu instid0(VALU_DEP_1) | instskip(NEXT) | instid1(VALU_DEP_2)
	v_lshl_add_u32 v113, v113, 23, 0x3b800000
	v_cndmask_b32_e32 v112, v112, v114, vcc_lo
	v_and_b32_e32 v114, 0x80000000, v116
	s_delay_alu instid0(VALU_DEP_2) | instskip(NEXT) | instid1(VALU_DEP_1)
	v_lshlrev_b32_e32 v112, 20, v112
	v_or3_b32 v112, v114, v113, v112
.LBB4_4901:                             ;   in Loop: Header=BB4_4718 Depth=2
	s_or_b32 exec_lo, exec_lo, s26
	s_delay_alu instid0(VALU_DEP_1) | instskip(SKIP_1) | instid1(VALU_DEP_1)
	v_dual_max_f32 v112, v112, v112 :: v_dual_max_f32 v103, v103, v103
	s_mov_b32 s10, 0
	v_max_f32_e32 v103, v103, v112
	s_branch .LBB4_4903
.LBB4_4902:                             ;   in Loop: Header=BB4_4718 Depth=2
	s_mov_b32 s10, -1
                                        ; implicit-def: $vgpr103
.LBB4_4903:                             ;   in Loop: Header=BB4_4718 Depth=2
	s_delay_alu instid0(SALU_CYCLE_1)
	s_and_b32 vcc_lo, exec_lo, s10
	s_cbranch_vccz .LBB4_4913
; %bb.4904:                             ;   in Loop: Header=BB4_4718 Depth=2
	v_and_b32_e32 v112, 0xff, v102
	s_mov_b32 s10, 0
	s_mov_b32 s27, exec_lo
                                        ; implicit-def: $sgpr26
	s_delay_alu instid0(VALU_DEP_1)
	v_cmpx_lt_i16_e32 0x7f, v112
	s_xor_b32 s27, exec_lo, s27
	s_cbranch_execnz .LBB4_5284
; %bb.4905:                             ;   in Loop: Header=BB4_4718 Depth=2
	s_or_saveexec_b32 s27, s27
	v_mov_b32_e32 v103, s26
	s_xor_b32 exec_lo, exec_lo, s27
	s_cbranch_execnz .LBB4_5287
.LBB4_4906:                             ;   in Loop: Header=BB4_4718 Depth=2
	s_or_b32 exec_lo, exec_lo, s27
	s_and_saveexec_b32 s26, s10
	s_cbranch_execz .LBB4_4908
.LBB4_4907:                             ;   in Loop: Header=BB4_4718 Depth=2
	v_bfe_u32 v103, v15, 16, 3
	v_bfe_u32 v114, v15, 19, 4
	s_delay_alu instid0(VALU_DEP_2) | instskip(NEXT) | instid1(VALU_DEP_2)
	v_clz_i32_u32_e32 v112, v103
	v_cmp_eq_u32_e32 vcc_lo, 0, v114
	s_delay_alu instid0(VALU_DEP_2) | instskip(NEXT) | instid1(VALU_DEP_1)
	v_min_u32_e32 v112, 32, v112
	v_subrev_nc_u32_e32 v113, 28, v112
	v_sub_nc_u32_e32 v112, 29, v112
	s_delay_alu instid0(VALU_DEP_1) | instskip(NEXT) | instid1(VALU_DEP_1)
	v_dual_cndmask_b32 v112, v114, v112 :: v_dual_lshlrev_b32 v113, v113, v102
	v_and_b32_e32 v113, 7, v113
	v_lshlrev_b32_e32 v102, 24, v102
	s_delay_alu instid0(VALU_DEP_3) | instskip(NEXT) | instid1(VALU_DEP_2)
	v_lshl_add_u32 v112, v112, 23, 0x3b800000
	v_dual_cndmask_b32 v103, v103, v113 :: v_dual_and_b32 v102, 0x80000000, v102
	s_delay_alu instid0(VALU_DEP_1) | instskip(NEXT) | instid1(VALU_DEP_1)
	v_lshlrev_b32_e32 v103, 20, v103
	v_or3_b32 v103, v102, v112, v103
.LBB4_4908:                             ;   in Loop: Header=BB4_4718 Depth=2
	s_or_b32 exec_lo, exec_lo, s26
	v_and_b32_e32 v112, 0xff, v101
	s_mov_b32 s10, 0
	s_mov_b32 s27, exec_lo
                                        ; implicit-def: $sgpr26
	s_delay_alu instid0(VALU_DEP_1)
	v_cmpx_lt_i16_e32 0x7f, v112
	s_xor_b32 s27, exec_lo, s27
	s_cbranch_execnz .LBB4_5288
; %bb.4909:                             ;   in Loop: Header=BB4_4718 Depth=2
	s_or_saveexec_b32 s27, s27
	v_mov_b32_e32 v102, s26
	s_xor_b32 exec_lo, exec_lo, s27
	s_cbranch_execnz .LBB4_5291
.LBB4_4910:                             ;   in Loop: Header=BB4_4718 Depth=2
	s_or_b32 exec_lo, exec_lo, s27
	s_and_saveexec_b32 s26, s10
	s_cbranch_execz .LBB4_4912
.LBB4_4911:                             ;   in Loop: Header=BB4_4718 Depth=2
	v_bfe_u32 v102, v11, 16, 3
	v_bfe_u32 v114, v11, 19, 4
	s_delay_alu instid0(VALU_DEP_2) | instskip(NEXT) | instid1(VALU_DEP_2)
	v_clz_i32_u32_e32 v112, v102
	v_cmp_eq_u32_e32 vcc_lo, 0, v114
	s_delay_alu instid0(VALU_DEP_2) | instskip(NEXT) | instid1(VALU_DEP_1)
	v_min_u32_e32 v112, 32, v112
	v_subrev_nc_u32_e32 v113, 28, v112
	v_sub_nc_u32_e32 v112, 29, v112
	s_delay_alu instid0(VALU_DEP_1) | instskip(SKIP_1) | instid1(VALU_DEP_2)
	v_dual_cndmask_b32 v112, v114, v112 :: v_dual_lshlrev_b32 v113, v113, v101
	v_lshlrev_b32_e32 v101, 24, v101
	v_and_b32_e32 v113, 7, v113
	s_delay_alu instid0(VALU_DEP_3) | instskip(NEXT) | instid1(VALU_DEP_3)
	v_lshl_add_u32 v112, v112, 23, 0x3b800000
	v_and_b32_e32 v101, 0x80000000, v101
	s_delay_alu instid0(VALU_DEP_3) | instskip(NEXT) | instid1(VALU_DEP_1)
	v_cndmask_b32_e32 v102, v102, v113, vcc_lo
	v_lshlrev_b32_e32 v102, 20, v102
	s_delay_alu instid0(VALU_DEP_1)
	v_or3_b32 v102, v101, v112, v102
.LBB4_4912:                             ;   in Loop: Header=BB4_4718 Depth=2
	s_or_b32 exec_lo, exec_lo, s26
	s_delay_alu instid0(VALU_DEP_1) | instskip(NEXT) | instid1(VALU_DEP_1)
	v_dual_max_f32 v101, v102, v102 :: v_dual_max_f32 v102, v103, v103
	v_min_f32_e32 v103, v102, v101
.LBB4_4913:                             ;   in Loop: Header=BB4_4718 Depth=2
	s_delay_alu instid0(VALU_DEP_1) | instskip(NEXT) | instid1(VALU_DEP_1)
	v_and_b32_e32 v101, 0x7f800000, v103
	v_cmp_ne_u32_e32 vcc_lo, 0x7f800000, v101
	v_mov_b32_e32 v101, 0x80
	s_and_saveexec_b32 s26, vcc_lo
	s_cbranch_execz .LBB4_4921
; %bb.4914:                             ;   in Loop: Header=BB4_4718 Depth=2
	v_mov_b32_e32 v101, 0
	s_mov_b32 s27, exec_lo
	v_cmpx_ne_u32_e32 0, v103
	s_cbranch_execz .LBB4_4920
; %bb.4915:                             ;   in Loop: Header=BB4_4718 Depth=2
	v_bfe_u32 v101, v103, 23, 8
	v_and_b32_e32 v102, 0x7fffff, v103
	s_delay_alu instid0(VALU_DEP_2) | instskip(SKIP_1) | instid1(VALU_DEP_3)
	v_sub_nc_u32_e32 v112, 0x78, v101
	v_cmp_gt_u32_e32 vcc_lo, 0x79, v101
	v_or_b32_e32 v113, 0x800000, v102
	s_delay_alu instid0(VALU_DEP_3) | instskip(SKIP_2) | instid1(VALU_DEP_3)
	v_cndmask_b32_e32 v112, 0, v112, vcc_lo
	v_cmp_eq_u32_e32 vcc_lo, 0, v101
	v_add_nc_u32_e32 v101, 0xffffff89, v101
	v_cndmask_b32_e64 v112, v112, 0x77, vcc_lo
	v_cndmask_b32_e32 v102, v113, v102, vcc_lo
	s_delay_alu instid0(VALU_DEP_3) | instskip(NEXT) | instid1(VALU_DEP_3)
	v_cndmask_b32_e64 v101, v101, 0xffffff8a, vcc_lo
	v_lshl_add_u32 v113, 0x100000, v112, -1
	s_delay_alu instid0(VALU_DEP_3) | instskip(SKIP_1) | instid1(VALU_DEP_4)
	v_lshrrev_b32_e32 v114, v112, v102
	v_lshlrev_b32_e64 v116, v112, 0x80000
	v_add_nc_u32_e32 v112, v112, v101
	s_delay_alu instid0(VALU_DEP_4) | instskip(NEXT) | instid1(VALU_DEP_4)
	v_and_b32_e32 v102, v113, v102
	v_bfe_u32 v115, v114, 20, 1
	s_delay_alu instid0(VALU_DEP_2) | instskip(NEXT) | instid1(VALU_DEP_2)
	v_cmp_eq_u32_e64 s10, v102, v116
	v_add_nc_u32_e32 v113, -1, v115
	s_delay_alu instid0(VALU_DEP_1) | instskip(SKIP_2) | instid1(VALU_DEP_2)
	v_cndmask_b32_e64 v102, 0, v113, s10
	v_lshrrev_b32_e32 v113, 23, v114
	s_mov_b32 s10, exec_lo
	v_add_nc_u32_e32 v102, v102, v114
	s_delay_alu instid0(VALU_DEP_2) | instskip(NEXT) | instid1(VALU_DEP_2)
	v_xor_b32_e32 v113, 1, v113
	v_and_b32_e32 v101, 0xfffff, v102
	s_delay_alu instid0(VALU_DEP_1) | instskip(NEXT) | instid1(VALU_DEP_3)
	v_add_nc_u32_e32 v102, v101, v114
                                        ; implicit-def: $vgpr101
	v_cmpx_ne_u32_e64 v112, v113
	s_xor_b32 s10, exec_lo, s10
; %bb.4916:                             ;   in Loop: Header=BB4_4718 Depth=2
	s_delay_alu instid0(VALU_DEP_2) | instskip(SKIP_2) | instid1(VALU_DEP_2)
	v_cmp_lt_u32_e32 vcc_lo, 0xffffff, v102
	v_sub_nc_u32_e32 v101, v112, v113
	v_cndmask_b32_e64 v112, 0, 1, vcc_lo
	v_add_co_ci_u32_e32 v101, vcc_lo, 0, v101, vcc_lo
	s_delay_alu instid0(VALU_DEP_2)
	v_lshrrev_b32_e32 v102, v112, v102
; %bb.4917:                             ;   in Loop: Header=BB4_4718 Depth=2
	s_and_not1_saveexec_b32 s10, s10
; %bb.4918:                             ;   in Loop: Header=BB4_4718 Depth=2
	s_delay_alu instid0(VALU_DEP_1)
	v_bfe_u32 v101, v102, 23, 1
; %bb.4919:                             ;   in Loop: Header=BB4_4718 Depth=2
	s_or_b32 exec_lo, exec_lo, s10
	v_lshrrev_b32_e32 v102, 20, v102
	s_delay_alu instid0(VALU_DEP_2) | instskip(SKIP_2) | instid1(VALU_DEP_2)
	v_cmp_gt_i32_e32 vcc_lo, 16, v101
	v_lshrrev_b32_e32 v103, 24, v103
	v_min_i32_e32 v112, 15, v101
	v_dual_cndmask_b32 v102, 7, v102 :: v_dual_and_b32 v103, 0x80, v103
	s_delay_alu instid0(VALU_DEP_1) | instskip(SKIP_1) | instid1(VALU_DEP_2)
	v_or_b32_e32 v101, v101, v102
	v_and_b32_e32 v113, 7, v102
	v_cmp_ne_u32_e32 vcc_lo, 0, v101
	v_lshlrev_b32_e32 v112, 3, v112
	s_delay_alu instid0(VALU_DEP_1) | instskip(NEXT) | instid1(VALU_DEP_1)
	v_and_b32_e32 v112, 0xf8, v112
	v_or3_b32 v102, v112, v103, v113
	s_delay_alu instid0(VALU_DEP_1)
	v_cndmask_b32_e32 v101, 0, v102, vcc_lo
.LBB4_4920:                             ;   in Loop: Header=BB4_4718 Depth=2
	s_or_b32 exec_lo, exec_lo, s27
.LBB4_4921:                             ;   in Loop: Header=BB4_4718 Depth=2
	s_delay_alu instid0(SALU_CYCLE_1)
	s_or_b32 exec_lo, exec_lo, s26
	v_lshrrev_b32_e32 v103, 24, v15
	v_lshrrev_b32_e32 v102, 24, v11
	s_and_b32 vcc_lo, exec_lo, s25
	s_cbranch_vccz .LBB4_4931
; %bb.4922:                             ;   in Loop: Header=BB4_4718 Depth=2
	s_mov_b32 s10, 0
	s_mov_b32 s27, exec_lo
                                        ; implicit-def: $sgpr26
	v_cmpx_lt_i16_e32 0x7f, v103
	s_xor_b32 s27, exec_lo, s27
	s_cbranch_execnz .LBB4_5292
; %bb.4923:                             ;   in Loop: Header=BB4_4718 Depth=2
	s_or_saveexec_b32 s27, s27
	v_mov_b32_e32 v112, s26
	s_xor_b32 exec_lo, exec_lo, s27
	s_cbranch_execnz .LBB4_5295
.LBB4_4924:                             ;   in Loop: Header=BB4_4718 Depth=2
	s_or_b32 exec_lo, exec_lo, s27
	s_and_saveexec_b32 s26, s10
	s_cbranch_execz .LBB4_4926
.LBB4_4925:                             ;   in Loop: Header=BB4_4718 Depth=2
	v_bfe_u32 v112, v15, 24, 3
	v_bfe_u32 v115, v15, 27, 4
	s_delay_alu instid0(VALU_DEP_2) | instskip(NEXT) | instid1(VALU_DEP_2)
	v_clz_i32_u32_e32 v113, v112
	v_cmp_eq_u32_e32 vcc_lo, 0, v115
	s_delay_alu instid0(VALU_DEP_2) | instskip(NEXT) | instid1(VALU_DEP_1)
	v_min_u32_e32 v113, 32, v113
	v_subrev_nc_u32_e32 v114, 28, v113
	v_sub_nc_u32_e32 v113, 29, v113
	s_delay_alu instid0(VALU_DEP_1) | instskip(NEXT) | instid1(VALU_DEP_1)
	v_dual_cndmask_b32 v113, v115, v113 :: v_dual_lshlrev_b32 v114, v114, v103
	v_and_b32_e32 v114, 7, v114
	s_delay_alu instid0(VALU_DEP_2) | instskip(NEXT) | instid1(VALU_DEP_2)
	v_lshl_add_u32 v113, v113, 23, 0x3b800000
	v_cndmask_b32_e32 v112, v112, v114, vcc_lo
	v_and_b32_e32 v114, 0x80000000, v15
	s_delay_alu instid0(VALU_DEP_2) | instskip(NEXT) | instid1(VALU_DEP_1)
	v_lshlrev_b32_e32 v112, 20, v112
	v_or3_b32 v112, v114, v113, v112
.LBB4_4926:                             ;   in Loop: Header=BB4_4718 Depth=2
	s_or_b32 exec_lo, exec_lo, s26
	s_mov_b32 s10, 0
	s_mov_b32 s27, exec_lo
                                        ; implicit-def: $sgpr26
	v_cmpx_lt_i16_e32 0x7f, v102
	s_xor_b32 s27, exec_lo, s27
	s_cbranch_execnz .LBB4_5296
; %bb.4927:                             ;   in Loop: Header=BB4_4718 Depth=2
	s_or_saveexec_b32 s27, s27
	v_mov_b32_e32 v113, s26
	s_xor_b32 exec_lo, exec_lo, s27
	s_cbranch_execnz .LBB4_5299
.LBB4_4928:                             ;   in Loop: Header=BB4_4718 Depth=2
	s_or_b32 exec_lo, exec_lo, s27
	s_and_saveexec_b32 s26, s10
	s_cbranch_execz .LBB4_4930
.LBB4_4929:                             ;   in Loop: Header=BB4_4718 Depth=2
	v_bfe_u32 v113, v11, 24, 3
	v_bfe_u32 v116, v11, 27, 4
	s_delay_alu instid0(VALU_DEP_2) | instskip(NEXT) | instid1(VALU_DEP_2)
	v_clz_i32_u32_e32 v114, v113
	v_cmp_eq_u32_e32 vcc_lo, 0, v116
	s_delay_alu instid0(VALU_DEP_2) | instskip(NEXT) | instid1(VALU_DEP_1)
	v_min_u32_e32 v114, 32, v114
	v_subrev_nc_u32_e32 v115, 28, v114
	v_sub_nc_u32_e32 v114, 29, v114
	s_delay_alu instid0(VALU_DEP_2) | instskip(NEXT) | instid1(VALU_DEP_1)
	v_lshlrev_b32_e32 v115, v115, v102
	v_dual_cndmask_b32 v114, v116, v114 :: v_dual_and_b32 v115, 7, v115
	s_delay_alu instid0(VALU_DEP_1) | instskip(NEXT) | instid1(VALU_DEP_2)
	v_lshl_add_u32 v114, v114, 23, 0x3b800000
	v_cndmask_b32_e32 v113, v113, v115, vcc_lo
	v_and_b32_e32 v115, 0x80000000, v11
	s_delay_alu instid0(VALU_DEP_2) | instskip(NEXT) | instid1(VALU_DEP_1)
	v_lshlrev_b32_e32 v113, 20, v113
	v_or3_b32 v113, v115, v114, v113
.LBB4_4930:                             ;   in Loop: Header=BB4_4718 Depth=2
	s_or_b32 exec_lo, exec_lo, s26
	s_delay_alu instid0(VALU_DEP_1) | instskip(SKIP_1) | instid1(VALU_DEP_1)
	v_dual_max_f32 v113, v113, v113 :: v_dual_max_f32 v112, v112, v112
	s_mov_b32 s10, 0
	v_max_f32_e32 v112, v112, v113
	s_branch .LBB4_4932
.LBB4_4931:                             ;   in Loop: Header=BB4_4718 Depth=2
	s_mov_b32 s10, -1
                                        ; implicit-def: $vgpr112
.LBB4_4932:                             ;   in Loop: Header=BB4_4718 Depth=2
	s_delay_alu instid0(SALU_CYCLE_1)
	s_and_b32 vcc_lo, exec_lo, s10
	s_cbranch_vccz .LBB4_4942
; %bb.4933:                             ;   in Loop: Header=BB4_4718 Depth=2
	s_mov_b32 s10, 0
	s_mov_b32 s27, exec_lo
                                        ; implicit-def: $sgpr26
	v_cmpx_lt_i16_e32 0x7f, v103
	s_xor_b32 s27, exec_lo, s27
	s_cbranch_execnz .LBB4_5300
; %bb.4934:                             ;   in Loop: Header=BB4_4718 Depth=2
	s_or_saveexec_b32 s27, s27
	v_mov_b32_e32 v112, s26
	s_xor_b32 exec_lo, exec_lo, s27
	s_cbranch_execnz .LBB4_5303
.LBB4_4935:                             ;   in Loop: Header=BB4_4718 Depth=2
	s_or_b32 exec_lo, exec_lo, s27
	s_and_saveexec_b32 s26, s10
	s_cbranch_execz .LBB4_4937
.LBB4_4936:                             ;   in Loop: Header=BB4_4718 Depth=2
	v_bfe_u32 v112, v15, 24, 3
	s_delay_alu instid0(VALU_DEP_1) | instskip(NEXT) | instid1(VALU_DEP_1)
	v_clz_i32_u32_e32 v113, v112
	v_min_u32_e32 v113, 32, v113
	s_delay_alu instid0(VALU_DEP_1) | instskip(SKIP_1) | instid1(VALU_DEP_2)
	v_subrev_nc_u32_e32 v114, 28, v113
	v_sub_nc_u32_e32 v113, 29, v113
	v_lshlrev_b32_e32 v103, v114, v103
	v_bfe_u32 v114, v15, 27, 4
	v_and_b32_e32 v15, 0x80000000, v15
	s_delay_alu instid0(VALU_DEP_3) | instskip(NEXT) | instid1(VALU_DEP_3)
	v_and_b32_e32 v103, 7, v103
	v_cmp_eq_u32_e32 vcc_lo, 0, v114
	v_cndmask_b32_e32 v113, v114, v113, vcc_lo
	s_delay_alu instid0(VALU_DEP_3) | instskip(NEXT) | instid1(VALU_DEP_2)
	v_cndmask_b32_e32 v103, v112, v103, vcc_lo
	v_lshl_add_u32 v112, v113, 23, 0x3b800000
	s_delay_alu instid0(VALU_DEP_2) | instskip(NEXT) | instid1(VALU_DEP_1)
	v_lshlrev_b32_e32 v103, 20, v103
	v_or3_b32 v112, v15, v112, v103
.LBB4_4937:                             ;   in Loop: Header=BB4_4718 Depth=2
	s_or_b32 exec_lo, exec_lo, s26
	s_mov_b32 s10, 0
	s_mov_b32 s27, exec_lo
                                        ; implicit-def: $sgpr26
	v_cmpx_lt_i16_e32 0x7f, v102
	s_xor_b32 s27, exec_lo, s27
	s_cbranch_execnz .LBB4_5304
; %bb.4938:                             ;   in Loop: Header=BB4_4718 Depth=2
	s_or_saveexec_b32 s27, s27
	v_mov_b32_e32 v15, s26
	s_xor_b32 exec_lo, exec_lo, s27
	s_cbranch_execnz .LBB4_5307
.LBB4_4939:                             ;   in Loop: Header=BB4_4718 Depth=2
	s_or_b32 exec_lo, exec_lo, s27
	s_and_saveexec_b32 s26, s10
	s_cbranch_execz .LBB4_4941
.LBB4_4940:                             ;   in Loop: Header=BB4_4718 Depth=2
	v_bfe_u32 v15, v11, 24, 3
	s_delay_alu instid0(VALU_DEP_1) | instskip(NEXT) | instid1(VALU_DEP_1)
	v_clz_i32_u32_e32 v103, v15
	v_min_u32_e32 v103, 32, v103
	s_delay_alu instid0(VALU_DEP_1) | instskip(SKIP_1) | instid1(VALU_DEP_2)
	v_subrev_nc_u32_e32 v113, 28, v103
	v_sub_nc_u32_e32 v103, 29, v103
	v_lshlrev_b32_e32 v102, v113, v102
	v_bfe_u32 v113, v11, 27, 4
	v_and_b32_e32 v11, 0x80000000, v11
	s_delay_alu instid0(VALU_DEP_2) | instskip(NEXT) | instid1(VALU_DEP_4)
	v_cmp_eq_u32_e32 vcc_lo, 0, v113
	v_dual_cndmask_b32 v103, v113, v103 :: v_dual_and_b32 v102, 7, v102
	s_delay_alu instid0(VALU_DEP_1) | instskip(NEXT) | instid1(VALU_DEP_2)
	v_cndmask_b32_e32 v15, v15, v102, vcc_lo
	v_lshl_add_u32 v102, v103, 23, 0x3b800000
	s_delay_alu instid0(VALU_DEP_2) | instskip(NEXT) | instid1(VALU_DEP_1)
	v_lshlrev_b32_e32 v15, 20, v15
	v_or3_b32 v15, v11, v102, v15
.LBB4_4941:                             ;   in Loop: Header=BB4_4718 Depth=2
	s_or_b32 exec_lo, exec_lo, s26
	s_delay_alu instid0(VALU_DEP_1) | instskip(SKIP_1) | instid1(VALU_DEP_1)
	v_max_f32_e32 v11, v15, v15
	v_max_f32_e32 v15, v112, v112
	v_min_f32_e32 v112, v15, v11
.LBB4_4942:                             ;   in Loop: Header=BB4_4718 Depth=2
	s_delay_alu instid0(VALU_DEP_1) | instskip(NEXT) | instid1(VALU_DEP_1)
	v_and_b32_e32 v11, 0x7f800000, v112
	v_cmp_ne_u32_e32 vcc_lo, 0x7f800000, v11
	v_mov_b32_e32 v11, 0x8000
	s_and_saveexec_b32 s26, vcc_lo
	s_cbranch_execz .LBB4_4950
; %bb.4943:                             ;   in Loop: Header=BB4_4718 Depth=2
	v_mov_b32_e32 v11, 0
	s_mov_b32 s27, exec_lo
	v_cmpx_ne_u32_e32 0, v112
	s_cbranch_execz .LBB4_4949
; %bb.4944:                             ;   in Loop: Header=BB4_4718 Depth=2
	v_bfe_u32 v11, v112, 23, 8
	s_delay_alu instid0(VALU_DEP_1) | instskip(SKIP_1) | instid1(VALU_DEP_2)
	v_sub_nc_u32_e32 v102, 0x78, v11
	v_cmp_gt_u32_e32 vcc_lo, 0x79, v11
	v_dual_cndmask_b32 v102, 0, v102 :: v_dual_and_b32 v15, 0x7fffff, v112
	s_delay_alu instid0(VALU_DEP_1) | instskip(SKIP_2) | instid1(VALU_DEP_4)
	v_or_b32_e32 v103, 0x800000, v15
	v_cmp_eq_u32_e32 vcc_lo, 0, v11
	v_add_nc_u32_e32 v11, 0xffffff89, v11
	v_cndmask_b32_e64 v102, v102, 0x77, vcc_lo
	s_delay_alu instid0(VALU_DEP_4) | instskip(NEXT) | instid1(VALU_DEP_3)
	v_cndmask_b32_e32 v15, v103, v15, vcc_lo
	v_cndmask_b32_e64 v11, v11, 0xffffff8a, vcc_lo
	s_delay_alu instid0(VALU_DEP_3) | instskip(NEXT) | instid1(VALU_DEP_3)
	v_lshl_add_u32 v103, 0x100000, v102, -1
	v_lshrrev_b32_e32 v113, v102, v15
	v_lshlrev_b32_e64 v115, v102, 0x80000
	s_delay_alu instid0(VALU_DEP_4) | instskip(NEXT) | instid1(VALU_DEP_4)
	v_add_nc_u32_e32 v102, v102, v11
	v_and_b32_e32 v15, v103, v15
	s_delay_alu instid0(VALU_DEP_4) | instskip(NEXT) | instid1(VALU_DEP_2)
	v_bfe_u32 v114, v113, 20, 1
	v_cmp_eq_u32_e64 s10, v15, v115
	s_delay_alu instid0(VALU_DEP_2) | instskip(NEXT) | instid1(VALU_DEP_1)
	v_add_nc_u32_e32 v103, -1, v114
	v_cndmask_b32_e64 v15, 0, v103, s10
	v_lshrrev_b32_e32 v103, 23, v113
	s_mov_b32 s10, exec_lo
	s_delay_alu instid0(VALU_DEP_2) | instskip(NEXT) | instid1(VALU_DEP_2)
	v_add_nc_u32_e32 v15, v15, v113
	v_xor_b32_e32 v103, 1, v103
	s_delay_alu instid0(VALU_DEP_2) | instskip(NEXT) | instid1(VALU_DEP_1)
	v_and_b32_e32 v11, 0xfffff, v15
	v_add_nc_u32_e32 v15, v11, v113
                                        ; implicit-def: $vgpr11
	s_delay_alu instid0(VALU_DEP_3)
	v_cmpx_ne_u32_e64 v102, v103
	s_xor_b32 s10, exec_lo, s10
; %bb.4945:                             ;   in Loop: Header=BB4_4718 Depth=2
	s_delay_alu instid0(VALU_DEP_2) | instskip(SKIP_2) | instid1(VALU_DEP_2)
	v_cmp_lt_u32_e32 vcc_lo, 0xffffff, v15
	v_sub_nc_u32_e32 v11, v102, v103
	v_cndmask_b32_e64 v102, 0, 1, vcc_lo
	v_add_co_ci_u32_e32 v11, vcc_lo, 0, v11, vcc_lo
	s_delay_alu instid0(VALU_DEP_2)
	v_lshrrev_b32_e32 v15, v102, v15
; %bb.4946:                             ;   in Loop: Header=BB4_4718 Depth=2
	s_and_not1_saveexec_b32 s10, s10
; %bb.4947:                             ;   in Loop: Header=BB4_4718 Depth=2
	s_delay_alu instid0(VALU_DEP_1)
	v_bfe_u32 v11, v15, 23, 1
; %bb.4948:                             ;   in Loop: Header=BB4_4718 Depth=2
	s_or_b32 exec_lo, exec_lo, s10
	v_lshrrev_b32_e32 v15, 20, v15
	s_delay_alu instid0(VALU_DEP_2) | instskip(SKIP_2) | instid1(VALU_DEP_2)
	v_cmp_gt_i32_e32 vcc_lo, 16, v11
	v_min_i32_e32 v102, 15, v11
	v_lshrrev_b32_e32 v103, 24, v112
	v_dual_cndmask_b32 v15, 7, v15 :: v_dual_lshlrev_b32 v102, 3, v102
	s_delay_alu instid0(VALU_DEP_2) | instskip(NEXT) | instid1(VALU_DEP_2)
	v_and_b32_e32 v103, 0x80, v103
	v_or_b32_e32 v11, v11, v15
	v_and_b32_e32 v112, 7, v15
	s_delay_alu instid0(VALU_DEP_2) | instskip(SKIP_1) | instid1(VALU_DEP_1)
	v_cmp_ne_u32_e32 vcc_lo, 0, v11
	v_and_b32_e32 v102, 0xf8, v102
	v_or3_b32 v102, v103, v102, v112
	s_delay_alu instid0(VALU_DEP_1) | instskip(NEXT) | instid1(VALU_DEP_1)
	v_lshlrev_b32_e32 v15, 8, v102
	v_cndmask_b32_e32 v11, 0, v15, vcc_lo
.LBB4_4949:                             ;   in Loop: Header=BB4_4718 Depth=2
	s_or_b32 exec_lo, exec_lo, s27
.LBB4_4950:                             ;   in Loop: Header=BB4_4718 Depth=2
	s_delay_alu instid0(SALU_CYCLE_1) | instskip(NEXT) | instid1(SALU_CYCLE_1)
	s_or_b32 exec_lo, exec_lo, s26
	s_and_b32 vcc_lo, exec_lo, s25
	s_cbranch_vccz .LBB4_4960
; %bb.4951:                             ;   in Loop: Header=BB4_4718 Depth=2
	v_and_b32_e32 v102, 0xff, v16
	s_mov_b32 s10, 0
	s_mov_b32 s27, exec_lo
                                        ; implicit-def: $sgpr26
	s_delay_alu instid0(VALU_DEP_1)
	v_cmpx_lt_i16_e32 0x7f, v102
	s_xor_b32 s27, exec_lo, s27
	s_cbranch_execnz .LBB4_5308
; %bb.4952:                             ;   in Loop: Header=BB4_4718 Depth=2
	s_or_saveexec_b32 s27, s27
	v_mov_b32_e32 v15, s26
	s_xor_b32 exec_lo, exec_lo, s27
	s_cbranch_execnz .LBB4_5311
.LBB4_4953:                             ;   in Loop: Header=BB4_4718 Depth=2
	s_or_b32 exec_lo, exec_lo, s27
	s_and_saveexec_b32 s26, s10
	s_cbranch_execz .LBB4_4955
.LBB4_4954:                             ;   in Loop: Header=BB4_4718 Depth=2
	v_bfe_u32 v112, v16, 3, 4
	v_lshlrev_b32_e32 v113, 24, v16
	s_delay_alu instid0(VALU_DEP_2) | instskip(SKIP_1) | instid1(VALU_DEP_1)
	v_cmp_eq_u32_e32 vcc_lo, 0, v112
	v_and_b32_e32 v15, 7, v16
	v_clz_i32_u32_e32 v102, v15
	s_delay_alu instid0(VALU_DEP_1) | instskip(NEXT) | instid1(VALU_DEP_1)
	v_min_u32_e32 v102, 32, v102
	v_subrev_nc_u32_e32 v103, 28, v102
	v_sub_nc_u32_e32 v102, 29, v102
	s_delay_alu instid0(VALU_DEP_1) | instskip(NEXT) | instid1(VALU_DEP_1)
	v_dual_cndmask_b32 v102, v112, v102 :: v_dual_lshlrev_b32 v103, v103, v16
	v_and_b32_e32 v103, 7, v103
	s_delay_alu instid0(VALU_DEP_2) | instskip(NEXT) | instid1(VALU_DEP_2)
	v_lshl_add_u32 v102, v102, 23, 0x3b800000
	v_cndmask_b32_e32 v15, v15, v103, vcc_lo
	v_and_b32_e32 v103, 0x80000000, v113
	s_delay_alu instid0(VALU_DEP_2) | instskip(NEXT) | instid1(VALU_DEP_1)
	v_lshlrev_b32_e32 v15, 20, v15
	v_or3_b32 v15, v103, v102, v15
.LBB4_4955:                             ;   in Loop: Header=BB4_4718 Depth=2
	s_or_b32 exec_lo, exec_lo, s26
	v_and_b32_e32 v103, 0xff, v12
	s_mov_b32 s10, 0
	s_mov_b32 s27, exec_lo
                                        ; implicit-def: $sgpr26
	s_delay_alu instid0(VALU_DEP_1)
	v_cmpx_lt_i16_e32 0x7f, v103
	s_xor_b32 s27, exec_lo, s27
	s_cbranch_execnz .LBB4_5312
; %bb.4956:                             ;   in Loop: Header=BB4_4718 Depth=2
	s_or_saveexec_b32 s27, s27
	v_mov_b32_e32 v102, s26
	s_xor_b32 exec_lo, exec_lo, s27
	s_cbranch_execnz .LBB4_5315
.LBB4_4957:                             ;   in Loop: Header=BB4_4718 Depth=2
	s_or_b32 exec_lo, exec_lo, s27
	s_and_saveexec_b32 s26, s10
	s_cbranch_execz .LBB4_4959
.LBB4_4958:                             ;   in Loop: Header=BB4_4718 Depth=2
	v_bfe_u32 v113, v12, 3, 4
	v_lshlrev_b32_e32 v114, 24, v12
	s_delay_alu instid0(VALU_DEP_2) | instskip(SKIP_1) | instid1(VALU_DEP_1)
	v_cmp_eq_u32_e32 vcc_lo, 0, v113
	v_and_b32_e32 v102, 7, v12
	v_clz_i32_u32_e32 v103, v102
	s_delay_alu instid0(VALU_DEP_1) | instskip(NEXT) | instid1(VALU_DEP_1)
	v_min_u32_e32 v103, 32, v103
	v_subrev_nc_u32_e32 v112, 28, v103
	v_sub_nc_u32_e32 v103, 29, v103
	s_delay_alu instid0(VALU_DEP_1) | instskip(NEXT) | instid1(VALU_DEP_1)
	v_dual_cndmask_b32 v103, v113, v103 :: v_dual_lshlrev_b32 v112, v112, v12
	v_and_b32_e32 v112, 7, v112
	s_delay_alu instid0(VALU_DEP_2) | instskip(NEXT) | instid1(VALU_DEP_2)
	v_lshl_add_u32 v103, v103, 23, 0x3b800000
	v_cndmask_b32_e32 v102, v102, v112, vcc_lo
	v_and_b32_e32 v112, 0x80000000, v114
	s_delay_alu instid0(VALU_DEP_2) | instskip(NEXT) | instid1(VALU_DEP_1)
	v_lshlrev_b32_e32 v102, 20, v102
	v_or3_b32 v102, v112, v103, v102
.LBB4_4959:                             ;   in Loop: Header=BB4_4718 Depth=2
	s_or_b32 exec_lo, exec_lo, s26
	s_delay_alu instid0(VALU_DEP_1) | instskip(SKIP_1) | instid1(VALU_DEP_1)
	v_dual_max_f32 v102, v102, v102 :: v_dual_max_f32 v15, v15, v15
	s_mov_b32 s10, 0
	v_max_f32_e32 v102, v15, v102
	s_branch .LBB4_4961
.LBB4_4960:                             ;   in Loop: Header=BB4_4718 Depth=2
	s_mov_b32 s10, -1
                                        ; implicit-def: $vgpr102
.LBB4_4961:                             ;   in Loop: Header=BB4_4718 Depth=2
	s_delay_alu instid0(SALU_CYCLE_1)
	s_and_b32 vcc_lo, exec_lo, s10
	s_cbranch_vccz .LBB4_4971
; %bb.4962:                             ;   in Loop: Header=BB4_4718 Depth=2
	v_and_b32_e32 v102, 0xff, v16
	s_mov_b32 s10, 0
	s_mov_b32 s27, exec_lo
                                        ; implicit-def: $sgpr26
	s_delay_alu instid0(VALU_DEP_1)
	v_cmpx_lt_i16_e32 0x7f, v102
	s_xor_b32 s27, exec_lo, s27
	s_cbranch_execnz .LBB4_5316
; %bb.4963:                             ;   in Loop: Header=BB4_4718 Depth=2
	s_or_saveexec_b32 s27, s27
	v_mov_b32_e32 v15, s26
	s_xor_b32 exec_lo, exec_lo, s27
	s_cbranch_execnz .LBB4_5319
.LBB4_4964:                             ;   in Loop: Header=BB4_4718 Depth=2
	s_or_b32 exec_lo, exec_lo, s27
	s_and_saveexec_b32 s26, s10
	s_cbranch_execz .LBB4_4966
.LBB4_4965:                             ;   in Loop: Header=BB4_4718 Depth=2
	v_bfe_u32 v112, v16, 3, 4
	v_lshlrev_b32_e32 v113, 24, v16
	s_delay_alu instid0(VALU_DEP_2) | instskip(SKIP_1) | instid1(VALU_DEP_1)
	v_cmp_eq_u32_e32 vcc_lo, 0, v112
	v_and_b32_e32 v15, 7, v16
	v_clz_i32_u32_e32 v102, v15
	s_delay_alu instid0(VALU_DEP_1) | instskip(NEXT) | instid1(VALU_DEP_1)
	v_min_u32_e32 v102, 32, v102
	v_subrev_nc_u32_e32 v103, 28, v102
	v_sub_nc_u32_e32 v102, 29, v102
	s_delay_alu instid0(VALU_DEP_1) | instskip(NEXT) | instid1(VALU_DEP_1)
	v_dual_cndmask_b32 v102, v112, v102 :: v_dual_lshlrev_b32 v103, v103, v16
	v_and_b32_e32 v103, 7, v103
	s_delay_alu instid0(VALU_DEP_2) | instskip(NEXT) | instid1(VALU_DEP_2)
	v_lshl_add_u32 v102, v102, 23, 0x3b800000
	v_cndmask_b32_e32 v15, v15, v103, vcc_lo
	v_and_b32_e32 v103, 0x80000000, v113
	s_delay_alu instid0(VALU_DEP_2) | instskip(NEXT) | instid1(VALU_DEP_1)
	v_lshlrev_b32_e32 v15, 20, v15
	v_or3_b32 v15, v103, v102, v15
.LBB4_4966:                             ;   in Loop: Header=BB4_4718 Depth=2
	s_or_b32 exec_lo, exec_lo, s26
	v_and_b32_e32 v103, 0xff, v12
	s_mov_b32 s10, 0
	s_mov_b32 s27, exec_lo
                                        ; implicit-def: $sgpr26
	s_delay_alu instid0(VALU_DEP_1)
	v_cmpx_lt_i16_e32 0x7f, v103
	s_xor_b32 s27, exec_lo, s27
	s_cbranch_execnz .LBB4_5320
; %bb.4967:                             ;   in Loop: Header=BB4_4718 Depth=2
	s_or_saveexec_b32 s27, s27
	v_mov_b32_e32 v102, s26
	s_xor_b32 exec_lo, exec_lo, s27
	s_cbranch_execnz .LBB4_5323
.LBB4_4968:                             ;   in Loop: Header=BB4_4718 Depth=2
	s_or_b32 exec_lo, exec_lo, s27
	s_and_saveexec_b32 s26, s10
	s_cbranch_execz .LBB4_4970
.LBB4_4969:                             ;   in Loop: Header=BB4_4718 Depth=2
	v_bfe_u32 v113, v12, 3, 4
	v_lshlrev_b32_e32 v114, 24, v12
	s_delay_alu instid0(VALU_DEP_2) | instskip(SKIP_1) | instid1(VALU_DEP_1)
	v_cmp_eq_u32_e32 vcc_lo, 0, v113
	v_and_b32_e32 v102, 7, v12
	v_clz_i32_u32_e32 v103, v102
	s_delay_alu instid0(VALU_DEP_1) | instskip(NEXT) | instid1(VALU_DEP_1)
	v_min_u32_e32 v103, 32, v103
	v_subrev_nc_u32_e32 v112, 28, v103
	v_sub_nc_u32_e32 v103, 29, v103
	s_delay_alu instid0(VALU_DEP_1) | instskip(NEXT) | instid1(VALU_DEP_1)
	v_dual_cndmask_b32 v103, v113, v103 :: v_dual_lshlrev_b32 v112, v112, v12
	v_and_b32_e32 v112, 7, v112
	s_delay_alu instid0(VALU_DEP_2) | instskip(NEXT) | instid1(VALU_DEP_2)
	v_lshl_add_u32 v103, v103, 23, 0x3b800000
	v_cndmask_b32_e32 v102, v102, v112, vcc_lo
	v_and_b32_e32 v112, 0x80000000, v114
	s_delay_alu instid0(VALU_DEP_2) | instskip(NEXT) | instid1(VALU_DEP_1)
	v_lshlrev_b32_e32 v102, 20, v102
	v_or3_b32 v102, v112, v103, v102
.LBB4_4970:                             ;   in Loop: Header=BB4_4718 Depth=2
	s_or_b32 exec_lo, exec_lo, s26
	s_delay_alu instid0(VALU_DEP_1) | instskip(NEXT) | instid1(VALU_DEP_1)
	v_dual_max_f32 v102, v102, v102 :: v_dual_max_f32 v15, v15, v15
	v_min_f32_e32 v102, v15, v102
.LBB4_4971:                             ;   in Loop: Header=BB4_4718 Depth=2
	s_delay_alu instid0(VALU_DEP_1) | instskip(NEXT) | instid1(VALU_DEP_1)
	v_and_b32_e32 v15, 0x7f800000, v102
	v_cmp_ne_u32_e32 vcc_lo, 0x7f800000, v15
	v_mov_b32_e32 v15, 0x80
	s_and_saveexec_b32 s26, vcc_lo
	s_cbranch_execz .LBB4_4979
; %bb.4972:                             ;   in Loop: Header=BB4_4718 Depth=2
	v_mov_b32_e32 v15, 0
	s_mov_b32 s27, exec_lo
	v_cmpx_ne_u32_e32 0, v102
	s_cbranch_execz .LBB4_4978
; %bb.4973:                             ;   in Loop: Header=BB4_4718 Depth=2
	v_bfe_u32 v15, v102, 23, 8
	s_delay_alu instid0(VALU_DEP_1) | instskip(SKIP_1) | instid1(VALU_DEP_2)
	v_sub_nc_u32_e32 v112, 0x78, v15
	v_cmp_gt_u32_e32 vcc_lo, 0x79, v15
	v_dual_cndmask_b32 v112, 0, v112 :: v_dual_and_b32 v103, 0x7fffff, v102
	s_delay_alu instid0(VALU_DEP_1) | instskip(SKIP_2) | instid1(VALU_DEP_4)
	v_or_b32_e32 v113, 0x800000, v103
	v_cmp_eq_u32_e32 vcc_lo, 0, v15
	v_add_nc_u32_e32 v15, 0xffffff89, v15
	v_cndmask_b32_e64 v112, v112, 0x77, vcc_lo
	s_delay_alu instid0(VALU_DEP_4) | instskip(NEXT) | instid1(VALU_DEP_3)
	v_cndmask_b32_e32 v103, v113, v103, vcc_lo
	v_cndmask_b32_e64 v15, v15, 0xffffff8a, vcc_lo
	s_delay_alu instid0(VALU_DEP_3) | instskip(NEXT) | instid1(VALU_DEP_3)
	v_lshl_add_u32 v113, 0x100000, v112, -1
	v_lshrrev_b32_e32 v114, v112, v103
	v_lshlrev_b32_e64 v116, v112, 0x80000
	s_delay_alu instid0(VALU_DEP_4) | instskip(NEXT) | instid1(VALU_DEP_4)
	v_add_nc_u32_e32 v112, v112, v15
	v_and_b32_e32 v103, v113, v103
	s_delay_alu instid0(VALU_DEP_4) | instskip(NEXT) | instid1(VALU_DEP_2)
	v_bfe_u32 v115, v114, 20, 1
	v_cmp_eq_u32_e64 s10, v103, v116
	s_delay_alu instid0(VALU_DEP_2) | instskip(NEXT) | instid1(VALU_DEP_1)
	v_add_nc_u32_e32 v113, -1, v115
	v_cndmask_b32_e64 v103, 0, v113, s10
	v_lshrrev_b32_e32 v113, 23, v114
	s_mov_b32 s10, exec_lo
	s_delay_alu instid0(VALU_DEP_2) | instskip(NEXT) | instid1(VALU_DEP_2)
	v_add_nc_u32_e32 v103, v103, v114
	v_xor_b32_e32 v113, 1, v113
	s_delay_alu instid0(VALU_DEP_2) | instskip(NEXT) | instid1(VALU_DEP_1)
	v_and_b32_e32 v15, 0xfffff, v103
	v_add_nc_u32_e32 v103, v15, v114
                                        ; implicit-def: $vgpr15
	s_delay_alu instid0(VALU_DEP_3)
	v_cmpx_ne_u32_e64 v112, v113
	s_xor_b32 s10, exec_lo, s10
; %bb.4974:                             ;   in Loop: Header=BB4_4718 Depth=2
	s_delay_alu instid0(VALU_DEP_2) | instskip(SKIP_2) | instid1(VALU_DEP_2)
	v_cmp_lt_u32_e32 vcc_lo, 0xffffff, v103
	v_sub_nc_u32_e32 v15, v112, v113
	v_cndmask_b32_e64 v112, 0, 1, vcc_lo
	v_add_co_ci_u32_e32 v15, vcc_lo, 0, v15, vcc_lo
	s_delay_alu instid0(VALU_DEP_2)
	v_lshrrev_b32_e32 v103, v112, v103
; %bb.4975:                             ;   in Loop: Header=BB4_4718 Depth=2
	s_and_not1_saveexec_b32 s10, s10
; %bb.4976:                             ;   in Loop: Header=BB4_4718 Depth=2
	s_delay_alu instid0(VALU_DEP_1)
	v_bfe_u32 v15, v103, 23, 1
; %bb.4977:                             ;   in Loop: Header=BB4_4718 Depth=2
	s_or_b32 exec_lo, exec_lo, s10
	v_lshrrev_b32_e32 v103, 20, v103
	s_delay_alu instid0(VALU_DEP_2) | instskip(SKIP_2) | instid1(VALU_DEP_2)
	v_cmp_gt_i32_e32 vcc_lo, 16, v15
	v_lshrrev_b32_e32 v102, 24, v102
	v_min_i32_e32 v112, 15, v15
	v_dual_cndmask_b32 v103, 7, v103 :: v_dual_and_b32 v102, 0x80, v102
	s_delay_alu instid0(VALU_DEP_1) | instskip(SKIP_1) | instid1(VALU_DEP_2)
	v_or_b32_e32 v15, v15, v103
	v_and_b32_e32 v113, 7, v103
	v_cmp_ne_u32_e32 vcc_lo, 0, v15
	v_lshlrev_b32_e32 v112, 3, v112
	s_delay_alu instid0(VALU_DEP_1) | instskip(NEXT) | instid1(VALU_DEP_1)
	v_or3_b32 v102, v112, v102, v113
	v_cndmask_b32_e32 v15, 0, v102, vcc_lo
.LBB4_4978:                             ;   in Loop: Header=BB4_4718 Depth=2
	s_or_b32 exec_lo, exec_lo, s27
.LBB4_4979:                             ;   in Loop: Header=BB4_4718 Depth=2
	s_delay_alu instid0(SALU_CYCLE_1)
	s_or_b32 exec_lo, exec_lo, s26
	v_lshrrev_b16 v103, 8, v16
	v_lshrrev_b16 v102, 8, v12
	s_and_b32 vcc_lo, exec_lo, s25
	s_cbranch_vccz .LBB4_4989
; %bb.4980:                             ;   in Loop: Header=BB4_4718 Depth=2
	s_mov_b32 s10, 0
	s_mov_b32 s27, exec_lo
                                        ; implicit-def: $sgpr26
	v_cmpx_lt_i16_e32 0x7f, v103
	s_xor_b32 s27, exec_lo, s27
	s_cbranch_execnz .LBB4_5324
; %bb.4981:                             ;   in Loop: Header=BB4_4718 Depth=2
	s_or_saveexec_b32 s27, s27
	v_mov_b32_e32 v112, s26
	s_xor_b32 exec_lo, exec_lo, s27
	s_cbranch_execnz .LBB4_5327
.LBB4_4982:                             ;   in Loop: Header=BB4_4718 Depth=2
	s_or_b32 exec_lo, exec_lo, s27
	s_and_saveexec_b32 s26, s10
	s_cbranch_execz .LBB4_4984
.LBB4_4983:                             ;   in Loop: Header=BB4_4718 Depth=2
	v_and_b32_e32 v112, 0xffff, v103
	s_delay_alu instid0(VALU_DEP_1) | instskip(NEXT) | instid1(VALU_DEP_1)
	v_and_b32_e32 v113, 7, v112
	v_clz_i32_u32_e32 v114, v113
	s_delay_alu instid0(VALU_DEP_1) | instskip(NEXT) | instid1(VALU_DEP_1)
	v_min_u32_e32 v114, 32, v114
	v_subrev_nc_u32_e32 v115, 28, v114
	v_sub_nc_u32_e32 v114, 29, v114
	s_delay_alu instid0(VALU_DEP_2) | instskip(SKIP_1) | instid1(VALU_DEP_2)
	v_lshlrev_b32_e32 v115, v115, v112
	v_bfe_u32 v112, v112, 3, 4
	v_and_b32_e32 v115, 7, v115
	s_delay_alu instid0(VALU_DEP_2) | instskip(SKIP_1) | instid1(VALU_DEP_3)
	v_cmp_eq_u32_e32 vcc_lo, 0, v112
	v_cndmask_b32_e32 v112, v112, v114, vcc_lo
	v_dual_cndmask_b32 v113, v113, v115 :: v_dual_lshlrev_b32 v116, 16, v16
	s_delay_alu instid0(VALU_DEP_2) | instskip(NEXT) | instid1(VALU_DEP_2)
	v_lshl_add_u32 v112, v112, 23, 0x3b800000
	v_and_b32_e32 v114, 0x80000000, v116
	s_delay_alu instid0(VALU_DEP_3) | instskip(NEXT) | instid1(VALU_DEP_1)
	v_lshlrev_b32_e32 v113, 20, v113
	v_or3_b32 v112, v114, v112, v113
.LBB4_4984:                             ;   in Loop: Header=BB4_4718 Depth=2
	s_or_b32 exec_lo, exec_lo, s26
	s_mov_b32 s10, 0
	s_mov_b32 s27, exec_lo
                                        ; implicit-def: $sgpr26
	v_cmpx_lt_i16_e32 0x7f, v102
	s_xor_b32 s27, exec_lo, s27
	s_cbranch_execnz .LBB4_5328
; %bb.4985:                             ;   in Loop: Header=BB4_4718 Depth=2
	s_or_saveexec_b32 s27, s27
	v_mov_b32_e32 v113, s26
	s_xor_b32 exec_lo, exec_lo, s27
	s_cbranch_execnz .LBB4_5331
.LBB4_4986:                             ;   in Loop: Header=BB4_4718 Depth=2
	s_or_b32 exec_lo, exec_lo, s27
	s_and_saveexec_b32 s26, s10
	s_cbranch_execz .LBB4_4988
.LBB4_4987:                             ;   in Loop: Header=BB4_4718 Depth=2
	v_and_b32_e32 v113, 0xffff, v102
	v_lshlrev_b32_e32 v117, 16, v12
	s_delay_alu instid0(VALU_DEP_2) | instskip(NEXT) | instid1(VALU_DEP_1)
	v_and_b32_e32 v114, 7, v113
	v_clz_i32_u32_e32 v115, v114
	s_delay_alu instid0(VALU_DEP_1) | instskip(NEXT) | instid1(VALU_DEP_1)
	v_min_u32_e32 v115, 32, v115
	v_subrev_nc_u32_e32 v116, 28, v115
	v_sub_nc_u32_e32 v115, 29, v115
	s_delay_alu instid0(VALU_DEP_2) | instskip(SKIP_1) | instid1(VALU_DEP_2)
	v_lshlrev_b32_e32 v116, v116, v113
	v_bfe_u32 v113, v113, 3, 4
	v_and_b32_e32 v116, 7, v116
	s_delay_alu instid0(VALU_DEP_2) | instskip(NEXT) | instid1(VALU_DEP_2)
	v_cmp_eq_u32_e32 vcc_lo, 0, v113
	v_dual_cndmask_b32 v113, v113, v115 :: v_dual_cndmask_b32 v114, v114, v116
	v_and_b32_e32 v115, 0x80000000, v117
	s_delay_alu instid0(VALU_DEP_2) | instskip(NEXT) | instid1(VALU_DEP_3)
	v_lshl_add_u32 v113, v113, 23, 0x3b800000
	v_lshlrev_b32_e32 v114, 20, v114
	s_delay_alu instid0(VALU_DEP_1)
	v_or3_b32 v113, v115, v113, v114
.LBB4_4988:                             ;   in Loop: Header=BB4_4718 Depth=2
	s_or_b32 exec_lo, exec_lo, s26
	s_delay_alu instid0(VALU_DEP_1) | instskip(SKIP_1) | instid1(VALU_DEP_1)
	v_dual_max_f32 v113, v113, v113 :: v_dual_max_f32 v112, v112, v112
	s_mov_b32 s10, 0
	v_max_f32_e32 v112, v112, v113
	s_branch .LBB4_4990
.LBB4_4989:                             ;   in Loop: Header=BB4_4718 Depth=2
	s_mov_b32 s10, -1
                                        ; implicit-def: $vgpr112
.LBB4_4990:                             ;   in Loop: Header=BB4_4718 Depth=2
	s_delay_alu instid0(SALU_CYCLE_1)
	s_and_b32 vcc_lo, exec_lo, s10
	s_cbranch_vccz .LBB4_5000
; %bb.4991:                             ;   in Loop: Header=BB4_4718 Depth=2
	s_mov_b32 s10, 0
	s_mov_b32 s27, exec_lo
                                        ; implicit-def: $sgpr26
	v_cmpx_lt_i16_e32 0x7f, v103
	s_xor_b32 s27, exec_lo, s27
	s_cbranch_execnz .LBB4_5332
; %bb.4992:                             ;   in Loop: Header=BB4_4718 Depth=2
	s_or_saveexec_b32 s27, s27
	v_mov_b32_e32 v112, s26
	s_xor_b32 exec_lo, exec_lo, s27
	s_cbranch_execnz .LBB4_5335
.LBB4_4993:                             ;   in Loop: Header=BB4_4718 Depth=2
	s_or_b32 exec_lo, exec_lo, s27
	s_and_saveexec_b32 s26, s10
	s_cbranch_execz .LBB4_4995
.LBB4_4994:                             ;   in Loop: Header=BB4_4718 Depth=2
	v_and_b32_e32 v103, 0xffff, v103
	v_lshlrev_b32_e32 v115, 16, v16
	s_delay_alu instid0(VALU_DEP_2) | instskip(NEXT) | instid1(VALU_DEP_1)
	v_and_b32_e32 v112, 7, v103
	v_clz_i32_u32_e32 v113, v112
	s_delay_alu instid0(VALU_DEP_1) | instskip(NEXT) | instid1(VALU_DEP_1)
	v_min_u32_e32 v113, 32, v113
	v_subrev_nc_u32_e32 v114, 28, v113
	v_sub_nc_u32_e32 v113, 29, v113
	s_delay_alu instid0(VALU_DEP_2) | instskip(SKIP_1) | instid1(VALU_DEP_2)
	v_lshlrev_b32_e32 v114, v114, v103
	v_bfe_u32 v103, v103, 3, 4
	v_and_b32_e32 v114, 7, v114
	s_delay_alu instid0(VALU_DEP_2) | instskip(NEXT) | instid1(VALU_DEP_2)
	v_cmp_eq_u32_e32 vcc_lo, 0, v103
	v_dual_cndmask_b32 v103, v103, v113 :: v_dual_cndmask_b32 v112, v112, v114
	v_and_b32_e32 v113, 0x80000000, v115
	s_delay_alu instid0(VALU_DEP_2) | instskip(NEXT) | instid1(VALU_DEP_3)
	v_lshl_add_u32 v103, v103, 23, 0x3b800000
	v_lshlrev_b32_e32 v112, 20, v112
	s_delay_alu instid0(VALU_DEP_1)
	v_or3_b32 v112, v113, v103, v112
.LBB4_4995:                             ;   in Loop: Header=BB4_4718 Depth=2
	s_or_b32 exec_lo, exec_lo, s26
	s_mov_b32 s10, 0
	s_mov_b32 s27, exec_lo
                                        ; implicit-def: $sgpr26
	v_cmpx_lt_i16_e32 0x7f, v102
	s_xor_b32 s27, exec_lo, s27
	s_cbranch_execnz .LBB4_5336
; %bb.4996:                             ;   in Loop: Header=BB4_4718 Depth=2
	s_or_saveexec_b32 s27, s27
	v_mov_b32_e32 v103, s26
	s_xor_b32 exec_lo, exec_lo, s27
	s_cbranch_execnz .LBB4_5339
.LBB4_4997:                             ;   in Loop: Header=BB4_4718 Depth=2
	s_or_b32 exec_lo, exec_lo, s27
	s_and_saveexec_b32 s26, s10
	s_cbranch_execz .LBB4_4999
.LBB4_4998:                             ;   in Loop: Header=BB4_4718 Depth=2
	v_and_b32_e32 v102, 0xffff, v102
	v_lshlrev_b32_e32 v115, 16, v12
	s_delay_alu instid0(VALU_DEP_2) | instskip(NEXT) | instid1(VALU_DEP_1)
	v_and_b32_e32 v103, 7, v102
	v_clz_i32_u32_e32 v113, v103
	s_delay_alu instid0(VALU_DEP_1) | instskip(NEXT) | instid1(VALU_DEP_1)
	v_min_u32_e32 v113, 32, v113
	v_subrev_nc_u32_e32 v114, 28, v113
	v_sub_nc_u32_e32 v113, 29, v113
	s_delay_alu instid0(VALU_DEP_2) | instskip(SKIP_1) | instid1(VALU_DEP_2)
	v_lshlrev_b32_e32 v114, v114, v102
	v_bfe_u32 v102, v102, 3, 4
	v_and_b32_e32 v114, 7, v114
	s_delay_alu instid0(VALU_DEP_2) | instskip(NEXT) | instid1(VALU_DEP_2)
	v_cmp_eq_u32_e32 vcc_lo, 0, v102
	v_dual_cndmask_b32 v102, v102, v113 :: v_dual_cndmask_b32 v103, v103, v114
	v_and_b32_e32 v113, 0x80000000, v115
	s_delay_alu instid0(VALU_DEP_2) | instskip(NEXT) | instid1(VALU_DEP_3)
	v_lshl_add_u32 v102, v102, 23, 0x3b800000
	v_lshlrev_b32_e32 v103, 20, v103
	s_delay_alu instid0(VALU_DEP_1)
	v_or3_b32 v103, v113, v102, v103
.LBB4_4999:                             ;   in Loop: Header=BB4_4718 Depth=2
	s_or_b32 exec_lo, exec_lo, s26
	s_delay_alu instid0(VALU_DEP_1) | instskip(NEXT) | instid1(VALU_DEP_1)
	v_dual_max_f32 v102, v103, v103 :: v_dual_max_f32 v103, v112, v112
	v_min_f32_e32 v112, v103, v102
.LBB4_5000:                             ;   in Loop: Header=BB4_4718 Depth=2
	s_delay_alu instid0(VALU_DEP_1) | instskip(NEXT) | instid1(VALU_DEP_1)
	v_and_b32_e32 v102, 0x7f800000, v112
	v_cmp_ne_u32_e32 vcc_lo, 0x7f800000, v102
	v_mov_b32_e32 v102, 0x80
	s_and_saveexec_b32 s26, vcc_lo
	s_cbranch_execz .LBB4_5008
; %bb.5001:                             ;   in Loop: Header=BB4_4718 Depth=2
	v_mov_b32_e32 v102, 0
	s_mov_b32 s27, exec_lo
	v_cmpx_ne_u32_e32 0, v112
	s_cbranch_execz .LBB4_5007
; %bb.5002:                             ;   in Loop: Header=BB4_4718 Depth=2
	v_bfe_u32 v102, v112, 23, 8
	v_and_b32_e32 v103, 0x7fffff, v112
	s_delay_alu instid0(VALU_DEP_2) | instskip(SKIP_1) | instid1(VALU_DEP_3)
	v_sub_nc_u32_e32 v113, 0x78, v102
	v_cmp_gt_u32_e32 vcc_lo, 0x79, v102
	v_or_b32_e32 v114, 0x800000, v103
	s_delay_alu instid0(VALU_DEP_3) | instskip(SKIP_2) | instid1(VALU_DEP_3)
	v_cndmask_b32_e32 v113, 0, v113, vcc_lo
	v_cmp_eq_u32_e32 vcc_lo, 0, v102
	v_add_nc_u32_e32 v102, 0xffffff89, v102
	v_cndmask_b32_e64 v113, v113, 0x77, vcc_lo
	v_cndmask_b32_e32 v103, v114, v103, vcc_lo
	s_delay_alu instid0(VALU_DEP_3) | instskip(NEXT) | instid1(VALU_DEP_3)
	v_cndmask_b32_e64 v102, v102, 0xffffff8a, vcc_lo
	v_lshl_add_u32 v114, 0x100000, v113, -1
	s_delay_alu instid0(VALU_DEP_3) | instskip(SKIP_1) | instid1(VALU_DEP_4)
	v_lshrrev_b32_e32 v115, v113, v103
	v_lshlrev_b32_e64 v117, v113, 0x80000
	v_add_nc_u32_e32 v113, v113, v102
	s_delay_alu instid0(VALU_DEP_4) | instskip(NEXT) | instid1(VALU_DEP_4)
	v_and_b32_e32 v103, v114, v103
	v_bfe_u32 v116, v115, 20, 1
	s_delay_alu instid0(VALU_DEP_2) | instskip(NEXT) | instid1(VALU_DEP_2)
	v_cmp_eq_u32_e64 s10, v103, v117
	v_add_nc_u32_e32 v114, -1, v116
	s_delay_alu instid0(VALU_DEP_1) | instskip(SKIP_2) | instid1(VALU_DEP_2)
	v_cndmask_b32_e64 v103, 0, v114, s10
	v_lshrrev_b32_e32 v114, 23, v115
	s_mov_b32 s10, exec_lo
	v_add_nc_u32_e32 v103, v103, v115
	s_delay_alu instid0(VALU_DEP_2) | instskip(NEXT) | instid1(VALU_DEP_2)
	v_xor_b32_e32 v114, 1, v114
	v_and_b32_e32 v102, 0xfffff, v103
	s_delay_alu instid0(VALU_DEP_1) | instskip(NEXT) | instid1(VALU_DEP_3)
	v_add_nc_u32_e32 v103, v102, v115
                                        ; implicit-def: $vgpr102
	v_cmpx_ne_u32_e64 v113, v114
	s_xor_b32 s10, exec_lo, s10
; %bb.5003:                             ;   in Loop: Header=BB4_4718 Depth=2
	s_delay_alu instid0(VALU_DEP_2) | instskip(SKIP_2) | instid1(VALU_DEP_2)
	v_cmp_lt_u32_e32 vcc_lo, 0xffffff, v103
	v_sub_nc_u32_e32 v102, v113, v114
	v_cndmask_b32_e64 v113, 0, 1, vcc_lo
	v_add_co_ci_u32_e32 v102, vcc_lo, 0, v102, vcc_lo
	s_delay_alu instid0(VALU_DEP_2)
	v_lshrrev_b32_e32 v103, v113, v103
; %bb.5004:                             ;   in Loop: Header=BB4_4718 Depth=2
	s_and_not1_saveexec_b32 s10, s10
; %bb.5005:                             ;   in Loop: Header=BB4_4718 Depth=2
	s_delay_alu instid0(VALU_DEP_1)
	v_bfe_u32 v102, v103, 23, 1
; %bb.5006:                             ;   in Loop: Header=BB4_4718 Depth=2
	s_or_b32 exec_lo, exec_lo, s10
	v_lshrrev_b32_e32 v103, 20, v103
	s_delay_alu instid0(VALU_DEP_2) | instskip(SKIP_2) | instid1(VALU_DEP_2)
	v_cmp_gt_i32_e32 vcc_lo, 16, v102
	v_lshrrev_b32_e32 v112, 24, v112
	v_min_i32_e32 v113, 15, v102
	v_dual_cndmask_b32 v103, 7, v103 :: v_dual_and_b32 v112, 0x80, v112
	s_delay_alu instid0(VALU_DEP_1) | instskip(SKIP_1) | instid1(VALU_DEP_2)
	v_or_b32_e32 v102, v102, v103
	v_and_b32_e32 v114, 7, v103
	v_cmp_ne_u32_e32 vcc_lo, 0, v102
	v_lshlrev_b32_e32 v113, 3, v113
	s_delay_alu instid0(VALU_DEP_1) | instskip(NEXT) | instid1(VALU_DEP_1)
	v_or3_b32 v103, v113, v112, v114
	v_cndmask_b32_e32 v102, 0, v103, vcc_lo
.LBB4_5007:                             ;   in Loop: Header=BB4_4718 Depth=2
	s_or_b32 exec_lo, exec_lo, s27
.LBB4_5008:                             ;   in Loop: Header=BB4_4718 Depth=2
	s_delay_alu instid0(SALU_CYCLE_1)
	s_or_b32 exec_lo, exec_lo, s26
	v_lshrrev_b32_e32 v112, 16, v16
	v_lshrrev_b32_e32 v103, 16, v12
	s_and_b32 vcc_lo, exec_lo, s25
	s_cbranch_vccz .LBB4_5018
; %bb.5009:                             ;   in Loop: Header=BB4_4718 Depth=2
	s_delay_alu instid0(VALU_DEP_2) | instskip(SKIP_2) | instid1(VALU_DEP_1)
	v_and_b32_e32 v114, 0xff, v112
	s_mov_b32 s10, 0
	s_mov_b32 s27, exec_lo
                                        ; implicit-def: $sgpr26
	v_cmpx_lt_i16_e32 0x7f, v114
	s_xor_b32 s27, exec_lo, s27
	s_cbranch_execnz .LBB4_5340
; %bb.5010:                             ;   in Loop: Header=BB4_4718 Depth=2
	s_or_saveexec_b32 s27, s27
	v_mov_b32_e32 v113, s26
	s_xor_b32 exec_lo, exec_lo, s27
	s_cbranch_execnz .LBB4_5343
.LBB4_5011:                             ;   in Loop: Header=BB4_4718 Depth=2
	s_or_b32 exec_lo, exec_lo, s27
	s_and_saveexec_b32 s26, s10
	s_cbranch_execz .LBB4_5013
.LBB4_5012:                             ;   in Loop: Header=BB4_4718 Depth=2
	v_bfe_u32 v113, v16, 16, 3
	v_bfe_u32 v116, v16, 19, 4
	v_lshlrev_b32_e32 v117, 24, v112
	s_delay_alu instid0(VALU_DEP_3) | instskip(NEXT) | instid1(VALU_DEP_3)
	v_clz_i32_u32_e32 v114, v113
	v_cmp_eq_u32_e32 vcc_lo, 0, v116
	s_delay_alu instid0(VALU_DEP_2) | instskip(NEXT) | instid1(VALU_DEP_1)
	v_min_u32_e32 v114, 32, v114
	v_subrev_nc_u32_e32 v115, 28, v114
	v_sub_nc_u32_e32 v114, 29, v114
	s_delay_alu instid0(VALU_DEP_1) | instskip(NEXT) | instid1(VALU_DEP_1)
	v_dual_cndmask_b32 v114, v116, v114 :: v_dual_lshlrev_b32 v115, v115, v112
	v_and_b32_e32 v115, 7, v115
	s_delay_alu instid0(VALU_DEP_2) | instskip(NEXT) | instid1(VALU_DEP_2)
	v_lshl_add_u32 v114, v114, 23, 0x3b800000
	v_cndmask_b32_e32 v113, v113, v115, vcc_lo
	v_and_b32_e32 v115, 0x80000000, v117
	s_delay_alu instid0(VALU_DEP_2) | instskip(NEXT) | instid1(VALU_DEP_1)
	v_lshlrev_b32_e32 v113, 20, v113
	v_or3_b32 v113, v115, v114, v113
.LBB4_5013:                             ;   in Loop: Header=BB4_4718 Depth=2
	s_or_b32 exec_lo, exec_lo, s26
	v_and_b32_e32 v115, 0xff, v103
	s_mov_b32 s10, 0
	s_mov_b32 s27, exec_lo
                                        ; implicit-def: $sgpr26
	s_delay_alu instid0(VALU_DEP_1)
	v_cmpx_lt_i16_e32 0x7f, v115
	s_xor_b32 s27, exec_lo, s27
	s_cbranch_execnz .LBB4_5344
; %bb.5014:                             ;   in Loop: Header=BB4_4718 Depth=2
	s_or_saveexec_b32 s27, s27
	v_mov_b32_e32 v114, s26
	s_xor_b32 exec_lo, exec_lo, s27
	s_cbranch_execnz .LBB4_5347
.LBB4_5015:                             ;   in Loop: Header=BB4_4718 Depth=2
	s_or_b32 exec_lo, exec_lo, s27
	s_and_saveexec_b32 s26, s10
	s_cbranch_execz .LBB4_5017
.LBB4_5016:                             ;   in Loop: Header=BB4_4718 Depth=2
	v_bfe_u32 v114, v12, 16, 3
	v_bfe_u32 v117, v12, 19, 4
	v_lshlrev_b32_e32 v118, 24, v103
	s_delay_alu instid0(VALU_DEP_3) | instskip(NEXT) | instid1(VALU_DEP_3)
	v_clz_i32_u32_e32 v115, v114
	v_cmp_eq_u32_e32 vcc_lo, 0, v117
	s_delay_alu instid0(VALU_DEP_2) | instskip(NEXT) | instid1(VALU_DEP_1)
	v_min_u32_e32 v115, 32, v115
	v_subrev_nc_u32_e32 v116, 28, v115
	v_sub_nc_u32_e32 v115, 29, v115
	s_delay_alu instid0(VALU_DEP_2) | instskip(NEXT) | instid1(VALU_DEP_1)
	v_lshlrev_b32_e32 v116, v116, v103
	v_dual_cndmask_b32 v115, v117, v115 :: v_dual_and_b32 v116, 7, v116
	s_delay_alu instid0(VALU_DEP_1) | instskip(NEXT) | instid1(VALU_DEP_2)
	v_lshl_add_u32 v115, v115, 23, 0x3b800000
	v_cndmask_b32_e32 v114, v114, v116, vcc_lo
	v_and_b32_e32 v116, 0x80000000, v118
	s_delay_alu instid0(VALU_DEP_2) | instskip(NEXT) | instid1(VALU_DEP_1)
	v_lshlrev_b32_e32 v114, 20, v114
	v_or3_b32 v114, v116, v115, v114
.LBB4_5017:                             ;   in Loop: Header=BB4_4718 Depth=2
	s_or_b32 exec_lo, exec_lo, s26
	s_delay_alu instid0(VALU_DEP_1) | instskip(SKIP_1) | instid1(VALU_DEP_1)
	v_dual_max_f32 v114, v114, v114 :: v_dual_max_f32 v113, v113, v113
	s_mov_b32 s10, 0
	v_max_f32_e32 v113, v113, v114
	s_branch .LBB4_5019
.LBB4_5018:                             ;   in Loop: Header=BB4_4718 Depth=2
	s_mov_b32 s10, -1
                                        ; implicit-def: $vgpr113
.LBB4_5019:                             ;   in Loop: Header=BB4_4718 Depth=2
	s_delay_alu instid0(SALU_CYCLE_1)
	s_and_b32 vcc_lo, exec_lo, s10
	s_cbranch_vccz .LBB4_5029
; %bb.5020:                             ;   in Loop: Header=BB4_4718 Depth=2
	v_and_b32_e32 v114, 0xff, v112
	s_mov_b32 s10, 0
	s_mov_b32 s27, exec_lo
                                        ; implicit-def: $sgpr26
	s_delay_alu instid0(VALU_DEP_1)
	v_cmpx_lt_i16_e32 0x7f, v114
	s_xor_b32 s27, exec_lo, s27
	s_cbranch_execnz .LBB4_5348
; %bb.5021:                             ;   in Loop: Header=BB4_4718 Depth=2
	s_or_saveexec_b32 s27, s27
	v_mov_b32_e32 v113, s26
	s_xor_b32 exec_lo, exec_lo, s27
	s_cbranch_execnz .LBB4_5351
.LBB4_5022:                             ;   in Loop: Header=BB4_4718 Depth=2
	s_or_b32 exec_lo, exec_lo, s27
	s_and_saveexec_b32 s26, s10
	s_cbranch_execz .LBB4_5024
.LBB4_5023:                             ;   in Loop: Header=BB4_4718 Depth=2
	v_bfe_u32 v113, v16, 16, 3
	v_bfe_u32 v116, v16, 19, 4
	s_delay_alu instid0(VALU_DEP_2) | instskip(NEXT) | instid1(VALU_DEP_2)
	v_clz_i32_u32_e32 v114, v113
	v_cmp_eq_u32_e32 vcc_lo, 0, v116
	s_delay_alu instid0(VALU_DEP_2) | instskip(NEXT) | instid1(VALU_DEP_1)
	v_min_u32_e32 v114, 32, v114
	v_subrev_nc_u32_e32 v115, 28, v114
	v_sub_nc_u32_e32 v114, 29, v114
	s_delay_alu instid0(VALU_DEP_1) | instskip(NEXT) | instid1(VALU_DEP_1)
	v_dual_cndmask_b32 v114, v116, v114 :: v_dual_lshlrev_b32 v115, v115, v112
	v_and_b32_e32 v115, 7, v115
	v_lshlrev_b32_e32 v112, 24, v112
	s_delay_alu instid0(VALU_DEP_3) | instskip(NEXT) | instid1(VALU_DEP_2)
	v_lshl_add_u32 v114, v114, 23, 0x3b800000
	v_dual_cndmask_b32 v113, v113, v115 :: v_dual_and_b32 v112, 0x80000000, v112
	s_delay_alu instid0(VALU_DEP_1) | instskip(NEXT) | instid1(VALU_DEP_1)
	v_lshlrev_b32_e32 v113, 20, v113
	v_or3_b32 v113, v112, v114, v113
.LBB4_5024:                             ;   in Loop: Header=BB4_4718 Depth=2
	s_or_b32 exec_lo, exec_lo, s26
	v_and_b32_e32 v114, 0xff, v103
	s_mov_b32 s10, 0
	s_mov_b32 s27, exec_lo
                                        ; implicit-def: $sgpr26
	s_delay_alu instid0(VALU_DEP_1)
	v_cmpx_lt_i16_e32 0x7f, v114
	s_xor_b32 s27, exec_lo, s27
	s_cbranch_execnz .LBB4_5352
; %bb.5025:                             ;   in Loop: Header=BB4_4718 Depth=2
	s_or_saveexec_b32 s27, s27
	v_mov_b32_e32 v112, s26
	s_xor_b32 exec_lo, exec_lo, s27
	s_cbranch_execnz .LBB4_5355
.LBB4_5026:                             ;   in Loop: Header=BB4_4718 Depth=2
	s_or_b32 exec_lo, exec_lo, s27
	s_and_saveexec_b32 s26, s10
	s_cbranch_execz .LBB4_5028
.LBB4_5027:                             ;   in Loop: Header=BB4_4718 Depth=2
	v_bfe_u32 v112, v12, 16, 3
	v_bfe_u32 v116, v12, 19, 4
	s_delay_alu instid0(VALU_DEP_2) | instskip(NEXT) | instid1(VALU_DEP_2)
	v_clz_i32_u32_e32 v114, v112
	v_cmp_eq_u32_e32 vcc_lo, 0, v116
	s_delay_alu instid0(VALU_DEP_2) | instskip(NEXT) | instid1(VALU_DEP_1)
	v_min_u32_e32 v114, 32, v114
	v_subrev_nc_u32_e32 v115, 28, v114
	v_sub_nc_u32_e32 v114, 29, v114
	s_delay_alu instid0(VALU_DEP_1) | instskip(SKIP_1) | instid1(VALU_DEP_2)
	v_dual_cndmask_b32 v114, v116, v114 :: v_dual_lshlrev_b32 v115, v115, v103
	v_lshlrev_b32_e32 v103, 24, v103
	v_and_b32_e32 v115, 7, v115
	s_delay_alu instid0(VALU_DEP_3) | instskip(NEXT) | instid1(VALU_DEP_3)
	v_lshl_add_u32 v114, v114, 23, 0x3b800000
	v_and_b32_e32 v103, 0x80000000, v103
	s_delay_alu instid0(VALU_DEP_3) | instskip(NEXT) | instid1(VALU_DEP_1)
	v_cndmask_b32_e32 v112, v112, v115, vcc_lo
	v_lshlrev_b32_e32 v112, 20, v112
	s_delay_alu instid0(VALU_DEP_1)
	v_or3_b32 v112, v103, v114, v112
.LBB4_5028:                             ;   in Loop: Header=BB4_4718 Depth=2
	s_or_b32 exec_lo, exec_lo, s26
	s_delay_alu instid0(VALU_DEP_1) | instskip(NEXT) | instid1(VALU_DEP_1)
	v_dual_max_f32 v103, v112, v112 :: v_dual_max_f32 v112, v113, v113
	v_min_f32_e32 v113, v112, v103
.LBB4_5029:                             ;   in Loop: Header=BB4_4718 Depth=2
	s_delay_alu instid0(VALU_DEP_1) | instskip(NEXT) | instid1(VALU_DEP_1)
	v_and_b32_e32 v103, 0x7f800000, v113
	v_cmp_ne_u32_e32 vcc_lo, 0x7f800000, v103
	v_mov_b32_e32 v103, 0x80
	s_and_saveexec_b32 s26, vcc_lo
	s_cbranch_execz .LBB4_5037
; %bb.5030:                             ;   in Loop: Header=BB4_4718 Depth=2
	v_mov_b32_e32 v103, 0
	s_mov_b32 s27, exec_lo
	v_cmpx_ne_u32_e32 0, v113
	s_cbranch_execz .LBB4_5036
; %bb.5031:                             ;   in Loop: Header=BB4_4718 Depth=2
	v_bfe_u32 v103, v113, 23, 8
	v_and_b32_e32 v112, 0x7fffff, v113
	s_delay_alu instid0(VALU_DEP_2) | instskip(SKIP_1) | instid1(VALU_DEP_3)
	v_sub_nc_u32_e32 v114, 0x78, v103
	v_cmp_gt_u32_e32 vcc_lo, 0x79, v103
	v_or_b32_e32 v115, 0x800000, v112
	s_delay_alu instid0(VALU_DEP_3) | instskip(SKIP_2) | instid1(VALU_DEP_3)
	v_cndmask_b32_e32 v114, 0, v114, vcc_lo
	v_cmp_eq_u32_e32 vcc_lo, 0, v103
	v_add_nc_u32_e32 v103, 0xffffff89, v103
	v_cndmask_b32_e64 v114, v114, 0x77, vcc_lo
	v_cndmask_b32_e32 v112, v115, v112, vcc_lo
	s_delay_alu instid0(VALU_DEP_3) | instskip(NEXT) | instid1(VALU_DEP_3)
	v_cndmask_b32_e64 v103, v103, 0xffffff8a, vcc_lo
	v_lshl_add_u32 v115, 0x100000, v114, -1
	s_delay_alu instid0(VALU_DEP_3) | instskip(SKIP_1) | instid1(VALU_DEP_4)
	v_lshrrev_b32_e32 v116, v114, v112
	v_lshlrev_b32_e64 v118, v114, 0x80000
	v_add_nc_u32_e32 v114, v114, v103
	s_delay_alu instid0(VALU_DEP_4) | instskip(NEXT) | instid1(VALU_DEP_4)
	v_and_b32_e32 v112, v115, v112
	v_bfe_u32 v117, v116, 20, 1
	s_delay_alu instid0(VALU_DEP_2) | instskip(NEXT) | instid1(VALU_DEP_2)
	v_cmp_eq_u32_e64 s10, v112, v118
	v_add_nc_u32_e32 v115, -1, v117
	s_delay_alu instid0(VALU_DEP_1) | instskip(SKIP_2) | instid1(VALU_DEP_2)
	v_cndmask_b32_e64 v112, 0, v115, s10
	v_lshrrev_b32_e32 v115, 23, v116
	s_mov_b32 s10, exec_lo
	v_add_nc_u32_e32 v112, v112, v116
	s_delay_alu instid0(VALU_DEP_2) | instskip(NEXT) | instid1(VALU_DEP_2)
	v_xor_b32_e32 v115, 1, v115
	v_and_b32_e32 v103, 0xfffff, v112
	s_delay_alu instid0(VALU_DEP_1) | instskip(NEXT) | instid1(VALU_DEP_3)
	v_add_nc_u32_e32 v112, v103, v116
                                        ; implicit-def: $vgpr103
	v_cmpx_ne_u32_e64 v114, v115
	s_xor_b32 s10, exec_lo, s10
; %bb.5032:                             ;   in Loop: Header=BB4_4718 Depth=2
	s_delay_alu instid0(VALU_DEP_2) | instskip(SKIP_2) | instid1(VALU_DEP_2)
	v_cmp_lt_u32_e32 vcc_lo, 0xffffff, v112
	v_sub_nc_u32_e32 v103, v114, v115
	v_cndmask_b32_e64 v114, 0, 1, vcc_lo
	v_add_co_ci_u32_e32 v103, vcc_lo, 0, v103, vcc_lo
	s_delay_alu instid0(VALU_DEP_2)
	v_lshrrev_b32_e32 v112, v114, v112
; %bb.5033:                             ;   in Loop: Header=BB4_4718 Depth=2
	s_and_not1_saveexec_b32 s10, s10
; %bb.5034:                             ;   in Loop: Header=BB4_4718 Depth=2
	s_delay_alu instid0(VALU_DEP_1)
	v_bfe_u32 v103, v112, 23, 1
; %bb.5035:                             ;   in Loop: Header=BB4_4718 Depth=2
	s_or_b32 exec_lo, exec_lo, s10
	v_lshrrev_b32_e32 v112, 20, v112
	s_delay_alu instid0(VALU_DEP_2) | instskip(SKIP_2) | instid1(VALU_DEP_2)
	v_cmp_gt_i32_e32 vcc_lo, 16, v103
	v_lshrrev_b32_e32 v113, 24, v113
	v_min_i32_e32 v114, 15, v103
	v_dual_cndmask_b32 v112, 7, v112 :: v_dual_and_b32 v113, 0x80, v113
	s_delay_alu instid0(VALU_DEP_1) | instskip(SKIP_1) | instid1(VALU_DEP_2)
	v_or_b32_e32 v103, v103, v112
	v_and_b32_e32 v115, 7, v112
	v_cmp_ne_u32_e32 vcc_lo, 0, v103
	v_lshlrev_b32_e32 v114, 3, v114
	s_delay_alu instid0(VALU_DEP_1) | instskip(NEXT) | instid1(VALU_DEP_1)
	v_or3_b32 v112, v114, v113, v115
	v_cndmask_b32_e32 v103, 0, v112, vcc_lo
.LBB4_5036:                             ;   in Loop: Header=BB4_4718 Depth=2
	s_or_b32 exec_lo, exec_lo, s27
.LBB4_5037:                             ;   in Loop: Header=BB4_4718 Depth=2
	s_delay_alu instid0(SALU_CYCLE_1)
	s_or_b32 exec_lo, exec_lo, s26
	v_lshrrev_b32_e32 v113, 24, v16
	v_lshrrev_b32_e32 v112, 24, v12
	s_and_b32 vcc_lo, exec_lo, s25
	s_cbranch_vccz .LBB4_5047
; %bb.5038:                             ;   in Loop: Header=BB4_4718 Depth=2
	s_mov_b32 s10, 0
	s_mov_b32 s27, exec_lo
                                        ; implicit-def: $sgpr26
	v_cmpx_lt_i16_e32 0x7f, v113
	s_xor_b32 s27, exec_lo, s27
	s_cbranch_execnz .LBB4_5356
; %bb.5039:                             ;   in Loop: Header=BB4_4718 Depth=2
	s_or_saveexec_b32 s27, s27
	v_mov_b32_e32 v114, s26
	s_xor_b32 exec_lo, exec_lo, s27
	s_cbranch_execnz .LBB4_5359
.LBB4_5040:                             ;   in Loop: Header=BB4_4718 Depth=2
	s_or_b32 exec_lo, exec_lo, s27
	s_and_saveexec_b32 s26, s10
	s_cbranch_execz .LBB4_5042
.LBB4_5041:                             ;   in Loop: Header=BB4_4718 Depth=2
	v_bfe_u32 v114, v16, 24, 3
	v_bfe_u32 v117, v16, 27, 4
	s_delay_alu instid0(VALU_DEP_2) | instskip(NEXT) | instid1(VALU_DEP_2)
	v_clz_i32_u32_e32 v115, v114
	v_cmp_eq_u32_e32 vcc_lo, 0, v117
	s_delay_alu instid0(VALU_DEP_2) | instskip(NEXT) | instid1(VALU_DEP_1)
	v_min_u32_e32 v115, 32, v115
	v_subrev_nc_u32_e32 v116, 28, v115
	v_sub_nc_u32_e32 v115, 29, v115
	s_delay_alu instid0(VALU_DEP_1) | instskip(NEXT) | instid1(VALU_DEP_1)
	v_dual_cndmask_b32 v115, v117, v115 :: v_dual_lshlrev_b32 v116, v116, v113
	v_and_b32_e32 v116, 7, v116
	s_delay_alu instid0(VALU_DEP_2) | instskip(NEXT) | instid1(VALU_DEP_2)
	v_lshl_add_u32 v115, v115, 23, 0x3b800000
	v_cndmask_b32_e32 v114, v114, v116, vcc_lo
	v_and_b32_e32 v116, 0x80000000, v16
	s_delay_alu instid0(VALU_DEP_2) | instskip(NEXT) | instid1(VALU_DEP_1)
	v_lshlrev_b32_e32 v114, 20, v114
	v_or3_b32 v114, v116, v115, v114
.LBB4_5042:                             ;   in Loop: Header=BB4_4718 Depth=2
	s_or_b32 exec_lo, exec_lo, s26
	s_mov_b32 s10, 0
	s_mov_b32 s27, exec_lo
                                        ; implicit-def: $sgpr26
	v_cmpx_lt_i16_e32 0x7f, v112
	s_xor_b32 s27, exec_lo, s27
	s_cbranch_execnz .LBB4_5360
; %bb.5043:                             ;   in Loop: Header=BB4_4718 Depth=2
	s_or_saveexec_b32 s27, s27
	v_mov_b32_e32 v115, s26
	s_xor_b32 exec_lo, exec_lo, s27
	s_cbranch_execnz .LBB4_5363
.LBB4_5044:                             ;   in Loop: Header=BB4_4718 Depth=2
	s_or_b32 exec_lo, exec_lo, s27
	s_and_saveexec_b32 s26, s10
	s_cbranch_execz .LBB4_5046
.LBB4_5045:                             ;   in Loop: Header=BB4_4718 Depth=2
	v_bfe_u32 v115, v12, 24, 3
	v_bfe_u32 v118, v12, 27, 4
	s_delay_alu instid0(VALU_DEP_2) | instskip(NEXT) | instid1(VALU_DEP_2)
	v_clz_i32_u32_e32 v116, v115
	v_cmp_eq_u32_e32 vcc_lo, 0, v118
	s_delay_alu instid0(VALU_DEP_2) | instskip(NEXT) | instid1(VALU_DEP_1)
	v_min_u32_e32 v116, 32, v116
	v_subrev_nc_u32_e32 v117, 28, v116
	v_sub_nc_u32_e32 v116, 29, v116
	s_delay_alu instid0(VALU_DEP_2) | instskip(NEXT) | instid1(VALU_DEP_1)
	v_lshlrev_b32_e32 v117, v117, v112
	v_dual_cndmask_b32 v116, v118, v116 :: v_dual_and_b32 v117, 7, v117
	s_delay_alu instid0(VALU_DEP_1) | instskip(NEXT) | instid1(VALU_DEP_2)
	v_lshl_add_u32 v116, v116, 23, 0x3b800000
	v_cndmask_b32_e32 v115, v115, v117, vcc_lo
	v_and_b32_e32 v117, 0x80000000, v12
	s_delay_alu instid0(VALU_DEP_2) | instskip(NEXT) | instid1(VALU_DEP_1)
	v_lshlrev_b32_e32 v115, 20, v115
	v_or3_b32 v115, v117, v116, v115
.LBB4_5046:                             ;   in Loop: Header=BB4_4718 Depth=2
	s_or_b32 exec_lo, exec_lo, s26
	s_delay_alu instid0(VALU_DEP_1) | instskip(SKIP_1) | instid1(VALU_DEP_1)
	v_dual_max_f32 v115, v115, v115 :: v_dual_max_f32 v114, v114, v114
	s_mov_b32 s10, 0
	v_max_f32_e32 v114, v114, v115
	s_branch .LBB4_5048
.LBB4_5047:                             ;   in Loop: Header=BB4_4718 Depth=2
	s_mov_b32 s10, -1
                                        ; implicit-def: $vgpr114
.LBB4_5048:                             ;   in Loop: Header=BB4_4718 Depth=2
	s_delay_alu instid0(SALU_CYCLE_1)
	s_and_b32 vcc_lo, exec_lo, s10
	s_cbranch_vccz .LBB4_5058
; %bb.5049:                             ;   in Loop: Header=BB4_4718 Depth=2
	s_mov_b32 s10, 0
	s_mov_b32 s27, exec_lo
                                        ; implicit-def: $sgpr26
	v_cmpx_lt_i16_e32 0x7f, v113
	s_xor_b32 s27, exec_lo, s27
	s_cbranch_execnz .LBB4_5364
; %bb.5050:                             ;   in Loop: Header=BB4_4718 Depth=2
	s_or_saveexec_b32 s27, s27
	v_mov_b32_e32 v114, s26
	s_xor_b32 exec_lo, exec_lo, s27
	s_cbranch_execnz .LBB4_5367
.LBB4_5051:                             ;   in Loop: Header=BB4_4718 Depth=2
	s_or_b32 exec_lo, exec_lo, s27
	s_and_saveexec_b32 s26, s10
	s_cbranch_execz .LBB4_5053
.LBB4_5052:                             ;   in Loop: Header=BB4_4718 Depth=2
	v_bfe_u32 v114, v16, 24, 3
	s_delay_alu instid0(VALU_DEP_1) | instskip(NEXT) | instid1(VALU_DEP_1)
	v_clz_i32_u32_e32 v115, v114
	v_min_u32_e32 v115, 32, v115
	s_delay_alu instid0(VALU_DEP_1) | instskip(SKIP_1) | instid1(VALU_DEP_2)
	v_subrev_nc_u32_e32 v116, 28, v115
	v_sub_nc_u32_e32 v115, 29, v115
	v_lshlrev_b32_e32 v113, v116, v113
	v_bfe_u32 v116, v16, 27, 4
	v_and_b32_e32 v16, 0x80000000, v16
	s_delay_alu instid0(VALU_DEP_3) | instskip(NEXT) | instid1(VALU_DEP_3)
	v_and_b32_e32 v113, 7, v113
	v_cmp_eq_u32_e32 vcc_lo, 0, v116
	v_cndmask_b32_e32 v115, v116, v115, vcc_lo
	s_delay_alu instid0(VALU_DEP_3) | instskip(NEXT) | instid1(VALU_DEP_2)
	v_cndmask_b32_e32 v113, v114, v113, vcc_lo
	v_lshl_add_u32 v114, v115, 23, 0x3b800000
	s_delay_alu instid0(VALU_DEP_2) | instskip(NEXT) | instid1(VALU_DEP_1)
	v_lshlrev_b32_e32 v113, 20, v113
	v_or3_b32 v114, v16, v114, v113
.LBB4_5053:                             ;   in Loop: Header=BB4_4718 Depth=2
	s_or_b32 exec_lo, exec_lo, s26
	s_mov_b32 s10, 0
	s_mov_b32 s27, exec_lo
                                        ; implicit-def: $sgpr26
	v_cmpx_lt_i16_e32 0x7f, v112
	s_xor_b32 s27, exec_lo, s27
	s_cbranch_execnz .LBB4_5368
; %bb.5054:                             ;   in Loop: Header=BB4_4718 Depth=2
	s_or_saveexec_b32 s27, s27
	v_mov_b32_e32 v16, s26
	s_xor_b32 exec_lo, exec_lo, s27
	s_cbranch_execnz .LBB4_5371
.LBB4_5055:                             ;   in Loop: Header=BB4_4718 Depth=2
	s_or_b32 exec_lo, exec_lo, s27
	s_and_saveexec_b32 s26, s10
	s_cbranch_execz .LBB4_5057
.LBB4_5056:                             ;   in Loop: Header=BB4_4718 Depth=2
	v_bfe_u32 v16, v12, 24, 3
	s_delay_alu instid0(VALU_DEP_1) | instskip(NEXT) | instid1(VALU_DEP_1)
	v_clz_i32_u32_e32 v113, v16
	v_min_u32_e32 v113, 32, v113
	s_delay_alu instid0(VALU_DEP_1) | instskip(SKIP_1) | instid1(VALU_DEP_2)
	v_subrev_nc_u32_e32 v115, 28, v113
	v_sub_nc_u32_e32 v113, 29, v113
	v_lshlrev_b32_e32 v112, v115, v112
	v_bfe_u32 v115, v12, 27, 4
	v_and_b32_e32 v12, 0x80000000, v12
	s_delay_alu instid0(VALU_DEP_2) | instskip(NEXT) | instid1(VALU_DEP_4)
	v_cmp_eq_u32_e32 vcc_lo, 0, v115
	v_dual_cndmask_b32 v113, v115, v113 :: v_dual_and_b32 v112, 7, v112
	s_delay_alu instid0(VALU_DEP_1) | instskip(NEXT) | instid1(VALU_DEP_2)
	v_cndmask_b32_e32 v16, v16, v112, vcc_lo
	v_lshl_add_u32 v112, v113, 23, 0x3b800000
	s_delay_alu instid0(VALU_DEP_2) | instskip(NEXT) | instid1(VALU_DEP_1)
	v_lshlrev_b32_e32 v16, 20, v16
	v_or3_b32 v16, v12, v112, v16
.LBB4_5057:                             ;   in Loop: Header=BB4_4718 Depth=2
	s_or_b32 exec_lo, exec_lo, s26
	s_delay_alu instid0(VALU_DEP_1) | instskip(SKIP_1) | instid1(VALU_DEP_1)
	v_max_f32_e32 v12, v16, v16
	v_max_f32_e32 v16, v114, v114
	v_min_f32_e32 v114, v16, v12
.LBB4_5058:                             ;   in Loop: Header=BB4_4718 Depth=2
	s_delay_alu instid0(VALU_DEP_1) | instskip(NEXT) | instid1(VALU_DEP_1)
	v_and_b32_e32 v12, 0x7f800000, v114
	v_cmp_ne_u32_e32 vcc_lo, 0x7f800000, v12
	v_mov_b32_e32 v12, 0x80
	s_and_saveexec_b32 s26, vcc_lo
	s_cbranch_execz .LBB4_5066
; %bb.5059:                             ;   in Loop: Header=BB4_4718 Depth=2
	v_mov_b32_e32 v12, 0
	s_mov_b32 s27, exec_lo
	v_cmpx_ne_u32_e32 0, v114
	s_cbranch_execz .LBB4_5065
; %bb.5060:                             ;   in Loop: Header=BB4_4718 Depth=2
	v_bfe_u32 v12, v114, 23, 8
	v_and_b32_e32 v16, 0x7fffff, v114
	s_delay_alu instid0(VALU_DEP_2) | instskip(SKIP_1) | instid1(VALU_DEP_3)
	v_sub_nc_u32_e32 v112, 0x78, v12
	v_cmp_gt_u32_e32 vcc_lo, 0x79, v12
	v_or_b32_e32 v113, 0x800000, v16
	s_delay_alu instid0(VALU_DEP_3) | instskip(SKIP_2) | instid1(VALU_DEP_3)
	v_cndmask_b32_e32 v112, 0, v112, vcc_lo
	v_cmp_eq_u32_e32 vcc_lo, 0, v12
	v_add_nc_u32_e32 v12, 0xffffff89, v12
	v_cndmask_b32_e64 v112, v112, 0x77, vcc_lo
	v_cndmask_b32_e32 v16, v113, v16, vcc_lo
	s_delay_alu instid0(VALU_DEP_3) | instskip(NEXT) | instid1(VALU_DEP_3)
	v_cndmask_b32_e64 v12, v12, 0xffffff8a, vcc_lo
	v_lshl_add_u32 v113, 0x100000, v112, -1
	s_delay_alu instid0(VALU_DEP_3) | instskip(SKIP_1) | instid1(VALU_DEP_4)
	v_lshrrev_b32_e32 v115, v112, v16
	v_lshlrev_b32_e64 v117, v112, 0x80000
	v_add_nc_u32_e32 v112, v112, v12
	s_delay_alu instid0(VALU_DEP_4) | instskip(NEXT) | instid1(VALU_DEP_4)
	v_and_b32_e32 v16, v113, v16
	v_bfe_u32 v116, v115, 20, 1
	s_delay_alu instid0(VALU_DEP_2) | instskip(NEXT) | instid1(VALU_DEP_2)
	v_cmp_eq_u32_e64 s10, v16, v117
	v_add_nc_u32_e32 v113, -1, v116
	s_delay_alu instid0(VALU_DEP_1) | instskip(SKIP_2) | instid1(VALU_DEP_2)
	v_cndmask_b32_e64 v16, 0, v113, s10
	v_lshrrev_b32_e32 v113, 23, v115
	s_mov_b32 s10, exec_lo
	v_add_nc_u32_e32 v16, v16, v115
	s_delay_alu instid0(VALU_DEP_2) | instskip(NEXT) | instid1(VALU_DEP_2)
	v_xor_b32_e32 v113, 1, v113
	v_and_b32_e32 v12, 0xfffff, v16
	s_delay_alu instid0(VALU_DEP_1) | instskip(NEXT) | instid1(VALU_DEP_3)
	v_add_nc_u32_e32 v16, v12, v115
                                        ; implicit-def: $vgpr12
	v_cmpx_ne_u32_e64 v112, v113
	s_xor_b32 s10, exec_lo, s10
; %bb.5061:                             ;   in Loop: Header=BB4_4718 Depth=2
	s_delay_alu instid0(VALU_DEP_2) | instskip(SKIP_2) | instid1(VALU_DEP_2)
	v_cmp_lt_u32_e32 vcc_lo, 0xffffff, v16
	v_sub_nc_u32_e32 v12, v112, v113
	v_cndmask_b32_e64 v112, 0, 1, vcc_lo
	v_add_co_ci_u32_e32 v12, vcc_lo, 0, v12, vcc_lo
	s_delay_alu instid0(VALU_DEP_2)
	v_lshrrev_b32_e32 v16, v112, v16
; %bb.5062:                             ;   in Loop: Header=BB4_4718 Depth=2
	s_and_not1_saveexec_b32 s10, s10
; %bb.5063:                             ;   in Loop: Header=BB4_4718 Depth=2
	s_delay_alu instid0(VALU_DEP_1)
	v_bfe_u32 v12, v16, 23, 1
; %bb.5064:                             ;   in Loop: Header=BB4_4718 Depth=2
	s_or_b32 exec_lo, exec_lo, s10
	v_lshrrev_b32_e32 v16, 20, v16
	s_delay_alu instid0(VALU_DEP_2) | instskip(SKIP_2) | instid1(VALU_DEP_4)
	v_cmp_gt_i32_e32 vcc_lo, 16, v12
	v_lshrrev_b32_e32 v112, 24, v114
	v_min_i32_e32 v113, 15, v12
	v_cndmask_b32_e32 v16, 7, v16, vcc_lo
	s_delay_alu instid0(VALU_DEP_3) | instskip(NEXT) | instid1(VALU_DEP_3)
	v_and_b32_e32 v112, 0x80, v112
	v_lshlrev_b32_e32 v113, 3, v113
	s_delay_alu instid0(VALU_DEP_3) | instskip(SKIP_1) | instid1(VALU_DEP_2)
	v_and_b32_e32 v114, 7, v16
	v_or_b32_e32 v12, v12, v16
	v_or3_b32 v16, v113, v112, v114
	s_delay_alu instid0(VALU_DEP_2) | instskip(NEXT) | instid1(VALU_DEP_2)
	v_cmp_ne_u32_e32 vcc_lo, 0, v12
	v_cndmask_b32_e32 v12, 0, v16, vcc_lo
.LBB4_5065:                             ;   in Loop: Header=BB4_4718 Depth=2
	s_or_b32 exec_lo, exec_lo, s27
.LBB4_5066:                             ;   in Loop: Header=BB4_4718 Depth=2
	s_delay_alu instid0(SALU_CYCLE_1) | instskip(NEXT) | instid1(SALU_CYCLE_1)
	s_or_b32 exec_lo, exec_lo, s26
	s_and_b32 vcc_lo, exec_lo, s25
	s_cbranch_vccz .LBB4_5076
; %bb.5067:                             ;   in Loop: Header=BB4_4718 Depth=2
	v_and_b32_e32 v112, 0xff, v17
	s_mov_b32 s10, 0
	s_mov_b32 s27, exec_lo
                                        ; implicit-def: $sgpr26
	s_delay_alu instid0(VALU_DEP_1)
	v_cmpx_lt_i16_e32 0x7f, v112
	s_xor_b32 s27, exec_lo, s27
	s_cbranch_execnz .LBB4_5372
; %bb.5068:                             ;   in Loop: Header=BB4_4718 Depth=2
	s_or_saveexec_b32 s27, s27
	v_mov_b32_e32 v16, s26
	s_xor_b32 exec_lo, exec_lo, s27
	s_cbranch_execnz .LBB4_5375
.LBB4_5069:                             ;   in Loop: Header=BB4_4718 Depth=2
	s_or_b32 exec_lo, exec_lo, s27
	s_and_saveexec_b32 s26, s10
	s_cbranch_execz .LBB4_5071
.LBB4_5070:                             ;   in Loop: Header=BB4_4718 Depth=2
	v_and_b32_e32 v16, 7, v17
	v_bfe_u32 v114, v17, 3, 4
	v_lshlrev_b32_e32 v115, 24, v17
	s_delay_alu instid0(VALU_DEP_3) | instskip(NEXT) | instid1(VALU_DEP_3)
	v_clz_i32_u32_e32 v112, v16
	v_cmp_eq_u32_e32 vcc_lo, 0, v114
	s_delay_alu instid0(VALU_DEP_2) | instskip(NEXT) | instid1(VALU_DEP_1)
	v_min_u32_e32 v112, 32, v112
	v_subrev_nc_u32_e32 v113, 28, v112
	v_sub_nc_u32_e32 v112, 29, v112
	s_delay_alu instid0(VALU_DEP_1) | instskip(NEXT) | instid1(VALU_DEP_1)
	v_dual_cndmask_b32 v112, v114, v112 :: v_dual_lshlrev_b32 v113, v113, v17
	v_and_b32_e32 v113, 7, v113
	s_delay_alu instid0(VALU_DEP_2) | instskip(NEXT) | instid1(VALU_DEP_2)
	v_lshl_add_u32 v112, v112, 23, 0x3b800000
	v_dual_cndmask_b32 v16, v16, v113 :: v_dual_and_b32 v113, 0x80000000, v115
	s_delay_alu instid0(VALU_DEP_1) | instskip(NEXT) | instid1(VALU_DEP_1)
	v_lshlrev_b32_e32 v16, 20, v16
	v_or3_b32 v16, v113, v112, v16
.LBB4_5071:                             ;   in Loop: Header=BB4_4718 Depth=2
	s_or_b32 exec_lo, exec_lo, s26
	v_and_b32_e32 v113, 0xff, v13
	s_mov_b32 s10, 0
	s_mov_b32 s27, exec_lo
                                        ; implicit-def: $sgpr26
	s_delay_alu instid0(VALU_DEP_1)
	v_cmpx_lt_i16_e32 0x7f, v113
	s_xor_b32 s27, exec_lo, s27
	s_cbranch_execnz .LBB4_5376
; %bb.5072:                             ;   in Loop: Header=BB4_4718 Depth=2
	s_or_saveexec_b32 s27, s27
	v_mov_b32_e32 v112, s26
	s_xor_b32 exec_lo, exec_lo, s27
	s_cbranch_execnz .LBB4_5379
.LBB4_5073:                             ;   in Loop: Header=BB4_4718 Depth=2
	s_or_b32 exec_lo, exec_lo, s27
	s_and_saveexec_b32 s26, s10
	s_cbranch_execz .LBB4_5075
.LBB4_5074:                             ;   in Loop: Header=BB4_4718 Depth=2
	v_and_b32_e32 v112, 7, v13
	v_bfe_u32 v115, v13, 3, 4
	v_lshlrev_b32_e32 v116, 24, v13
	s_delay_alu instid0(VALU_DEP_3) | instskip(NEXT) | instid1(VALU_DEP_3)
	v_clz_i32_u32_e32 v113, v112
	v_cmp_eq_u32_e32 vcc_lo, 0, v115
	s_delay_alu instid0(VALU_DEP_2) | instskip(NEXT) | instid1(VALU_DEP_1)
	v_min_u32_e32 v113, 32, v113
	v_subrev_nc_u32_e32 v114, 28, v113
	v_sub_nc_u32_e32 v113, 29, v113
	s_delay_alu instid0(VALU_DEP_2) | instskip(NEXT) | instid1(VALU_DEP_1)
	v_lshlrev_b32_e32 v114, v114, v13
	v_dual_cndmask_b32 v113, v115, v113 :: v_dual_and_b32 v114, 7, v114
	s_delay_alu instid0(VALU_DEP_1) | instskip(NEXT) | instid1(VALU_DEP_2)
	v_lshl_add_u32 v113, v113, 23, 0x3b800000
	v_cndmask_b32_e32 v112, v112, v114, vcc_lo
	v_and_b32_e32 v114, 0x80000000, v116
	s_delay_alu instid0(VALU_DEP_2) | instskip(NEXT) | instid1(VALU_DEP_1)
	v_lshlrev_b32_e32 v112, 20, v112
	v_or3_b32 v112, v114, v113, v112
.LBB4_5075:                             ;   in Loop: Header=BB4_4718 Depth=2
	s_or_b32 exec_lo, exec_lo, s26
	s_delay_alu instid0(VALU_DEP_1) | instskip(SKIP_2) | instid1(VALU_DEP_1)
	v_max_f32_e32 v112, v112, v112
	v_max_f32_e32 v16, v16, v16
	s_mov_b32 s10, 0
	v_max_f32_e32 v112, v16, v112
	s_branch .LBB4_5077
.LBB4_5076:                             ;   in Loop: Header=BB4_4718 Depth=2
	s_mov_b32 s10, -1
                                        ; implicit-def: $vgpr112
.LBB4_5077:                             ;   in Loop: Header=BB4_4718 Depth=2
	s_delay_alu instid0(SALU_CYCLE_1)
	s_and_b32 vcc_lo, exec_lo, s10
	s_cbranch_vccz .LBB4_5087
; %bb.5078:                             ;   in Loop: Header=BB4_4718 Depth=2
	v_and_b32_e32 v112, 0xff, v17
	s_mov_b32 s10, 0
	s_mov_b32 s27, exec_lo
                                        ; implicit-def: $sgpr26
	s_delay_alu instid0(VALU_DEP_1)
	v_cmpx_lt_i16_e32 0x7f, v112
	s_xor_b32 s27, exec_lo, s27
	s_cbranch_execnz .LBB4_5380
; %bb.5079:                             ;   in Loop: Header=BB4_4718 Depth=2
	s_or_saveexec_b32 s27, s27
	v_mov_b32_e32 v16, s26
	s_xor_b32 exec_lo, exec_lo, s27
	s_cbranch_execnz .LBB4_5383
.LBB4_5080:                             ;   in Loop: Header=BB4_4718 Depth=2
	s_or_b32 exec_lo, exec_lo, s27
	s_and_saveexec_b32 s26, s10
	s_cbranch_execz .LBB4_5082
.LBB4_5081:                             ;   in Loop: Header=BB4_4718 Depth=2
	v_and_b32_e32 v16, 7, v17
	v_bfe_u32 v114, v17, 3, 4
	v_lshlrev_b32_e32 v115, 24, v17
	s_delay_alu instid0(VALU_DEP_3) | instskip(NEXT) | instid1(VALU_DEP_3)
	v_clz_i32_u32_e32 v112, v16
	v_cmp_eq_u32_e32 vcc_lo, 0, v114
	s_delay_alu instid0(VALU_DEP_2) | instskip(NEXT) | instid1(VALU_DEP_1)
	v_min_u32_e32 v112, 32, v112
	v_subrev_nc_u32_e32 v113, 28, v112
	v_sub_nc_u32_e32 v112, 29, v112
	s_delay_alu instid0(VALU_DEP_1) | instskip(NEXT) | instid1(VALU_DEP_1)
	v_dual_cndmask_b32 v112, v114, v112 :: v_dual_lshlrev_b32 v113, v113, v17
	v_and_b32_e32 v113, 7, v113
	s_delay_alu instid0(VALU_DEP_2) | instskip(NEXT) | instid1(VALU_DEP_2)
	v_lshl_add_u32 v112, v112, 23, 0x3b800000
	v_dual_cndmask_b32 v16, v16, v113 :: v_dual_and_b32 v113, 0x80000000, v115
	s_delay_alu instid0(VALU_DEP_1) | instskip(NEXT) | instid1(VALU_DEP_1)
	v_lshlrev_b32_e32 v16, 20, v16
	v_or3_b32 v16, v113, v112, v16
.LBB4_5082:                             ;   in Loop: Header=BB4_4718 Depth=2
	s_or_b32 exec_lo, exec_lo, s26
	v_and_b32_e32 v113, 0xff, v13
	s_mov_b32 s10, 0
	s_mov_b32 s27, exec_lo
                                        ; implicit-def: $sgpr26
	s_delay_alu instid0(VALU_DEP_1)
	v_cmpx_lt_i16_e32 0x7f, v113
	s_xor_b32 s27, exec_lo, s27
	s_cbranch_execnz .LBB4_5384
; %bb.5083:                             ;   in Loop: Header=BB4_4718 Depth=2
	s_or_saveexec_b32 s27, s27
	v_mov_b32_e32 v112, s26
	s_xor_b32 exec_lo, exec_lo, s27
	s_cbranch_execnz .LBB4_5387
.LBB4_5084:                             ;   in Loop: Header=BB4_4718 Depth=2
	s_or_b32 exec_lo, exec_lo, s27
	s_and_saveexec_b32 s26, s10
	s_cbranch_execz .LBB4_5086
.LBB4_5085:                             ;   in Loop: Header=BB4_4718 Depth=2
	v_and_b32_e32 v112, 7, v13
	v_bfe_u32 v115, v13, 3, 4
	v_lshlrev_b32_e32 v116, 24, v13
	s_delay_alu instid0(VALU_DEP_3) | instskip(NEXT) | instid1(VALU_DEP_3)
	v_clz_i32_u32_e32 v113, v112
	v_cmp_eq_u32_e32 vcc_lo, 0, v115
	s_delay_alu instid0(VALU_DEP_2) | instskip(NEXT) | instid1(VALU_DEP_1)
	v_min_u32_e32 v113, 32, v113
	v_subrev_nc_u32_e32 v114, 28, v113
	v_sub_nc_u32_e32 v113, 29, v113
	s_delay_alu instid0(VALU_DEP_2) | instskip(NEXT) | instid1(VALU_DEP_1)
	v_lshlrev_b32_e32 v114, v114, v13
	v_dual_cndmask_b32 v113, v115, v113 :: v_dual_and_b32 v114, 7, v114
	s_delay_alu instid0(VALU_DEP_1) | instskip(NEXT) | instid1(VALU_DEP_2)
	v_lshl_add_u32 v113, v113, 23, 0x3b800000
	v_cndmask_b32_e32 v112, v112, v114, vcc_lo
	v_and_b32_e32 v114, 0x80000000, v116
	s_delay_alu instid0(VALU_DEP_2) | instskip(NEXT) | instid1(VALU_DEP_1)
	v_lshlrev_b32_e32 v112, 20, v112
	v_or3_b32 v112, v114, v113, v112
.LBB4_5086:                             ;   in Loop: Header=BB4_4718 Depth=2
	s_or_b32 exec_lo, exec_lo, s26
	s_delay_alu instid0(VALU_DEP_1) | instskip(SKIP_1) | instid1(VALU_DEP_1)
	v_max_f32_e32 v112, v112, v112
	v_max_f32_e32 v16, v16, v16
	v_min_f32_e32 v112, v16, v112
.LBB4_5087:                             ;   in Loop: Header=BB4_4718 Depth=2
	s_delay_alu instid0(VALU_DEP_1) | instskip(NEXT) | instid1(VALU_DEP_1)
	v_and_b32_e32 v16, 0x7f800000, v112
	v_cmp_ne_u32_e32 vcc_lo, 0x7f800000, v16
	v_mov_b32_e32 v16, 0x80
	s_and_saveexec_b32 s26, vcc_lo
	s_cbranch_execz .LBB4_5095
; %bb.5088:                             ;   in Loop: Header=BB4_4718 Depth=2
	v_mov_b32_e32 v16, 0
	s_mov_b32 s27, exec_lo
	v_cmpx_ne_u32_e32 0, v112
	s_cbranch_execz .LBB4_5094
; %bb.5089:                             ;   in Loop: Header=BB4_4718 Depth=2
	v_bfe_u32 v16, v112, 23, 8
	s_delay_alu instid0(VALU_DEP_1) | instskip(SKIP_1) | instid1(VALU_DEP_2)
	v_sub_nc_u32_e32 v114, 0x78, v16
	v_cmp_gt_u32_e32 vcc_lo, 0x79, v16
	v_dual_cndmask_b32 v114, 0, v114 :: v_dual_and_b32 v113, 0x7fffff, v112
	s_delay_alu instid0(VALU_DEP_1) | instskip(SKIP_2) | instid1(VALU_DEP_4)
	v_or_b32_e32 v115, 0x800000, v113
	v_cmp_eq_u32_e32 vcc_lo, 0, v16
	v_add_nc_u32_e32 v16, 0xffffff89, v16
	v_cndmask_b32_e64 v114, v114, 0x77, vcc_lo
	s_delay_alu instid0(VALU_DEP_4) | instskip(NEXT) | instid1(VALU_DEP_3)
	v_cndmask_b32_e32 v113, v115, v113, vcc_lo
	v_cndmask_b32_e64 v16, v16, 0xffffff8a, vcc_lo
	s_delay_alu instid0(VALU_DEP_3) | instskip(NEXT) | instid1(VALU_DEP_3)
	v_lshl_add_u32 v115, 0x100000, v114, -1
	v_lshrrev_b32_e32 v116, v114, v113
	v_lshlrev_b32_e64 v118, v114, 0x80000
	s_delay_alu instid0(VALU_DEP_4) | instskip(NEXT) | instid1(VALU_DEP_4)
	v_add_nc_u32_e32 v114, v114, v16
	v_and_b32_e32 v113, v115, v113
	s_delay_alu instid0(VALU_DEP_4) | instskip(NEXT) | instid1(VALU_DEP_2)
	v_bfe_u32 v117, v116, 20, 1
	v_cmp_eq_u32_e64 s10, v113, v118
	s_delay_alu instid0(VALU_DEP_2) | instskip(NEXT) | instid1(VALU_DEP_1)
	v_add_nc_u32_e32 v115, -1, v117
	v_cndmask_b32_e64 v113, 0, v115, s10
	v_lshrrev_b32_e32 v115, 23, v116
	s_mov_b32 s10, exec_lo
	s_delay_alu instid0(VALU_DEP_2) | instskip(NEXT) | instid1(VALU_DEP_2)
	v_add_nc_u32_e32 v113, v113, v116
	v_xor_b32_e32 v115, 1, v115
	s_delay_alu instid0(VALU_DEP_2) | instskip(NEXT) | instid1(VALU_DEP_1)
	v_and_b32_e32 v16, 0xfffff, v113
	v_add_nc_u32_e32 v113, v16, v116
                                        ; implicit-def: $vgpr16
	s_delay_alu instid0(VALU_DEP_3)
	v_cmpx_ne_u32_e64 v114, v115
	s_xor_b32 s10, exec_lo, s10
; %bb.5090:                             ;   in Loop: Header=BB4_4718 Depth=2
	s_delay_alu instid0(VALU_DEP_2) | instskip(SKIP_2) | instid1(VALU_DEP_2)
	v_cmp_lt_u32_e32 vcc_lo, 0xffffff, v113
	v_sub_nc_u32_e32 v16, v114, v115
	v_cndmask_b32_e64 v114, 0, 1, vcc_lo
	v_add_co_ci_u32_e32 v16, vcc_lo, 0, v16, vcc_lo
	s_delay_alu instid0(VALU_DEP_2)
	v_lshrrev_b32_e32 v113, v114, v113
; %bb.5091:                             ;   in Loop: Header=BB4_4718 Depth=2
	s_and_not1_saveexec_b32 s10, s10
; %bb.5092:                             ;   in Loop: Header=BB4_4718 Depth=2
	s_delay_alu instid0(VALU_DEP_1)
	v_bfe_u32 v16, v113, 23, 1
; %bb.5093:                             ;   in Loop: Header=BB4_4718 Depth=2
	s_or_b32 exec_lo, exec_lo, s10
	v_lshrrev_b32_e32 v113, 20, v113
	s_delay_alu instid0(VALU_DEP_2) | instskip(SKIP_2) | instid1(VALU_DEP_2)
	v_cmp_gt_i32_e32 vcc_lo, 16, v16
	v_lshrrev_b32_e32 v112, 24, v112
	v_min_i32_e32 v114, 15, v16
	v_dual_cndmask_b32 v113, 7, v113 :: v_dual_and_b32 v112, 0x80, v112
	s_delay_alu instid0(VALU_DEP_2) | instskip(NEXT) | instid1(VALU_DEP_2)
	v_lshlrev_b32_e32 v114, 3, v114
	v_or_b32_e32 v16, v16, v113
	s_delay_alu instid0(VALU_DEP_1) | instskip(SKIP_1) | instid1(VALU_DEP_1)
	v_cmp_ne_u32_e32 vcc_lo, 0, v16
	v_and_b32_e32 v115, 7, v113
	v_or3_b32 v112, v114, v112, v115
	s_delay_alu instid0(VALU_DEP_1)
	v_cndmask_b32_e32 v16, 0, v112, vcc_lo
.LBB4_5094:                             ;   in Loop: Header=BB4_4718 Depth=2
	s_or_b32 exec_lo, exec_lo, s27
.LBB4_5095:                             ;   in Loop: Header=BB4_4718 Depth=2
	s_delay_alu instid0(SALU_CYCLE_1)
	s_or_b32 exec_lo, exec_lo, s26
	v_lshrrev_b16 v113, 8, v17
	v_lshrrev_b16 v112, 8, v13
	s_and_b32 vcc_lo, exec_lo, s25
	s_cbranch_vccz .LBB4_5105
; %bb.5096:                             ;   in Loop: Header=BB4_4718 Depth=2
	s_mov_b32 s10, 0
	s_mov_b32 s27, exec_lo
                                        ; implicit-def: $sgpr26
	v_cmpx_lt_i16_e32 0x7f, v113
	s_xor_b32 s27, exec_lo, s27
	s_cbranch_execnz .LBB4_5388
; %bb.5097:                             ;   in Loop: Header=BB4_4718 Depth=2
	s_or_saveexec_b32 s27, s27
	v_mov_b32_e32 v114, s26
	s_xor_b32 exec_lo, exec_lo, s27
	s_cbranch_execnz .LBB4_5391
.LBB4_5098:                             ;   in Loop: Header=BB4_4718 Depth=2
	s_or_b32 exec_lo, exec_lo, s27
	s_and_saveexec_b32 s26, s10
	s_cbranch_execz .LBB4_5100
.LBB4_5099:                             ;   in Loop: Header=BB4_4718 Depth=2
	v_and_b32_e32 v114, 0xffff, v113
	v_lshlrev_b32_e32 v118, 16, v17
	s_delay_alu instid0(VALU_DEP_2) | instskip(NEXT) | instid1(VALU_DEP_1)
	v_and_b32_e32 v115, 7, v114
	v_clz_i32_u32_e32 v116, v115
	s_delay_alu instid0(VALU_DEP_1) | instskip(NEXT) | instid1(VALU_DEP_1)
	v_min_u32_e32 v116, 32, v116
	v_subrev_nc_u32_e32 v117, 28, v116
	v_sub_nc_u32_e32 v116, 29, v116
	s_delay_alu instid0(VALU_DEP_2) | instskip(SKIP_1) | instid1(VALU_DEP_2)
	v_lshlrev_b32_e32 v117, v117, v114
	v_bfe_u32 v114, v114, 3, 4
	v_and_b32_e32 v117, 7, v117
	s_delay_alu instid0(VALU_DEP_2) | instskip(NEXT) | instid1(VALU_DEP_2)
	v_cmp_eq_u32_e32 vcc_lo, 0, v114
	v_dual_cndmask_b32 v114, v114, v116 :: v_dual_cndmask_b32 v115, v115, v117
	v_and_b32_e32 v116, 0x80000000, v118
	s_delay_alu instid0(VALU_DEP_2) | instskip(NEXT) | instid1(VALU_DEP_3)
	v_lshl_add_u32 v114, v114, 23, 0x3b800000
	v_lshlrev_b32_e32 v115, 20, v115
	s_delay_alu instid0(VALU_DEP_1)
	v_or3_b32 v114, v116, v114, v115
.LBB4_5100:                             ;   in Loop: Header=BB4_4718 Depth=2
	s_or_b32 exec_lo, exec_lo, s26
	s_mov_b32 s10, 0
	s_mov_b32 s27, exec_lo
                                        ; implicit-def: $sgpr26
	v_cmpx_lt_i16_e32 0x7f, v112
	s_xor_b32 s27, exec_lo, s27
	s_cbranch_execnz .LBB4_5392
; %bb.5101:                             ;   in Loop: Header=BB4_4718 Depth=2
	s_or_saveexec_b32 s27, s27
	v_mov_b32_e32 v115, s26
	s_xor_b32 exec_lo, exec_lo, s27
	s_cbranch_execnz .LBB4_5395
.LBB4_5102:                             ;   in Loop: Header=BB4_4718 Depth=2
	s_or_b32 exec_lo, exec_lo, s27
	s_and_saveexec_b32 s26, s10
	s_cbranch_execz .LBB4_5104
.LBB4_5103:                             ;   in Loop: Header=BB4_4718 Depth=2
	v_and_b32_e32 v115, 0xffff, v112
	v_lshlrev_b32_e32 v119, 16, v13
	s_delay_alu instid0(VALU_DEP_2) | instskip(NEXT) | instid1(VALU_DEP_1)
	v_and_b32_e32 v116, 7, v115
	v_clz_i32_u32_e32 v117, v116
	s_delay_alu instid0(VALU_DEP_1) | instskip(NEXT) | instid1(VALU_DEP_1)
	v_min_u32_e32 v117, 32, v117
	v_subrev_nc_u32_e32 v118, 28, v117
	v_sub_nc_u32_e32 v117, 29, v117
	s_delay_alu instid0(VALU_DEP_2) | instskip(SKIP_1) | instid1(VALU_DEP_2)
	v_lshlrev_b32_e32 v118, v118, v115
	v_bfe_u32 v115, v115, 3, 4
	v_and_b32_e32 v118, 7, v118
	s_delay_alu instid0(VALU_DEP_2) | instskip(NEXT) | instid1(VALU_DEP_2)
	v_cmp_eq_u32_e32 vcc_lo, 0, v115
	v_dual_cndmask_b32 v115, v115, v117 :: v_dual_cndmask_b32 v116, v116, v118
	v_and_b32_e32 v117, 0x80000000, v119
	s_delay_alu instid0(VALU_DEP_2) | instskip(NEXT) | instid1(VALU_DEP_3)
	v_lshl_add_u32 v115, v115, 23, 0x3b800000
	v_lshlrev_b32_e32 v116, 20, v116
	s_delay_alu instid0(VALU_DEP_1)
	v_or3_b32 v115, v117, v115, v116
.LBB4_5104:                             ;   in Loop: Header=BB4_4718 Depth=2
	s_or_b32 exec_lo, exec_lo, s26
	s_delay_alu instid0(VALU_DEP_1) | instskip(SKIP_1) | instid1(VALU_DEP_1)
	v_dual_max_f32 v115, v115, v115 :: v_dual_max_f32 v114, v114, v114
	s_mov_b32 s10, 0
	v_max_f32_e32 v114, v114, v115
	s_branch .LBB4_5106
.LBB4_5105:                             ;   in Loop: Header=BB4_4718 Depth=2
	s_mov_b32 s10, -1
                                        ; implicit-def: $vgpr114
.LBB4_5106:                             ;   in Loop: Header=BB4_4718 Depth=2
	s_delay_alu instid0(SALU_CYCLE_1)
	s_and_b32 vcc_lo, exec_lo, s10
	s_cbranch_vccz .LBB4_5116
; %bb.5107:                             ;   in Loop: Header=BB4_4718 Depth=2
	s_mov_b32 s10, 0
	s_mov_b32 s27, exec_lo
                                        ; implicit-def: $sgpr26
	v_cmpx_lt_i16_e32 0x7f, v113
	s_xor_b32 s27, exec_lo, s27
	s_cbranch_execnz .LBB4_5396
; %bb.5108:                             ;   in Loop: Header=BB4_4718 Depth=2
	s_or_saveexec_b32 s27, s27
	v_mov_b32_e32 v114, s26
	s_xor_b32 exec_lo, exec_lo, s27
	s_cbranch_execnz .LBB4_5399
.LBB4_5109:                             ;   in Loop: Header=BB4_4718 Depth=2
	s_or_b32 exec_lo, exec_lo, s27
	s_and_saveexec_b32 s26, s10
	s_cbranch_execz .LBB4_5111
.LBB4_5110:                             ;   in Loop: Header=BB4_4718 Depth=2
	v_and_b32_e32 v113, 0xffff, v113
	v_lshlrev_b32_e32 v117, 16, v17
	s_delay_alu instid0(VALU_DEP_2) | instskip(NEXT) | instid1(VALU_DEP_1)
	v_and_b32_e32 v114, 7, v113
	v_clz_i32_u32_e32 v115, v114
	s_delay_alu instid0(VALU_DEP_1) | instskip(NEXT) | instid1(VALU_DEP_1)
	v_min_u32_e32 v115, 32, v115
	v_subrev_nc_u32_e32 v116, 28, v115
	v_sub_nc_u32_e32 v115, 29, v115
	s_delay_alu instid0(VALU_DEP_2) | instskip(SKIP_1) | instid1(VALU_DEP_2)
	v_lshlrev_b32_e32 v116, v116, v113
	v_bfe_u32 v113, v113, 3, 4
	v_and_b32_e32 v116, 7, v116
	s_delay_alu instid0(VALU_DEP_2) | instskip(NEXT) | instid1(VALU_DEP_2)
	v_cmp_eq_u32_e32 vcc_lo, 0, v113
	v_dual_cndmask_b32 v113, v113, v115 :: v_dual_cndmask_b32 v114, v114, v116
	v_and_b32_e32 v115, 0x80000000, v117
	s_delay_alu instid0(VALU_DEP_2) | instskip(NEXT) | instid1(VALU_DEP_3)
	v_lshl_add_u32 v113, v113, 23, 0x3b800000
	v_lshlrev_b32_e32 v114, 20, v114
	s_delay_alu instid0(VALU_DEP_1)
	v_or3_b32 v114, v115, v113, v114
.LBB4_5111:                             ;   in Loop: Header=BB4_4718 Depth=2
	s_or_b32 exec_lo, exec_lo, s26
	s_mov_b32 s10, 0
	s_mov_b32 s27, exec_lo
                                        ; implicit-def: $sgpr26
	v_cmpx_lt_i16_e32 0x7f, v112
	s_xor_b32 s27, exec_lo, s27
	s_cbranch_execnz .LBB4_5400
; %bb.5112:                             ;   in Loop: Header=BB4_4718 Depth=2
	s_or_saveexec_b32 s27, s27
	v_mov_b32_e32 v113, s26
	s_xor_b32 exec_lo, exec_lo, s27
	s_cbranch_execnz .LBB4_5403
.LBB4_5113:                             ;   in Loop: Header=BB4_4718 Depth=2
	s_or_b32 exec_lo, exec_lo, s27
	s_and_saveexec_b32 s26, s10
	s_cbranch_execz .LBB4_5115
.LBB4_5114:                             ;   in Loop: Header=BB4_4718 Depth=2
	v_and_b32_e32 v112, 0xffff, v112
	v_lshlrev_b32_e32 v117, 16, v13
	s_delay_alu instid0(VALU_DEP_2) | instskip(NEXT) | instid1(VALU_DEP_1)
	v_and_b32_e32 v113, 7, v112
	v_clz_i32_u32_e32 v115, v113
	s_delay_alu instid0(VALU_DEP_1) | instskip(NEXT) | instid1(VALU_DEP_1)
	v_min_u32_e32 v115, 32, v115
	v_subrev_nc_u32_e32 v116, 28, v115
	v_sub_nc_u32_e32 v115, 29, v115
	s_delay_alu instid0(VALU_DEP_2) | instskip(SKIP_1) | instid1(VALU_DEP_2)
	v_lshlrev_b32_e32 v116, v116, v112
	v_bfe_u32 v112, v112, 3, 4
	v_and_b32_e32 v116, 7, v116
	s_delay_alu instid0(VALU_DEP_2) | instskip(NEXT) | instid1(VALU_DEP_2)
	v_cmp_eq_u32_e32 vcc_lo, 0, v112
	v_dual_cndmask_b32 v112, v112, v115 :: v_dual_cndmask_b32 v113, v113, v116
	v_and_b32_e32 v115, 0x80000000, v117
	s_delay_alu instid0(VALU_DEP_2) | instskip(NEXT) | instid1(VALU_DEP_3)
	v_lshl_add_u32 v112, v112, 23, 0x3b800000
	v_lshlrev_b32_e32 v113, 20, v113
	s_delay_alu instid0(VALU_DEP_1)
	v_or3_b32 v113, v115, v112, v113
.LBB4_5115:                             ;   in Loop: Header=BB4_4718 Depth=2
	s_or_b32 exec_lo, exec_lo, s26
	s_delay_alu instid0(VALU_DEP_1) | instskip(NEXT) | instid1(VALU_DEP_1)
	v_dual_max_f32 v112, v113, v113 :: v_dual_max_f32 v113, v114, v114
	v_min_f32_e32 v114, v113, v112
.LBB4_5116:                             ;   in Loop: Header=BB4_4718 Depth=2
	s_delay_alu instid0(VALU_DEP_1) | instskip(NEXT) | instid1(VALU_DEP_1)
	v_and_b32_e32 v112, 0x7f800000, v114
	v_cmp_ne_u32_e32 vcc_lo, 0x7f800000, v112
	v_mov_b32_e32 v112, 0x80
	s_and_saveexec_b32 s26, vcc_lo
	s_cbranch_execz .LBB4_5124
; %bb.5117:                             ;   in Loop: Header=BB4_4718 Depth=2
	v_mov_b32_e32 v112, 0
	s_mov_b32 s27, exec_lo
	v_cmpx_ne_u32_e32 0, v114
	s_cbranch_execz .LBB4_5123
; %bb.5118:                             ;   in Loop: Header=BB4_4718 Depth=2
	v_bfe_u32 v112, v114, 23, 8
	v_and_b32_e32 v113, 0x7fffff, v114
	s_delay_alu instid0(VALU_DEP_2) | instskip(SKIP_1) | instid1(VALU_DEP_3)
	v_sub_nc_u32_e32 v115, 0x78, v112
	v_cmp_gt_u32_e32 vcc_lo, 0x79, v112
	v_or_b32_e32 v116, 0x800000, v113
	s_delay_alu instid0(VALU_DEP_3) | instskip(SKIP_2) | instid1(VALU_DEP_3)
	v_cndmask_b32_e32 v115, 0, v115, vcc_lo
	v_cmp_eq_u32_e32 vcc_lo, 0, v112
	v_add_nc_u32_e32 v112, 0xffffff89, v112
	v_cndmask_b32_e64 v115, v115, 0x77, vcc_lo
	v_cndmask_b32_e32 v113, v116, v113, vcc_lo
	s_delay_alu instid0(VALU_DEP_3) | instskip(NEXT) | instid1(VALU_DEP_3)
	v_cndmask_b32_e64 v112, v112, 0xffffff8a, vcc_lo
	v_lshl_add_u32 v116, 0x100000, v115, -1
	s_delay_alu instid0(VALU_DEP_3) | instskip(SKIP_1) | instid1(VALU_DEP_4)
	v_lshrrev_b32_e32 v117, v115, v113
	v_lshlrev_b32_e64 v119, v115, 0x80000
	v_add_nc_u32_e32 v115, v115, v112
	s_delay_alu instid0(VALU_DEP_4) | instskip(NEXT) | instid1(VALU_DEP_4)
	v_and_b32_e32 v113, v116, v113
	v_bfe_u32 v118, v117, 20, 1
	s_delay_alu instid0(VALU_DEP_2) | instskip(NEXT) | instid1(VALU_DEP_2)
	v_cmp_eq_u32_e64 s10, v113, v119
	v_add_nc_u32_e32 v116, -1, v118
	s_delay_alu instid0(VALU_DEP_1) | instskip(SKIP_2) | instid1(VALU_DEP_2)
	v_cndmask_b32_e64 v113, 0, v116, s10
	v_lshrrev_b32_e32 v116, 23, v117
	s_mov_b32 s10, exec_lo
	v_add_nc_u32_e32 v113, v113, v117
	s_delay_alu instid0(VALU_DEP_2) | instskip(NEXT) | instid1(VALU_DEP_2)
	v_xor_b32_e32 v116, 1, v116
	v_and_b32_e32 v112, 0xfffff, v113
	s_delay_alu instid0(VALU_DEP_1) | instskip(NEXT) | instid1(VALU_DEP_3)
	v_add_nc_u32_e32 v113, v112, v117
                                        ; implicit-def: $vgpr112
	v_cmpx_ne_u32_e64 v115, v116
	s_xor_b32 s10, exec_lo, s10
; %bb.5119:                             ;   in Loop: Header=BB4_4718 Depth=2
	s_delay_alu instid0(VALU_DEP_2) | instskip(SKIP_2) | instid1(VALU_DEP_2)
	v_cmp_lt_u32_e32 vcc_lo, 0xffffff, v113
	v_sub_nc_u32_e32 v112, v115, v116
	v_cndmask_b32_e64 v115, 0, 1, vcc_lo
	v_add_co_ci_u32_e32 v112, vcc_lo, 0, v112, vcc_lo
	s_delay_alu instid0(VALU_DEP_2)
	v_lshrrev_b32_e32 v113, v115, v113
; %bb.5120:                             ;   in Loop: Header=BB4_4718 Depth=2
	s_and_not1_saveexec_b32 s10, s10
; %bb.5121:                             ;   in Loop: Header=BB4_4718 Depth=2
	s_delay_alu instid0(VALU_DEP_1)
	v_bfe_u32 v112, v113, 23, 1
; %bb.5122:                             ;   in Loop: Header=BB4_4718 Depth=2
	s_or_b32 exec_lo, exec_lo, s10
	v_lshrrev_b32_e32 v113, 20, v113
	s_delay_alu instid0(VALU_DEP_2) | instskip(SKIP_2) | instid1(VALU_DEP_2)
	v_cmp_gt_i32_e32 vcc_lo, 16, v112
	v_lshrrev_b32_e32 v114, 24, v114
	v_min_i32_e32 v115, 15, v112
	v_dual_cndmask_b32 v113, 7, v113 :: v_dual_and_b32 v114, 0x80, v114
	s_delay_alu instid0(VALU_DEP_1) | instskip(SKIP_1) | instid1(VALU_DEP_2)
	v_or_b32_e32 v112, v112, v113
	v_and_b32_e32 v116, 7, v113
	v_cmp_ne_u32_e32 vcc_lo, 0, v112
	v_lshlrev_b32_e32 v115, 3, v115
	s_delay_alu instid0(VALU_DEP_1) | instskip(NEXT) | instid1(VALU_DEP_1)
	v_or3_b32 v113, v115, v114, v116
	v_cndmask_b32_e32 v112, 0, v113, vcc_lo
.LBB4_5123:                             ;   in Loop: Header=BB4_4718 Depth=2
	s_or_b32 exec_lo, exec_lo, s27
.LBB4_5124:                             ;   in Loop: Header=BB4_4718 Depth=2
	s_delay_alu instid0(SALU_CYCLE_1)
	s_or_b32 exec_lo, exec_lo, s26
	v_lshrrev_b32_e32 v114, 16, v17
	v_lshrrev_b32_e32 v113, 16, v13
	s_and_b32 vcc_lo, exec_lo, s25
	s_cbranch_vccz .LBB4_5134
; %bb.5125:                             ;   in Loop: Header=BB4_4718 Depth=2
	s_delay_alu instid0(VALU_DEP_2) | instskip(SKIP_2) | instid1(VALU_DEP_1)
	v_and_b32_e32 v116, 0xff, v114
	s_mov_b32 s10, 0
	s_mov_b32 s27, exec_lo
                                        ; implicit-def: $sgpr26
	v_cmpx_lt_i16_e32 0x7f, v116
	s_xor_b32 s27, exec_lo, s27
	s_cbranch_execnz .LBB4_5404
; %bb.5126:                             ;   in Loop: Header=BB4_4718 Depth=2
	s_or_saveexec_b32 s27, s27
	v_mov_b32_e32 v115, s26
	s_xor_b32 exec_lo, exec_lo, s27
	s_cbranch_execnz .LBB4_5407
.LBB4_5127:                             ;   in Loop: Header=BB4_4718 Depth=2
	s_or_b32 exec_lo, exec_lo, s27
	s_and_saveexec_b32 s26, s10
	s_cbranch_execz .LBB4_5129
.LBB4_5128:                             ;   in Loop: Header=BB4_4718 Depth=2
	v_bfe_u32 v115, v17, 16, 3
	v_bfe_u32 v118, v17, 19, 4
	v_lshlrev_b32_e32 v119, 24, v114
	s_delay_alu instid0(VALU_DEP_3) | instskip(NEXT) | instid1(VALU_DEP_3)
	v_clz_i32_u32_e32 v116, v115
	v_cmp_eq_u32_e32 vcc_lo, 0, v118
	s_delay_alu instid0(VALU_DEP_2) | instskip(NEXT) | instid1(VALU_DEP_1)
	v_min_u32_e32 v116, 32, v116
	v_subrev_nc_u32_e32 v117, 28, v116
	v_sub_nc_u32_e32 v116, 29, v116
	s_delay_alu instid0(VALU_DEP_1) | instskip(NEXT) | instid1(VALU_DEP_1)
	v_dual_cndmask_b32 v116, v118, v116 :: v_dual_lshlrev_b32 v117, v117, v114
	v_and_b32_e32 v117, 7, v117
	s_delay_alu instid0(VALU_DEP_2) | instskip(NEXT) | instid1(VALU_DEP_2)
	v_lshl_add_u32 v116, v116, 23, 0x3b800000
	v_cndmask_b32_e32 v115, v115, v117, vcc_lo
	v_and_b32_e32 v117, 0x80000000, v119
	s_delay_alu instid0(VALU_DEP_2) | instskip(NEXT) | instid1(VALU_DEP_1)
	v_lshlrev_b32_e32 v115, 20, v115
	v_or3_b32 v115, v117, v116, v115
.LBB4_5129:                             ;   in Loop: Header=BB4_4718 Depth=2
	s_or_b32 exec_lo, exec_lo, s26
	v_and_b32_e32 v117, 0xff, v113
	s_mov_b32 s10, 0
	s_mov_b32 s27, exec_lo
                                        ; implicit-def: $sgpr26
	s_delay_alu instid0(VALU_DEP_1)
	v_cmpx_lt_i16_e32 0x7f, v117
	s_xor_b32 s27, exec_lo, s27
	s_cbranch_execnz .LBB4_5408
; %bb.5130:                             ;   in Loop: Header=BB4_4718 Depth=2
	s_or_saveexec_b32 s27, s27
	v_mov_b32_e32 v116, s26
	s_xor_b32 exec_lo, exec_lo, s27
	s_cbranch_execnz .LBB4_5411
.LBB4_5131:                             ;   in Loop: Header=BB4_4718 Depth=2
	s_or_b32 exec_lo, exec_lo, s27
	s_and_saveexec_b32 s26, s10
	s_cbranch_execz .LBB4_5133
.LBB4_5132:                             ;   in Loop: Header=BB4_4718 Depth=2
	v_bfe_u32 v116, v13, 16, 3
	v_bfe_u32 v119, v13, 19, 4
	v_lshlrev_b32_e32 v128, 24, v113
	s_delay_alu instid0(VALU_DEP_3) | instskip(NEXT) | instid1(VALU_DEP_3)
	v_clz_i32_u32_e32 v117, v116
	v_cmp_eq_u32_e32 vcc_lo, 0, v119
	s_delay_alu instid0(VALU_DEP_2) | instskip(NEXT) | instid1(VALU_DEP_1)
	v_min_u32_e32 v117, 32, v117
	v_subrev_nc_u32_e32 v118, 28, v117
	v_sub_nc_u32_e32 v117, 29, v117
	s_delay_alu instid0(VALU_DEP_2) | instskip(NEXT) | instid1(VALU_DEP_1)
	v_lshlrev_b32_e32 v118, v118, v113
	v_dual_cndmask_b32 v117, v119, v117 :: v_dual_and_b32 v118, 7, v118
	s_delay_alu instid0(VALU_DEP_1) | instskip(NEXT) | instid1(VALU_DEP_2)
	v_lshl_add_u32 v117, v117, 23, 0x3b800000
	v_cndmask_b32_e32 v116, v116, v118, vcc_lo
	v_and_b32_e32 v118, 0x80000000, v128
	s_delay_alu instid0(VALU_DEP_2) | instskip(NEXT) | instid1(VALU_DEP_1)
	v_lshlrev_b32_e32 v116, 20, v116
	v_or3_b32 v116, v118, v117, v116
.LBB4_5133:                             ;   in Loop: Header=BB4_4718 Depth=2
	s_or_b32 exec_lo, exec_lo, s26
	s_delay_alu instid0(VALU_DEP_1) | instskip(SKIP_1) | instid1(VALU_DEP_1)
	v_dual_max_f32 v116, v116, v116 :: v_dual_max_f32 v115, v115, v115
	s_mov_b32 s10, 0
	v_max_f32_e32 v115, v115, v116
	s_branch .LBB4_5135
.LBB4_5134:                             ;   in Loop: Header=BB4_4718 Depth=2
	s_mov_b32 s10, -1
                                        ; implicit-def: $vgpr115
.LBB4_5135:                             ;   in Loop: Header=BB4_4718 Depth=2
	s_delay_alu instid0(SALU_CYCLE_1)
	s_and_b32 vcc_lo, exec_lo, s10
	s_cbranch_vccz .LBB4_5145
; %bb.5136:                             ;   in Loop: Header=BB4_4718 Depth=2
	v_and_b32_e32 v116, 0xff, v114
	s_mov_b32 s10, 0
	s_mov_b32 s27, exec_lo
                                        ; implicit-def: $sgpr26
	s_delay_alu instid0(VALU_DEP_1)
	v_cmpx_lt_i16_e32 0x7f, v116
	s_xor_b32 s27, exec_lo, s27
	s_cbranch_execnz .LBB4_5412
; %bb.5137:                             ;   in Loop: Header=BB4_4718 Depth=2
	s_or_saveexec_b32 s27, s27
	v_mov_b32_e32 v115, s26
	s_xor_b32 exec_lo, exec_lo, s27
	s_cbranch_execnz .LBB4_5415
.LBB4_5138:                             ;   in Loop: Header=BB4_4718 Depth=2
	s_or_b32 exec_lo, exec_lo, s27
	s_and_saveexec_b32 s26, s10
	s_cbranch_execz .LBB4_5140
.LBB4_5139:                             ;   in Loop: Header=BB4_4718 Depth=2
	v_bfe_u32 v115, v17, 16, 3
	v_bfe_u32 v118, v17, 19, 4
	s_delay_alu instid0(VALU_DEP_2) | instskip(NEXT) | instid1(VALU_DEP_2)
	v_clz_i32_u32_e32 v116, v115
	v_cmp_eq_u32_e32 vcc_lo, 0, v118
	s_delay_alu instid0(VALU_DEP_2) | instskip(NEXT) | instid1(VALU_DEP_1)
	v_min_u32_e32 v116, 32, v116
	v_subrev_nc_u32_e32 v117, 28, v116
	v_sub_nc_u32_e32 v116, 29, v116
	s_delay_alu instid0(VALU_DEP_1) | instskip(NEXT) | instid1(VALU_DEP_1)
	v_dual_cndmask_b32 v116, v118, v116 :: v_dual_lshlrev_b32 v117, v117, v114
	v_and_b32_e32 v117, 7, v117
	v_lshlrev_b32_e32 v114, 24, v114
	s_delay_alu instid0(VALU_DEP_3) | instskip(NEXT) | instid1(VALU_DEP_2)
	v_lshl_add_u32 v116, v116, 23, 0x3b800000
	v_dual_cndmask_b32 v115, v115, v117 :: v_dual_and_b32 v114, 0x80000000, v114
	s_delay_alu instid0(VALU_DEP_1) | instskip(NEXT) | instid1(VALU_DEP_1)
	v_lshlrev_b32_e32 v115, 20, v115
	v_or3_b32 v115, v114, v116, v115
.LBB4_5140:                             ;   in Loop: Header=BB4_4718 Depth=2
	s_or_b32 exec_lo, exec_lo, s26
	v_and_b32_e32 v116, 0xff, v113
	s_mov_b32 s10, 0
	s_mov_b32 s27, exec_lo
                                        ; implicit-def: $sgpr26
	s_delay_alu instid0(VALU_DEP_1)
	v_cmpx_lt_i16_e32 0x7f, v116
	s_xor_b32 s27, exec_lo, s27
	s_cbranch_execnz .LBB4_5416
; %bb.5141:                             ;   in Loop: Header=BB4_4718 Depth=2
	s_or_saveexec_b32 s27, s27
	v_mov_b32_e32 v114, s26
	s_xor_b32 exec_lo, exec_lo, s27
	s_cbranch_execnz .LBB4_5419
.LBB4_5142:                             ;   in Loop: Header=BB4_4718 Depth=2
	s_or_b32 exec_lo, exec_lo, s27
	s_and_saveexec_b32 s26, s10
	s_cbranch_execz .LBB4_5144
.LBB4_5143:                             ;   in Loop: Header=BB4_4718 Depth=2
	v_bfe_u32 v114, v13, 16, 3
	v_bfe_u32 v118, v13, 19, 4
	s_delay_alu instid0(VALU_DEP_2) | instskip(NEXT) | instid1(VALU_DEP_2)
	v_clz_i32_u32_e32 v116, v114
	v_cmp_eq_u32_e32 vcc_lo, 0, v118
	s_delay_alu instid0(VALU_DEP_2) | instskip(NEXT) | instid1(VALU_DEP_1)
	v_min_u32_e32 v116, 32, v116
	v_subrev_nc_u32_e32 v117, 28, v116
	v_sub_nc_u32_e32 v116, 29, v116
	s_delay_alu instid0(VALU_DEP_1) | instskip(SKIP_1) | instid1(VALU_DEP_2)
	v_dual_cndmask_b32 v116, v118, v116 :: v_dual_lshlrev_b32 v117, v117, v113
	v_lshlrev_b32_e32 v113, 24, v113
	v_and_b32_e32 v117, 7, v117
	s_delay_alu instid0(VALU_DEP_3) | instskip(NEXT) | instid1(VALU_DEP_3)
	v_lshl_add_u32 v116, v116, 23, 0x3b800000
	v_and_b32_e32 v113, 0x80000000, v113
	s_delay_alu instid0(VALU_DEP_3) | instskip(NEXT) | instid1(VALU_DEP_1)
	v_cndmask_b32_e32 v114, v114, v117, vcc_lo
	v_lshlrev_b32_e32 v114, 20, v114
	s_delay_alu instid0(VALU_DEP_1)
	v_or3_b32 v114, v113, v116, v114
.LBB4_5144:                             ;   in Loop: Header=BB4_4718 Depth=2
	s_or_b32 exec_lo, exec_lo, s26
	s_delay_alu instid0(VALU_DEP_1) | instskip(NEXT) | instid1(VALU_DEP_1)
	v_dual_max_f32 v113, v114, v114 :: v_dual_max_f32 v114, v115, v115
	v_min_f32_e32 v115, v114, v113
.LBB4_5145:                             ;   in Loop: Header=BB4_4718 Depth=2
	s_delay_alu instid0(VALU_DEP_1) | instskip(NEXT) | instid1(VALU_DEP_1)
	v_and_b32_e32 v113, 0x7f800000, v115
	v_cmp_ne_u32_e32 vcc_lo, 0x7f800000, v113
	v_mov_b32_e32 v113, 0x80
	s_and_saveexec_b32 s26, vcc_lo
	s_cbranch_execz .LBB4_5153
; %bb.5146:                             ;   in Loop: Header=BB4_4718 Depth=2
	v_mov_b32_e32 v113, 0
	s_mov_b32 s27, exec_lo
	v_cmpx_ne_u32_e32 0, v115
	s_cbranch_execz .LBB4_5152
; %bb.5147:                             ;   in Loop: Header=BB4_4718 Depth=2
	v_bfe_u32 v113, v115, 23, 8
	v_and_b32_e32 v114, 0x7fffff, v115
	s_delay_alu instid0(VALU_DEP_2) | instskip(SKIP_1) | instid1(VALU_DEP_3)
	v_sub_nc_u32_e32 v116, 0x78, v113
	v_cmp_gt_u32_e32 vcc_lo, 0x79, v113
	v_or_b32_e32 v117, 0x800000, v114
	s_delay_alu instid0(VALU_DEP_3) | instskip(SKIP_2) | instid1(VALU_DEP_3)
	v_cndmask_b32_e32 v116, 0, v116, vcc_lo
	v_cmp_eq_u32_e32 vcc_lo, 0, v113
	v_add_nc_u32_e32 v113, 0xffffff89, v113
	v_cndmask_b32_e64 v116, v116, 0x77, vcc_lo
	v_cndmask_b32_e32 v114, v117, v114, vcc_lo
	s_delay_alu instid0(VALU_DEP_3) | instskip(NEXT) | instid1(VALU_DEP_3)
	v_cndmask_b32_e64 v113, v113, 0xffffff8a, vcc_lo
	v_lshl_add_u32 v117, 0x100000, v116, -1
	s_delay_alu instid0(VALU_DEP_3) | instskip(SKIP_1) | instid1(VALU_DEP_4)
	v_lshrrev_b32_e32 v118, v116, v114
	v_lshlrev_b32_e64 v128, v116, 0x80000
	v_add_nc_u32_e32 v116, v116, v113
	s_delay_alu instid0(VALU_DEP_4) | instskip(NEXT) | instid1(VALU_DEP_4)
	v_and_b32_e32 v114, v117, v114
	v_bfe_u32 v119, v118, 20, 1
	s_delay_alu instid0(VALU_DEP_2) | instskip(NEXT) | instid1(VALU_DEP_2)
	v_cmp_eq_u32_e64 s10, v114, v128
	v_add_nc_u32_e32 v117, -1, v119
	s_delay_alu instid0(VALU_DEP_1) | instskip(SKIP_2) | instid1(VALU_DEP_2)
	v_cndmask_b32_e64 v114, 0, v117, s10
	v_lshrrev_b32_e32 v117, 23, v118
	s_mov_b32 s10, exec_lo
	v_add_nc_u32_e32 v114, v114, v118
	s_delay_alu instid0(VALU_DEP_2) | instskip(NEXT) | instid1(VALU_DEP_2)
	v_xor_b32_e32 v117, 1, v117
	v_and_b32_e32 v113, 0xfffff, v114
	s_delay_alu instid0(VALU_DEP_1) | instskip(NEXT) | instid1(VALU_DEP_3)
	v_add_nc_u32_e32 v114, v113, v118
                                        ; implicit-def: $vgpr113
	v_cmpx_ne_u32_e64 v116, v117
	s_xor_b32 s10, exec_lo, s10
; %bb.5148:                             ;   in Loop: Header=BB4_4718 Depth=2
	s_delay_alu instid0(VALU_DEP_2) | instskip(SKIP_2) | instid1(VALU_DEP_2)
	v_cmp_lt_u32_e32 vcc_lo, 0xffffff, v114
	v_sub_nc_u32_e32 v113, v116, v117
	v_cndmask_b32_e64 v116, 0, 1, vcc_lo
	v_add_co_ci_u32_e32 v113, vcc_lo, 0, v113, vcc_lo
	s_delay_alu instid0(VALU_DEP_2)
	v_lshrrev_b32_e32 v114, v116, v114
; %bb.5149:                             ;   in Loop: Header=BB4_4718 Depth=2
	s_and_not1_saveexec_b32 s10, s10
; %bb.5150:                             ;   in Loop: Header=BB4_4718 Depth=2
	s_delay_alu instid0(VALU_DEP_1)
	v_bfe_u32 v113, v114, 23, 1
; %bb.5151:                             ;   in Loop: Header=BB4_4718 Depth=2
	s_or_b32 exec_lo, exec_lo, s10
	v_lshrrev_b32_e32 v114, 20, v114
	s_delay_alu instid0(VALU_DEP_2) | instskip(SKIP_2) | instid1(VALU_DEP_2)
	v_cmp_gt_i32_e32 vcc_lo, 16, v113
	v_lshrrev_b32_e32 v115, 24, v115
	v_min_i32_e32 v116, 15, v113
	v_dual_cndmask_b32 v114, 7, v114 :: v_dual_and_b32 v115, 0x80, v115
	s_delay_alu instid0(VALU_DEP_1) | instskip(SKIP_1) | instid1(VALU_DEP_2)
	v_or_b32_e32 v113, v113, v114
	v_and_b32_e32 v117, 7, v114
	v_cmp_ne_u32_e32 vcc_lo, 0, v113
	v_lshlrev_b32_e32 v116, 3, v116
	s_delay_alu instid0(VALU_DEP_1) | instskip(NEXT) | instid1(VALU_DEP_1)
	v_and_b32_e32 v116, 0xf8, v116
	v_or3_b32 v114, v116, v115, v117
	s_delay_alu instid0(VALU_DEP_1)
	v_cndmask_b32_e32 v113, 0, v114, vcc_lo
.LBB4_5152:                             ;   in Loop: Header=BB4_4718 Depth=2
	s_or_b32 exec_lo, exec_lo, s27
.LBB4_5153:                             ;   in Loop: Header=BB4_4718 Depth=2
	s_delay_alu instid0(SALU_CYCLE_1)
	s_or_b32 exec_lo, exec_lo, s26
	v_lshrrev_b32_e32 v115, 24, v17
	v_lshrrev_b32_e32 v114, 24, v13
	s_and_b32 vcc_lo, exec_lo, s25
	s_cbranch_vccz .LBB4_5163
; %bb.5154:                             ;   in Loop: Header=BB4_4718 Depth=2
	s_mov_b32 s10, 0
	s_mov_b32 s27, exec_lo
                                        ; implicit-def: $sgpr26
	v_cmpx_lt_i16_e32 0x7f, v115
	s_xor_b32 s27, exec_lo, s27
	s_cbranch_execnz .LBB4_5420
; %bb.5155:                             ;   in Loop: Header=BB4_4718 Depth=2
	s_or_saveexec_b32 s27, s27
	v_mov_b32_e32 v116, s26
	s_xor_b32 exec_lo, exec_lo, s27
	s_cbranch_execnz .LBB4_5423
.LBB4_5156:                             ;   in Loop: Header=BB4_4718 Depth=2
	s_or_b32 exec_lo, exec_lo, s27
	s_and_saveexec_b32 s26, s10
	s_cbranch_execz .LBB4_5158
.LBB4_5157:                             ;   in Loop: Header=BB4_4718 Depth=2
	v_bfe_u32 v116, v17, 24, 3
	v_bfe_u32 v119, v17, 27, 4
	s_delay_alu instid0(VALU_DEP_2) | instskip(NEXT) | instid1(VALU_DEP_2)
	v_clz_i32_u32_e32 v117, v116
	v_cmp_eq_u32_e32 vcc_lo, 0, v119
	s_delay_alu instid0(VALU_DEP_2) | instskip(NEXT) | instid1(VALU_DEP_1)
	v_min_u32_e32 v117, 32, v117
	v_subrev_nc_u32_e32 v118, 28, v117
	v_sub_nc_u32_e32 v117, 29, v117
	s_delay_alu instid0(VALU_DEP_1) | instskip(NEXT) | instid1(VALU_DEP_1)
	v_dual_cndmask_b32 v117, v119, v117 :: v_dual_lshlrev_b32 v118, v118, v115
	v_and_b32_e32 v118, 7, v118
	s_delay_alu instid0(VALU_DEP_2) | instskip(NEXT) | instid1(VALU_DEP_2)
	v_lshl_add_u32 v117, v117, 23, 0x3b800000
	v_cndmask_b32_e32 v116, v116, v118, vcc_lo
	v_and_b32_e32 v118, 0x80000000, v17
	s_delay_alu instid0(VALU_DEP_2) | instskip(NEXT) | instid1(VALU_DEP_1)
	v_lshlrev_b32_e32 v116, 20, v116
	v_or3_b32 v116, v118, v117, v116
.LBB4_5158:                             ;   in Loop: Header=BB4_4718 Depth=2
	s_or_b32 exec_lo, exec_lo, s26
	s_mov_b32 s10, 0
	s_mov_b32 s27, exec_lo
                                        ; implicit-def: $sgpr26
	v_cmpx_lt_i16_e32 0x7f, v114
	s_xor_b32 s27, exec_lo, s27
	s_cbranch_execnz .LBB4_5424
; %bb.5159:                             ;   in Loop: Header=BB4_4718 Depth=2
	s_or_saveexec_b32 s27, s27
	v_mov_b32_e32 v117, s26
	s_xor_b32 exec_lo, exec_lo, s27
	s_cbranch_execnz .LBB4_5427
.LBB4_5160:                             ;   in Loop: Header=BB4_4718 Depth=2
	s_or_b32 exec_lo, exec_lo, s27
	s_and_saveexec_b32 s26, s10
	s_cbranch_execz .LBB4_5162
.LBB4_5161:                             ;   in Loop: Header=BB4_4718 Depth=2
	v_bfe_u32 v117, v13, 24, 3
	v_bfe_u32 v128, v13, 27, 4
	s_delay_alu instid0(VALU_DEP_2) | instskip(NEXT) | instid1(VALU_DEP_2)
	v_clz_i32_u32_e32 v118, v117
	v_cmp_eq_u32_e32 vcc_lo, 0, v128
	s_delay_alu instid0(VALU_DEP_2) | instskip(NEXT) | instid1(VALU_DEP_1)
	v_min_u32_e32 v118, 32, v118
	v_subrev_nc_u32_e32 v119, 28, v118
	v_sub_nc_u32_e32 v118, 29, v118
	s_delay_alu instid0(VALU_DEP_2) | instskip(NEXT) | instid1(VALU_DEP_1)
	v_lshlrev_b32_e32 v119, v119, v114
	v_dual_cndmask_b32 v118, v128, v118 :: v_dual_and_b32 v119, 7, v119
	s_delay_alu instid0(VALU_DEP_1) | instskip(NEXT) | instid1(VALU_DEP_2)
	v_lshl_add_u32 v118, v118, 23, 0x3b800000
	v_cndmask_b32_e32 v117, v117, v119, vcc_lo
	v_and_b32_e32 v119, 0x80000000, v13
	s_delay_alu instid0(VALU_DEP_2) | instskip(NEXT) | instid1(VALU_DEP_1)
	v_lshlrev_b32_e32 v117, 20, v117
	v_or3_b32 v117, v119, v118, v117
.LBB4_5162:                             ;   in Loop: Header=BB4_4718 Depth=2
	s_or_b32 exec_lo, exec_lo, s26
	s_delay_alu instid0(VALU_DEP_1) | instskip(SKIP_1) | instid1(VALU_DEP_1)
	v_dual_max_f32 v117, v117, v117 :: v_dual_max_f32 v116, v116, v116
	s_mov_b32 s10, 0
	v_max_f32_e32 v116, v116, v117
	s_branch .LBB4_5164
.LBB4_5163:                             ;   in Loop: Header=BB4_4718 Depth=2
	s_mov_b32 s10, -1
                                        ; implicit-def: $vgpr116
.LBB4_5164:                             ;   in Loop: Header=BB4_4718 Depth=2
	s_delay_alu instid0(SALU_CYCLE_1)
	s_and_b32 vcc_lo, exec_lo, s10
	s_cbranch_vccz .LBB4_5174
; %bb.5165:                             ;   in Loop: Header=BB4_4718 Depth=2
	s_mov_b32 s10, 0
	s_mov_b32 s27, exec_lo
                                        ; implicit-def: $sgpr26
	v_cmpx_lt_i16_e32 0x7f, v115
	s_xor_b32 s27, exec_lo, s27
	s_cbranch_execnz .LBB4_5428
; %bb.5166:                             ;   in Loop: Header=BB4_4718 Depth=2
	s_or_saveexec_b32 s27, s27
	v_mov_b32_e32 v116, s26
	s_xor_b32 exec_lo, exec_lo, s27
	s_cbranch_execnz .LBB4_5431
.LBB4_5167:                             ;   in Loop: Header=BB4_4718 Depth=2
	s_or_b32 exec_lo, exec_lo, s27
	s_and_saveexec_b32 s26, s10
	s_cbranch_execz .LBB4_5169
.LBB4_5168:                             ;   in Loop: Header=BB4_4718 Depth=2
	v_bfe_u32 v116, v17, 24, 3
	s_delay_alu instid0(VALU_DEP_1) | instskip(NEXT) | instid1(VALU_DEP_1)
	v_clz_i32_u32_e32 v117, v116
	v_min_u32_e32 v117, 32, v117
	s_delay_alu instid0(VALU_DEP_1) | instskip(SKIP_1) | instid1(VALU_DEP_2)
	v_subrev_nc_u32_e32 v118, 28, v117
	v_sub_nc_u32_e32 v117, 29, v117
	v_lshlrev_b32_e32 v115, v118, v115
	v_bfe_u32 v118, v17, 27, 4
	v_and_b32_e32 v17, 0x80000000, v17
	s_delay_alu instid0(VALU_DEP_3) | instskip(NEXT) | instid1(VALU_DEP_3)
	v_and_b32_e32 v115, 7, v115
	v_cmp_eq_u32_e32 vcc_lo, 0, v118
	v_cndmask_b32_e32 v117, v118, v117, vcc_lo
	s_delay_alu instid0(VALU_DEP_3) | instskip(NEXT) | instid1(VALU_DEP_2)
	v_cndmask_b32_e32 v115, v116, v115, vcc_lo
	v_lshl_add_u32 v116, v117, 23, 0x3b800000
	s_delay_alu instid0(VALU_DEP_2) | instskip(NEXT) | instid1(VALU_DEP_1)
	v_lshlrev_b32_e32 v115, 20, v115
	v_or3_b32 v116, v17, v116, v115
.LBB4_5169:                             ;   in Loop: Header=BB4_4718 Depth=2
	s_or_b32 exec_lo, exec_lo, s26
	s_mov_b32 s10, 0
	s_mov_b32 s27, exec_lo
                                        ; implicit-def: $sgpr26
	v_cmpx_lt_i16_e32 0x7f, v114
	s_xor_b32 s27, exec_lo, s27
	s_cbranch_execnz .LBB4_5432
; %bb.5170:                             ;   in Loop: Header=BB4_4718 Depth=2
	s_or_saveexec_b32 s27, s27
	v_mov_b32_e32 v17, s26
	s_xor_b32 exec_lo, exec_lo, s27
	s_cbranch_execnz .LBB4_5435
.LBB4_5171:                             ;   in Loop: Header=BB4_4718 Depth=2
	s_or_b32 exec_lo, exec_lo, s27
	s_and_saveexec_b32 s26, s10
	s_cbranch_execz .LBB4_5173
.LBB4_5172:                             ;   in Loop: Header=BB4_4718 Depth=2
	v_bfe_u32 v17, v13, 24, 3
	s_delay_alu instid0(VALU_DEP_1) | instskip(NEXT) | instid1(VALU_DEP_1)
	v_clz_i32_u32_e32 v115, v17
	v_min_u32_e32 v115, 32, v115
	s_delay_alu instid0(VALU_DEP_1) | instskip(SKIP_1) | instid1(VALU_DEP_2)
	v_subrev_nc_u32_e32 v117, 28, v115
	v_sub_nc_u32_e32 v115, 29, v115
	v_lshlrev_b32_e32 v114, v117, v114
	v_bfe_u32 v117, v13, 27, 4
	v_and_b32_e32 v13, 0x80000000, v13
	s_delay_alu instid0(VALU_DEP_2) | instskip(NEXT) | instid1(VALU_DEP_4)
	v_cmp_eq_u32_e32 vcc_lo, 0, v117
	v_dual_cndmask_b32 v115, v117, v115 :: v_dual_and_b32 v114, 7, v114
	s_delay_alu instid0(VALU_DEP_1) | instskip(NEXT) | instid1(VALU_DEP_2)
	v_cndmask_b32_e32 v17, v17, v114, vcc_lo
	v_lshl_add_u32 v114, v115, 23, 0x3b800000
	s_delay_alu instid0(VALU_DEP_2) | instskip(NEXT) | instid1(VALU_DEP_1)
	v_lshlrev_b32_e32 v17, 20, v17
	v_or3_b32 v17, v13, v114, v17
.LBB4_5173:                             ;   in Loop: Header=BB4_4718 Depth=2
	s_or_b32 exec_lo, exec_lo, s26
	s_delay_alu instid0(VALU_DEP_1) | instskip(SKIP_1) | instid1(VALU_DEP_1)
	v_max_f32_e32 v13, v17, v17
	v_max_f32_e32 v17, v116, v116
	v_min_f32_e32 v116, v17, v13
.LBB4_5174:                             ;   in Loop: Header=BB4_4718 Depth=2
	s_delay_alu instid0(VALU_DEP_1) | instskip(NEXT) | instid1(VALU_DEP_1)
	v_and_b32_e32 v13, 0x7f800000, v116
	v_cmp_ne_u32_e32 vcc_lo, 0x7f800000, v13
	v_mov_b32_e32 v13, 0x8000
	s_and_saveexec_b32 s26, vcc_lo
	s_cbranch_execz .LBB4_4717
; %bb.5175:                             ;   in Loop: Header=BB4_4718 Depth=2
	v_mov_b32_e32 v13, 0
	s_mov_b32 s27, exec_lo
	v_cmpx_ne_u32_e32 0, v116
	s_cbranch_execz .LBB4_4716
; %bb.5176:                             ;   in Loop: Header=BB4_4718 Depth=2
	v_bfe_u32 v13, v116, 23, 8
	s_delay_alu instid0(VALU_DEP_1) | instskip(SKIP_1) | instid1(VALU_DEP_2)
	v_sub_nc_u32_e32 v114, 0x78, v13
	v_cmp_gt_u32_e32 vcc_lo, 0x79, v13
	v_dual_cndmask_b32 v114, 0, v114 :: v_dual_and_b32 v17, 0x7fffff, v116
	s_delay_alu instid0(VALU_DEP_1) | instskip(SKIP_2) | instid1(VALU_DEP_4)
	v_or_b32_e32 v115, 0x800000, v17
	v_cmp_eq_u32_e32 vcc_lo, 0, v13
	v_add_nc_u32_e32 v13, 0xffffff89, v13
	v_cndmask_b32_e64 v114, v114, 0x77, vcc_lo
	s_delay_alu instid0(VALU_DEP_4) | instskip(NEXT) | instid1(VALU_DEP_3)
	v_cndmask_b32_e32 v17, v115, v17, vcc_lo
	v_cndmask_b32_e64 v13, v13, 0xffffff8a, vcc_lo
	s_delay_alu instid0(VALU_DEP_3) | instskip(NEXT) | instid1(VALU_DEP_3)
	v_lshl_add_u32 v115, 0x100000, v114, -1
	v_lshrrev_b32_e32 v117, v114, v17
	v_lshlrev_b32_e64 v119, v114, 0x80000
	s_delay_alu instid0(VALU_DEP_4) | instskip(NEXT) | instid1(VALU_DEP_4)
	v_add_nc_u32_e32 v114, v114, v13
	v_and_b32_e32 v17, v115, v17
	s_delay_alu instid0(VALU_DEP_4) | instskip(NEXT) | instid1(VALU_DEP_2)
	v_bfe_u32 v118, v117, 20, 1
	v_cmp_eq_u32_e64 s10, v17, v119
	s_delay_alu instid0(VALU_DEP_2) | instskip(NEXT) | instid1(VALU_DEP_1)
	v_add_nc_u32_e32 v115, -1, v118
	v_cndmask_b32_e64 v17, 0, v115, s10
	v_lshrrev_b32_e32 v115, 23, v117
	s_mov_b32 s10, exec_lo
	s_delay_alu instid0(VALU_DEP_2) | instskip(NEXT) | instid1(VALU_DEP_2)
	v_add_nc_u32_e32 v17, v17, v117
	v_xor_b32_e32 v115, 1, v115
	s_delay_alu instid0(VALU_DEP_2) | instskip(NEXT) | instid1(VALU_DEP_1)
	v_and_b32_e32 v13, 0xfffff, v17
	v_add_nc_u32_e32 v17, v13, v117
                                        ; implicit-def: $vgpr13
	s_delay_alu instid0(VALU_DEP_3)
	v_cmpx_ne_u32_e64 v114, v115
	s_xor_b32 s10, exec_lo, s10
; %bb.5177:                             ;   in Loop: Header=BB4_4718 Depth=2
	s_delay_alu instid0(VALU_DEP_2) | instskip(SKIP_2) | instid1(VALU_DEP_2)
	v_cmp_lt_u32_e32 vcc_lo, 0xffffff, v17
	v_sub_nc_u32_e32 v13, v114, v115
	v_cndmask_b32_e64 v114, 0, 1, vcc_lo
	v_add_co_ci_u32_e32 v13, vcc_lo, 0, v13, vcc_lo
	s_delay_alu instid0(VALU_DEP_2)
	v_lshrrev_b32_e32 v17, v114, v17
; %bb.5178:                             ;   in Loop: Header=BB4_4718 Depth=2
	s_and_not1_saveexec_b32 s10, s10
	s_cbranch_execz .LBB4_4715
; %bb.5179:                             ;   in Loop: Header=BB4_4718 Depth=2
	s_delay_alu instid0(VALU_DEP_1)
	v_bfe_u32 v13, v17, 23, 1
	s_branch .LBB4_4715
.LBB4_5180:                             ;   in Loop: Header=BB4_4718 Depth=2
	s_mov_b32 s10, -1
	s_mov_b32 s28, exec_lo
                                        ; implicit-def: $sgpr26
	v_cmpx_eq_u16_e32 0x80, v67
; %bb.5181:                             ;   in Loop: Header=BB4_4718 Depth=2
	s_mov_b32 s26, 0x7f800001
	s_xor_b32 s10, exec_lo, -1
; %bb.5182:                             ;   in Loop: Header=BB4_4718 Depth=2
	s_or_b32 exec_lo, exec_lo, s28
	s_delay_alu instid0(SALU_CYCLE_1)
	s_and_b32 s10, s10, exec_lo
                                        ; implicit-def: $vgpr67
	s_or_saveexec_b32 s27, s27
	v_mov_b32_e32 v66, s26
	s_xor_b32 exec_lo, exec_lo, s27
	s_cbranch_execz .LBB4_4721
.LBB4_5183:                             ;   in Loop: Header=BB4_4718 Depth=2
	v_cmp_ne_u16_e32 vcc_lo, 0, v67
	v_mov_b32_e32 v66, 0
	s_and_not1_b32 s10, s10, exec_lo
	s_and_b32 s26, vcc_lo, exec_lo
	s_delay_alu instid0(SALU_CYCLE_1)
	s_or_b32 s10, s10, s26
	s_or_b32 exec_lo, exec_lo, s27
	s_and_saveexec_b32 s26, s10
	s_cbranch_execnz .LBB4_4722
	s_branch .LBB4_4723
.LBB4_5184:                             ;   in Loop: Header=BB4_4718 Depth=2
	s_mov_b32 s10, -1
	s_mov_b32 s28, exec_lo
                                        ; implicit-def: $sgpr26
	v_cmpx_eq_u16_e32 0x80, v68
; %bb.5185:                             ;   in Loop: Header=BB4_4718 Depth=2
	s_mov_b32 s26, 0x7f800001
	s_xor_b32 s10, exec_lo, -1
; %bb.5186:                             ;   in Loop: Header=BB4_4718 Depth=2
	s_or_b32 exec_lo, exec_lo, s28
	s_delay_alu instid0(SALU_CYCLE_1)
	s_and_b32 s10, s10, exec_lo
                                        ; implicit-def: $vgpr68
	s_or_saveexec_b32 s27, s27
	v_mov_b32_e32 v67, s26
	s_xor_b32 exec_lo, exec_lo, s27
	s_cbranch_execz .LBB4_4725
.LBB4_5187:                             ;   in Loop: Header=BB4_4718 Depth=2
	v_cmp_ne_u16_e32 vcc_lo, 0, v68
	v_mov_b32_e32 v67, 0
	s_and_not1_b32 s10, s10, exec_lo
	s_and_b32 s26, vcc_lo, exec_lo
	s_delay_alu instid0(SALU_CYCLE_1)
	s_or_b32 s10, s10, s26
	s_or_b32 exec_lo, exec_lo, s27
	s_and_saveexec_b32 s26, s10
	s_cbranch_execnz .LBB4_4726
	s_branch .LBB4_4727
.LBB4_5188:                             ;   in Loop: Header=BB4_4718 Depth=2
	s_mov_b32 s10, -1
	s_mov_b32 s28, exec_lo
                                        ; implicit-def: $sgpr26
	v_cmpx_eq_u16_e32 0x80, v67
; %bb.5189:                             ;   in Loop: Header=BB4_4718 Depth=2
	s_mov_b32 s26, 0x7f800001
	s_xor_b32 s10, exec_lo, -1
; %bb.5190:                             ;   in Loop: Header=BB4_4718 Depth=2
	s_or_b32 exec_lo, exec_lo, s28
	s_delay_alu instid0(SALU_CYCLE_1)
	s_and_b32 s10, s10, exec_lo
                                        ; implicit-def: $vgpr67
	s_or_saveexec_b32 s27, s27
	v_mov_b32_e32 v66, s26
	s_xor_b32 exec_lo, exec_lo, s27
	s_cbranch_execz .LBB4_4732
.LBB4_5191:                             ;   in Loop: Header=BB4_4718 Depth=2
	v_cmp_ne_u16_e32 vcc_lo, 0, v67
	v_mov_b32_e32 v66, 0
	s_and_not1_b32 s10, s10, exec_lo
	s_and_b32 s26, vcc_lo, exec_lo
	s_delay_alu instid0(SALU_CYCLE_1)
	s_or_b32 s10, s10, s26
	s_or_b32 exec_lo, exec_lo, s27
	s_and_saveexec_b32 s26, s10
	s_cbranch_execnz .LBB4_4733
	s_branch .LBB4_4734
.LBB4_5192:                             ;   in Loop: Header=BB4_4718 Depth=2
	s_mov_b32 s10, -1
	s_mov_b32 s28, exec_lo
                                        ; implicit-def: $sgpr26
	v_cmpx_eq_u16_e32 0x80, v68
; %bb.5193:                             ;   in Loop: Header=BB4_4718 Depth=2
	s_mov_b32 s26, 0x7f800001
	s_xor_b32 s10, exec_lo, -1
; %bb.5194:                             ;   in Loop: Header=BB4_4718 Depth=2
	s_or_b32 exec_lo, exec_lo, s28
	s_delay_alu instid0(SALU_CYCLE_1)
	s_and_b32 s10, s10, exec_lo
                                        ; implicit-def: $vgpr68
	s_or_saveexec_b32 s27, s27
	v_mov_b32_e32 v67, s26
	s_xor_b32 exec_lo, exec_lo, s27
	s_cbranch_execz .LBB4_4736
.LBB4_5195:                             ;   in Loop: Header=BB4_4718 Depth=2
	v_cmp_ne_u16_e32 vcc_lo, 0, v68
	v_mov_b32_e32 v67, 0
	s_and_not1_b32 s10, s10, exec_lo
	s_and_b32 s26, vcc_lo, exec_lo
	s_delay_alu instid0(SALU_CYCLE_1)
	s_or_b32 s10, s10, s26
	s_or_b32 exec_lo, exec_lo, s27
	s_and_saveexec_b32 s26, s10
	s_cbranch_execnz .LBB4_4737
	s_branch .LBB4_4738
.LBB4_5196:                             ;   in Loop: Header=BB4_4718 Depth=2
	s_mov_b32 s10, -1
	s_mov_b32 s28, exec_lo
                                        ; implicit-def: $sgpr26
	v_cmpx_eq_u16_e32 0x80, v68
; %bb.5197:                             ;   in Loop: Header=BB4_4718 Depth=2
	s_mov_b32 s26, 0x7f800001
	s_xor_b32 s10, exec_lo, -1
; %bb.5198:                             ;   in Loop: Header=BB4_4718 Depth=2
	s_or_b32 exec_lo, exec_lo, s28
	s_delay_alu instid0(SALU_CYCLE_1)
	s_and_b32 s10, s10, exec_lo
	s_or_saveexec_b32 s27, s27
	v_mov_b32_e32 v69, s26
	s_xor_b32 exec_lo, exec_lo, s27
	s_cbranch_execz .LBB4_4750
.LBB4_5199:                             ;   in Loop: Header=BB4_4718 Depth=2
	v_cmp_ne_u16_e32 vcc_lo, 0, v68
	v_mov_b32_e32 v69, 0
	s_and_not1_b32 s10, s10, exec_lo
	s_and_b32 s26, vcc_lo, exec_lo
	s_delay_alu instid0(SALU_CYCLE_1)
	s_or_b32 s10, s10, s26
	s_or_b32 exec_lo, exec_lo, s27
	s_and_saveexec_b32 s26, s10
	s_cbranch_execnz .LBB4_4751
	s_branch .LBB4_4752
.LBB4_5200:                             ;   in Loop: Header=BB4_4718 Depth=2
	s_mov_b32 s10, -1
	s_mov_b32 s28, exec_lo
                                        ; implicit-def: $sgpr26
	v_cmpx_eq_u16_e32 0x80, v67
; %bb.5201:                             ;   in Loop: Header=BB4_4718 Depth=2
	s_mov_b32 s26, 0x7f800001
	s_xor_b32 s10, exec_lo, -1
; %bb.5202:                             ;   in Loop: Header=BB4_4718 Depth=2
	s_or_b32 exec_lo, exec_lo, s28
	s_delay_alu instid0(SALU_CYCLE_1)
	s_and_b32 s10, s10, exec_lo
	s_or_saveexec_b32 s27, s27
	v_mov_b32_e32 v101, s26
	s_xor_b32 exec_lo, exec_lo, s27
	s_cbranch_execz .LBB4_4754
.LBB4_5203:                             ;   in Loop: Header=BB4_4718 Depth=2
	v_cmp_ne_u16_e32 vcc_lo, 0, v67
	v_mov_b32_e32 v101, 0
	s_and_not1_b32 s10, s10, exec_lo
	s_and_b32 s26, vcc_lo, exec_lo
	s_delay_alu instid0(SALU_CYCLE_1)
	s_or_b32 s10, s10, s26
	s_or_b32 exec_lo, exec_lo, s27
	s_and_saveexec_b32 s26, s10
	s_cbranch_execnz .LBB4_4755
	s_branch .LBB4_4756
.LBB4_5204:                             ;   in Loop: Header=BB4_4718 Depth=2
	s_mov_b32 s10, -1
	s_mov_b32 s28, exec_lo
                                        ; implicit-def: $sgpr26
	v_cmpx_eq_u16_e32 0x80, v68
; %bb.5205:                             ;   in Loop: Header=BB4_4718 Depth=2
	s_mov_b32 s26, 0x7f800001
	s_xor_b32 s10, exec_lo, -1
; %bb.5206:                             ;   in Loop: Header=BB4_4718 Depth=2
	s_or_b32 exec_lo, exec_lo, s28
	s_delay_alu instid0(SALU_CYCLE_1)
	s_and_b32 s10, s10, exec_lo
	s_or_saveexec_b32 s27, s27
	v_mov_b32_e32 v69, s26
	s_xor_b32 exec_lo, exec_lo, s27
	s_cbranch_execz .LBB4_4761
.LBB4_5207:                             ;   in Loop: Header=BB4_4718 Depth=2
	v_cmp_ne_u16_e32 vcc_lo, 0, v68
	v_mov_b32_e32 v69, 0
	s_and_not1_b32 s10, s10, exec_lo
	s_and_b32 s26, vcc_lo, exec_lo
	s_delay_alu instid0(SALU_CYCLE_1)
	s_or_b32 s10, s10, s26
	s_or_b32 exec_lo, exec_lo, s27
	s_and_saveexec_b32 s26, s10
	s_cbranch_execnz .LBB4_4762
	s_branch .LBB4_4763
.LBB4_5208:                             ;   in Loop: Header=BB4_4718 Depth=2
	s_mov_b32 s10, -1
	s_mov_b32 s28, exec_lo
                                        ; implicit-def: $sgpr26
	v_cmpx_eq_u16_e32 0x80, v67
; %bb.5209:                             ;   in Loop: Header=BB4_4718 Depth=2
	s_mov_b32 s26, 0x7f800001
	s_xor_b32 s10, exec_lo, -1
; %bb.5210:                             ;   in Loop: Header=BB4_4718 Depth=2
	s_or_b32 exec_lo, exec_lo, s28
	s_delay_alu instid0(SALU_CYCLE_1)
	s_and_b32 s10, s10, exec_lo
	s_or_saveexec_b32 s27, s27
	v_mov_b32_e32 v68, s26
	s_xor_b32 exec_lo, exec_lo, s27
	s_cbranch_execz .LBB4_4765
.LBB4_5211:                             ;   in Loop: Header=BB4_4718 Depth=2
	v_cmp_ne_u16_e32 vcc_lo, 0, v67
	v_mov_b32_e32 v68, 0
	s_and_not1_b32 s10, s10, exec_lo
	s_and_b32 s26, vcc_lo, exec_lo
	s_delay_alu instid0(SALU_CYCLE_1)
	s_or_b32 s10, s10, s26
	s_or_b32 exec_lo, exec_lo, s27
	s_and_saveexec_b32 s26, s10
	s_cbranch_execnz .LBB4_4766
	s_branch .LBB4_4767
.LBB4_5212:                             ;   in Loop: Header=BB4_4718 Depth=2
	s_mov_b32 s10, -1
	s_mov_b32 s28, exec_lo
                                        ; implicit-def: $sgpr26
	v_cmpx_eq_u16_e32 0x80, v102
; %bb.5213:                             ;   in Loop: Header=BB4_4718 Depth=2
	s_mov_b32 s26, 0x7f800001
	s_xor_b32 s10, exec_lo, -1
; %bb.5214:                             ;   in Loop: Header=BB4_4718 Depth=2
	s_or_b32 exec_lo, exec_lo, s28
	s_delay_alu instid0(SALU_CYCLE_1)
	s_and_b32 s10, s10, exec_lo
                                        ; implicit-def: $vgpr102
	s_or_saveexec_b32 s27, s27
	v_mov_b32_e32 v101, s26
	s_xor_b32 exec_lo, exec_lo, s27
	s_cbranch_execz .LBB4_4779
.LBB4_5215:                             ;   in Loop: Header=BB4_4718 Depth=2
	v_cmp_ne_u16_e32 vcc_lo, 0, v102
	v_mov_b32_e32 v101, 0
	s_and_not1_b32 s10, s10, exec_lo
	s_and_b32 s26, vcc_lo, exec_lo
	s_delay_alu instid0(SALU_CYCLE_1)
	s_or_b32 s10, s10, s26
	s_or_b32 exec_lo, exec_lo, s27
	s_and_saveexec_b32 s26, s10
	s_cbranch_execnz .LBB4_4780
	s_branch .LBB4_4781
.LBB4_5216:                             ;   in Loop: Header=BB4_4718 Depth=2
	s_mov_b32 s10, -1
	s_mov_b32 s28, exec_lo
                                        ; implicit-def: $sgpr26
	v_cmpx_eq_u16_e32 0x80, v103
; %bb.5217:                             ;   in Loop: Header=BB4_4718 Depth=2
	s_mov_b32 s26, 0x7f800001
	s_xor_b32 s10, exec_lo, -1
; %bb.5218:                             ;   in Loop: Header=BB4_4718 Depth=2
	s_or_b32 exec_lo, exec_lo, s28
	s_delay_alu instid0(SALU_CYCLE_1)
	s_and_b32 s10, s10, exec_lo
                                        ; implicit-def: $vgpr103
	s_or_saveexec_b32 s27, s27
	v_mov_b32_e32 v102, s26
	s_xor_b32 exec_lo, exec_lo, s27
	s_cbranch_execz .LBB4_4783
.LBB4_5219:                             ;   in Loop: Header=BB4_4718 Depth=2
	v_cmp_ne_u16_e32 vcc_lo, 0, v103
	v_mov_b32_e32 v102, 0
	s_and_not1_b32 s10, s10, exec_lo
	s_and_b32 s26, vcc_lo, exec_lo
	s_delay_alu instid0(SALU_CYCLE_1)
	s_or_b32 s10, s10, s26
	s_or_b32 exec_lo, exec_lo, s27
	s_and_saveexec_b32 s26, s10
	s_cbranch_execnz .LBB4_4784
	s_branch .LBB4_4785
.LBB4_5220:                             ;   in Loop: Header=BB4_4718 Depth=2
	s_mov_b32 s10, -1
	s_mov_b32 s28, exec_lo
                                        ; implicit-def: $sgpr26
	v_cmpx_eq_u16_e32 0x80, v102
; %bb.5221:                             ;   in Loop: Header=BB4_4718 Depth=2
	s_mov_b32 s26, 0x7f800001
	s_xor_b32 s10, exec_lo, -1
; %bb.5222:                             ;   in Loop: Header=BB4_4718 Depth=2
	s_or_b32 exec_lo, exec_lo, s28
	s_delay_alu instid0(SALU_CYCLE_1)
	s_and_b32 s10, s10, exec_lo
                                        ; implicit-def: $vgpr102
	s_or_saveexec_b32 s27, s27
	v_mov_b32_e32 v101, s26
	s_xor_b32 exec_lo, exec_lo, s27
	s_cbranch_execz .LBB4_4790
.LBB4_5223:                             ;   in Loop: Header=BB4_4718 Depth=2
	v_cmp_ne_u16_e32 vcc_lo, 0, v102
	v_mov_b32_e32 v101, 0
	s_and_not1_b32 s10, s10, exec_lo
	s_and_b32 s26, vcc_lo, exec_lo
	s_delay_alu instid0(SALU_CYCLE_1)
	s_or_b32 s10, s10, s26
	s_or_b32 exec_lo, exec_lo, s27
	s_and_saveexec_b32 s26, s10
	s_cbranch_execnz .LBB4_4791
	s_branch .LBB4_4792
.LBB4_5224:                             ;   in Loop: Header=BB4_4718 Depth=2
	s_mov_b32 s10, -1
	s_mov_b32 s28, exec_lo
                                        ; implicit-def: $sgpr26
	v_cmpx_eq_u16_e32 0x80, v102
; %bb.5225:                             ;   in Loop: Header=BB4_4718 Depth=2
	s_mov_b32 s26, 0x7f800001
	s_xor_b32 s10, exec_lo, -1
; %bb.5226:                             ;   in Loop: Header=BB4_4718 Depth=2
	s_or_b32 exec_lo, exec_lo, s28
	s_delay_alu instid0(SALU_CYCLE_1)
	s_and_b32 s10, s10, exec_lo
                                        ; implicit-def: $vgpr102
	s_or_saveexec_b32 s27, s27
	v_mov_b32_e32 v69, s26
	s_xor_b32 exec_lo, exec_lo, s27
	s_cbranch_execz .LBB4_4794
.LBB4_5227:                             ;   in Loop: Header=BB4_4718 Depth=2
	v_cmp_ne_u16_e32 vcc_lo, 0, v102
	v_mov_b32_e32 v69, 0
	s_and_not1_b32 s10, s10, exec_lo
	s_and_b32 s26, vcc_lo, exec_lo
	s_delay_alu instid0(SALU_CYCLE_1)
	s_or_b32 s10, s10, s26
	s_or_b32 exec_lo, exec_lo, s27
	s_and_saveexec_b32 s26, s10
	s_cbranch_execnz .LBB4_4795
	s_branch .LBB4_4796
.LBB4_5228:                             ;   in Loop: Header=BB4_4718 Depth=2
	s_mov_b32 s10, -1
	s_mov_b32 s28, exec_lo
                                        ; implicit-def: $sgpr26
	v_cmpx_eq_u16_e32 0x80, v101
; %bb.5229:                             ;   in Loop: Header=BB4_4718 Depth=2
	s_mov_b32 s26, 0x7f800001
	s_xor_b32 s10, exec_lo, -1
; %bb.5230:                             ;   in Loop: Header=BB4_4718 Depth=2
	s_or_b32 exec_lo, exec_lo, s28
	s_delay_alu instid0(SALU_CYCLE_1)
	s_and_b32 s10, s10, exec_lo
	s_or_saveexec_b32 s27, s27
	v_mov_b32_e32 v102, s26
	s_xor_b32 exec_lo, exec_lo, s27
	s_cbranch_execz .LBB4_4808
.LBB4_5231:                             ;   in Loop: Header=BB4_4718 Depth=2
	v_cmp_ne_u16_e32 vcc_lo, 0, v101
	v_mov_b32_e32 v102, 0
	s_and_not1_b32 s10, s10, exec_lo
	s_and_b32 s26, vcc_lo, exec_lo
	s_delay_alu instid0(SALU_CYCLE_1)
	s_or_b32 s10, s10, s26
	s_or_b32 exec_lo, exec_lo, s27
	s_and_saveexec_b32 s26, s10
	s_cbranch_execnz .LBB4_4809
	s_branch .LBB4_4810
.LBB4_5232:                             ;   in Loop: Header=BB4_4718 Depth=2
	s_mov_b32 s10, -1
	s_mov_b32 s28, exec_lo
                                        ; implicit-def: $sgpr26
	v_cmpx_eq_u16_e32 0x80, v69
; %bb.5233:                             ;   in Loop: Header=BB4_4718 Depth=2
	s_mov_b32 s26, 0x7f800001
	s_xor_b32 s10, exec_lo, -1
; %bb.5234:                             ;   in Loop: Header=BB4_4718 Depth=2
	s_or_b32 exec_lo, exec_lo, s28
	s_delay_alu instid0(SALU_CYCLE_1)
	s_and_b32 s10, s10, exec_lo
	s_or_saveexec_b32 s27, s27
	v_mov_b32_e32 v103, s26
	s_xor_b32 exec_lo, exec_lo, s27
	s_cbranch_execz .LBB4_4812
.LBB4_5235:                             ;   in Loop: Header=BB4_4718 Depth=2
	v_cmp_ne_u16_e32 vcc_lo, 0, v69
	v_mov_b32_e32 v103, 0
	s_and_not1_b32 s10, s10, exec_lo
	s_and_b32 s26, vcc_lo, exec_lo
	s_delay_alu instid0(SALU_CYCLE_1)
	s_or_b32 s10, s10, s26
	s_or_b32 exec_lo, exec_lo, s27
	s_and_saveexec_b32 s26, s10
	s_cbranch_execnz .LBB4_4813
	s_branch .LBB4_4814
.LBB4_5236:                             ;   in Loop: Header=BB4_4718 Depth=2
	s_mov_b32 s10, -1
	s_mov_b32 s28, exec_lo
                                        ; implicit-def: $sgpr26
	v_cmpx_eq_u16_e32 0x80, v101
; %bb.5237:                             ;   in Loop: Header=BB4_4718 Depth=2
	s_mov_b32 s26, 0x7f800001
	s_xor_b32 s10, exec_lo, -1
; %bb.5238:                             ;   in Loop: Header=BB4_4718 Depth=2
	s_or_b32 exec_lo, exec_lo, s28
	s_delay_alu instid0(SALU_CYCLE_1)
	s_and_b32 s10, s10, exec_lo
	s_or_saveexec_b32 s27, s27
	v_mov_b32_e32 v102, s26
	s_xor_b32 exec_lo, exec_lo, s27
	s_cbranch_execz .LBB4_4819
.LBB4_5239:                             ;   in Loop: Header=BB4_4718 Depth=2
	v_cmp_ne_u16_e32 vcc_lo, 0, v101
	v_mov_b32_e32 v102, 0
	s_and_not1_b32 s10, s10, exec_lo
	s_and_b32 s26, vcc_lo, exec_lo
	s_delay_alu instid0(SALU_CYCLE_1)
	s_or_b32 s10, s10, s26
	s_or_b32 exec_lo, exec_lo, s27
	s_and_saveexec_b32 s26, s10
	s_cbranch_execnz .LBB4_4820
	s_branch .LBB4_4821
.LBB4_5240:                             ;   in Loop: Header=BB4_4718 Depth=2
	s_mov_b32 s10, -1
	s_mov_b32 s28, exec_lo
                                        ; implicit-def: $sgpr26
	v_cmpx_eq_u16_e32 0x80, v69
; %bb.5241:                             ;   in Loop: Header=BB4_4718 Depth=2
	s_mov_b32 s26, 0x7f800001
	s_xor_b32 s10, exec_lo, -1
; %bb.5242:                             ;   in Loop: Header=BB4_4718 Depth=2
	s_or_b32 exec_lo, exec_lo, s28
	s_delay_alu instid0(SALU_CYCLE_1)
	s_and_b32 s10, s10, exec_lo
	s_or_saveexec_b32 s27, s27
	v_mov_b32_e32 v14, s26
	s_xor_b32 exec_lo, exec_lo, s27
	s_cbranch_execz .LBB4_4823
.LBB4_5243:                             ;   in Loop: Header=BB4_4718 Depth=2
	v_cmp_ne_u16_e32 vcc_lo, 0, v69
	v_mov_b32_e32 v14, 0
	s_and_not1_b32 s10, s10, exec_lo
	s_and_b32 s26, vcc_lo, exec_lo
	s_delay_alu instid0(SALU_CYCLE_1)
	s_or_b32 s10, s10, s26
	s_or_b32 exec_lo, exec_lo, s27
	s_and_saveexec_b32 s26, s10
	s_cbranch_execnz .LBB4_4824
	s_branch .LBB4_4825
.LBB4_5244:                             ;   in Loop: Header=BB4_4718 Depth=2
	s_mov_b32 s10, -1
	s_mov_b32 s28, exec_lo
                                        ; implicit-def: $sgpr26
	v_cmpx_eq_u16_e32 0x80, v69
; %bb.5245:                             ;   in Loop: Header=BB4_4718 Depth=2
	s_mov_b32 s26, 0x7f800001
	s_xor_b32 s10, exec_lo, -1
; %bb.5246:                             ;   in Loop: Header=BB4_4718 Depth=2
	s_or_b32 exec_lo, exec_lo, s28
	s_delay_alu instid0(SALU_CYCLE_1)
	s_and_b32 s10, s10, exec_lo
                                        ; implicit-def: $vgpr69
	s_or_saveexec_b32 s27, s27
	v_mov_b32_e32 v14, s26
	s_xor_b32 exec_lo, exec_lo, s27
	s_cbranch_execz .LBB4_4837
.LBB4_5247:                             ;   in Loop: Header=BB4_4718 Depth=2
	v_cmp_ne_u16_e32 vcc_lo, 0, v69
	v_mov_b32_e32 v14, 0
	s_and_not1_b32 s10, s10, exec_lo
	s_and_b32 s26, vcc_lo, exec_lo
	s_delay_alu instid0(SALU_CYCLE_1)
	s_or_b32 s10, s10, s26
	s_or_b32 exec_lo, exec_lo, s27
	s_and_saveexec_b32 s26, s10
	s_cbranch_execnz .LBB4_4838
	s_branch .LBB4_4839
.LBB4_5248:                             ;   in Loop: Header=BB4_4718 Depth=2
	s_mov_b32 s10, -1
	s_mov_b32 s28, exec_lo
                                        ; implicit-def: $sgpr26
	v_cmpx_eq_u16_e32 0x80, v101
; %bb.5249:                             ;   in Loop: Header=BB4_4718 Depth=2
	s_mov_b32 s26, 0x7f800001
	s_xor_b32 s10, exec_lo, -1
; %bb.5250:                             ;   in Loop: Header=BB4_4718 Depth=2
	s_or_b32 exec_lo, exec_lo, s28
	s_delay_alu instid0(SALU_CYCLE_1)
	s_and_b32 s10, s10, exec_lo
                                        ; implicit-def: $vgpr101
	s_or_saveexec_b32 s27, s27
	v_mov_b32_e32 v69, s26
	s_xor_b32 exec_lo, exec_lo, s27
	s_cbranch_execz .LBB4_4841
.LBB4_5251:                             ;   in Loop: Header=BB4_4718 Depth=2
	v_cmp_ne_u16_e32 vcc_lo, 0, v101
	v_mov_b32_e32 v69, 0
	s_and_not1_b32 s10, s10, exec_lo
	s_and_b32 s26, vcc_lo, exec_lo
	s_delay_alu instid0(SALU_CYCLE_1)
	s_or_b32 s10, s10, s26
	s_or_b32 exec_lo, exec_lo, s27
	s_and_saveexec_b32 s26, s10
	s_cbranch_execnz .LBB4_4842
	s_branch .LBB4_4843
.LBB4_5252:                             ;   in Loop: Header=BB4_4718 Depth=2
	s_mov_b32 s10, -1
	s_mov_b32 s28, exec_lo
                                        ; implicit-def: $sgpr26
	v_cmpx_eq_u16_e32 0x80, v69
; %bb.5253:                             ;   in Loop: Header=BB4_4718 Depth=2
	s_mov_b32 s26, 0x7f800001
	s_xor_b32 s10, exec_lo, -1
; %bb.5254:                             ;   in Loop: Header=BB4_4718 Depth=2
	s_or_b32 exec_lo, exec_lo, s28
	s_delay_alu instid0(SALU_CYCLE_1)
	s_and_b32 s10, s10, exec_lo
                                        ; implicit-def: $vgpr69
	s_or_saveexec_b32 s27, s27
	v_mov_b32_e32 v14, s26
	s_xor_b32 exec_lo, exec_lo, s27
	s_cbranch_execz .LBB4_4848
.LBB4_5255:                             ;   in Loop: Header=BB4_4718 Depth=2
	v_cmp_ne_u16_e32 vcc_lo, 0, v69
	v_mov_b32_e32 v14, 0
	s_and_not1_b32 s10, s10, exec_lo
	s_and_b32 s26, vcc_lo, exec_lo
	s_delay_alu instid0(SALU_CYCLE_1)
	s_or_b32 s10, s10, s26
	s_or_b32 exec_lo, exec_lo, s27
	s_and_saveexec_b32 s26, s10
	s_cbranch_execnz .LBB4_4849
	s_branch .LBB4_4850
.LBB4_5256:                             ;   in Loop: Header=BB4_4718 Depth=2
	s_mov_b32 s10, -1
	s_mov_b32 s28, exec_lo
                                        ; implicit-def: $sgpr26
	v_cmpx_eq_u16_e32 0x80, v101
; %bb.5257:                             ;   in Loop: Header=BB4_4718 Depth=2
	s_mov_b32 s26, 0x7f800001
	s_xor_b32 s10, exec_lo, -1
; %bb.5258:                             ;   in Loop: Header=BB4_4718 Depth=2
	s_or_b32 exec_lo, exec_lo, s28
	s_delay_alu instid0(SALU_CYCLE_1)
	s_and_b32 s10, s10, exec_lo
                                        ; implicit-def: $vgpr101
	s_or_saveexec_b32 s27, s27
	v_mov_b32_e32 v69, s26
	s_xor_b32 exec_lo, exec_lo, s27
	s_cbranch_execz .LBB4_4852
.LBB4_5259:                             ;   in Loop: Header=BB4_4718 Depth=2
	v_cmp_ne_u16_e32 vcc_lo, 0, v101
	v_mov_b32_e32 v69, 0
	s_and_not1_b32 s10, s10, exec_lo
	s_and_b32 s26, vcc_lo, exec_lo
	s_delay_alu instid0(SALU_CYCLE_1)
	s_or_b32 s10, s10, s26
	s_or_b32 exec_lo, exec_lo, s27
	s_and_saveexec_b32 s26, s10
	s_cbranch_execnz .LBB4_4853
	s_branch .LBB4_4854
.LBB4_5260:                             ;   in Loop: Header=BB4_4718 Depth=2
	s_mov_b32 s10, -1
	s_mov_b32 s28, exec_lo
                                        ; implicit-def: $sgpr26
	v_cmpx_eq_u16_e32 0x80, v101
; %bb.5261:                             ;   in Loop: Header=BB4_4718 Depth=2
	s_mov_b32 s26, 0x7f800001
	s_xor_b32 s10, exec_lo, -1
; %bb.5262:                             ;   in Loop: Header=BB4_4718 Depth=2
	s_or_b32 exec_lo, exec_lo, s28
	s_delay_alu instid0(SALU_CYCLE_1)
	s_and_b32 s10, s10, exec_lo
	s_or_saveexec_b32 s27, s27
	v_mov_b32_e32 v102, s26
	s_xor_b32 exec_lo, exec_lo, s27
	s_cbranch_execz .LBB4_4866
.LBB4_5263:                             ;   in Loop: Header=BB4_4718 Depth=2
	v_cmp_ne_u16_e32 vcc_lo, 0, v101
	v_mov_b32_e32 v102, 0
	s_and_not1_b32 s10, s10, exec_lo
	s_and_b32 s26, vcc_lo, exec_lo
	s_delay_alu instid0(SALU_CYCLE_1)
	s_or_b32 s10, s10, s26
	s_or_b32 exec_lo, exec_lo, s27
	s_and_saveexec_b32 s26, s10
	s_cbranch_execnz .LBB4_4867
	s_branch .LBB4_4868
.LBB4_5264:                             ;   in Loop: Header=BB4_4718 Depth=2
	s_mov_b32 s10, -1
	s_mov_b32 s28, exec_lo
                                        ; implicit-def: $sgpr26
	v_cmpx_eq_u16_e32 0x80, v69
; %bb.5265:                             ;   in Loop: Header=BB4_4718 Depth=2
	s_mov_b32 s26, 0x7f800001
	s_xor_b32 s10, exec_lo, -1
; %bb.5266:                             ;   in Loop: Header=BB4_4718 Depth=2
	s_or_b32 exec_lo, exec_lo, s28
	s_delay_alu instid0(SALU_CYCLE_1)
	s_and_b32 s10, s10, exec_lo
	s_or_saveexec_b32 s27, s27
	v_mov_b32_e32 v103, s26
	s_xor_b32 exec_lo, exec_lo, s27
	s_cbranch_execz .LBB4_4870
.LBB4_5267:                             ;   in Loop: Header=BB4_4718 Depth=2
	v_cmp_ne_u16_e32 vcc_lo, 0, v69
	v_mov_b32_e32 v103, 0
	s_and_not1_b32 s10, s10, exec_lo
	s_and_b32 s26, vcc_lo, exec_lo
	s_delay_alu instid0(SALU_CYCLE_1)
	s_or_b32 s10, s10, s26
	s_or_b32 exec_lo, exec_lo, s27
	s_and_saveexec_b32 s26, s10
	s_cbranch_execnz .LBB4_4871
	s_branch .LBB4_4872
.LBB4_5268:                             ;   in Loop: Header=BB4_4718 Depth=2
	s_mov_b32 s10, -1
	s_mov_b32 s28, exec_lo
                                        ; implicit-def: $sgpr26
	v_cmpx_eq_u16_e32 0x80, v101
; %bb.5269:                             ;   in Loop: Header=BB4_4718 Depth=2
	s_mov_b32 s26, 0x7f800001
	s_xor_b32 s10, exec_lo, -1
; %bb.5270:                             ;   in Loop: Header=BB4_4718 Depth=2
	s_or_b32 exec_lo, exec_lo, s28
	s_delay_alu instid0(SALU_CYCLE_1)
	s_and_b32 s10, s10, exec_lo
	s_or_saveexec_b32 s27, s27
	v_mov_b32_e32 v102, s26
	s_xor_b32 exec_lo, exec_lo, s27
	s_cbranch_execz .LBB4_4877
.LBB4_5271:                             ;   in Loop: Header=BB4_4718 Depth=2
	v_cmp_ne_u16_e32 vcc_lo, 0, v101
	v_mov_b32_e32 v102, 0
	s_and_not1_b32 s10, s10, exec_lo
	s_and_b32 s26, vcc_lo, exec_lo
	s_delay_alu instid0(SALU_CYCLE_1)
	s_or_b32 s10, s10, s26
	s_or_b32 exec_lo, exec_lo, s27
	s_and_saveexec_b32 s26, s10
	s_cbranch_execnz .LBB4_4878
	s_branch .LBB4_4879
.LBB4_5272:                             ;   in Loop: Header=BB4_4718 Depth=2
	s_mov_b32 s10, -1
	s_mov_b32 s28, exec_lo
                                        ; implicit-def: $sgpr26
	v_cmpx_eq_u16_e32 0x80, v69
; %bb.5273:                             ;   in Loop: Header=BB4_4718 Depth=2
	s_mov_b32 s26, 0x7f800001
	s_xor_b32 s10, exec_lo, -1
; %bb.5274:                             ;   in Loop: Header=BB4_4718 Depth=2
	s_or_b32 exec_lo, exec_lo, s28
	s_delay_alu instid0(SALU_CYCLE_1)
	s_and_b32 s10, s10, exec_lo
	s_or_saveexec_b32 s27, s27
	v_mov_b32_e32 v101, s26
	s_xor_b32 exec_lo, exec_lo, s27
	s_cbranch_execz .LBB4_4881
.LBB4_5275:                             ;   in Loop: Header=BB4_4718 Depth=2
	v_cmp_ne_u16_e32 vcc_lo, 0, v69
	v_mov_b32_e32 v101, 0
	s_and_not1_b32 s10, s10, exec_lo
	s_and_b32 s26, vcc_lo, exec_lo
	s_delay_alu instid0(SALU_CYCLE_1)
	s_or_b32 s10, s10, s26
	s_or_b32 exec_lo, exec_lo, s27
	s_and_saveexec_b32 s26, s10
	s_cbranch_execnz .LBB4_4882
	s_branch .LBB4_4883
.LBB4_5276:                             ;   in Loop: Header=BB4_4718 Depth=2
	s_mov_b32 s10, -1
	s_mov_b32 s28, exec_lo
                                        ; implicit-def: $sgpr26
	v_cmpx_eq_u16_e32 0x80, v112
; %bb.5277:                             ;   in Loop: Header=BB4_4718 Depth=2
	s_mov_b32 s26, 0x7f800001
	s_xor_b32 s10, exec_lo, -1
; %bb.5278:                             ;   in Loop: Header=BB4_4718 Depth=2
	s_or_b32 exec_lo, exec_lo, s28
	s_delay_alu instid0(SALU_CYCLE_1)
	s_and_b32 s10, s10, exec_lo
                                        ; implicit-def: $vgpr112
	s_or_saveexec_b32 s27, s27
	v_mov_b32_e32 v103, s26
	s_xor_b32 exec_lo, exec_lo, s27
	s_cbranch_execz .LBB4_4895
.LBB4_5279:                             ;   in Loop: Header=BB4_4718 Depth=2
	v_cmp_ne_u16_e32 vcc_lo, 0, v112
	v_mov_b32_e32 v103, 0
	s_and_not1_b32 s10, s10, exec_lo
	s_and_b32 s26, vcc_lo, exec_lo
	s_delay_alu instid0(SALU_CYCLE_1)
	s_or_b32 s10, s10, s26
	s_or_b32 exec_lo, exec_lo, s27
	s_and_saveexec_b32 s26, s10
	s_cbranch_execnz .LBB4_4896
	s_branch .LBB4_4897
.LBB4_5280:                             ;   in Loop: Header=BB4_4718 Depth=2
	s_mov_b32 s10, -1
	s_mov_b32 s28, exec_lo
                                        ; implicit-def: $sgpr26
	v_cmpx_eq_u16_e32 0x80, v113
; %bb.5281:                             ;   in Loop: Header=BB4_4718 Depth=2
	s_mov_b32 s26, 0x7f800001
	s_xor_b32 s10, exec_lo, -1
; %bb.5282:                             ;   in Loop: Header=BB4_4718 Depth=2
	s_or_b32 exec_lo, exec_lo, s28
	s_delay_alu instid0(SALU_CYCLE_1)
	s_and_b32 s10, s10, exec_lo
                                        ; implicit-def: $vgpr113
	s_or_saveexec_b32 s27, s27
	v_mov_b32_e32 v112, s26
	s_xor_b32 exec_lo, exec_lo, s27
	s_cbranch_execz .LBB4_4899
.LBB4_5283:                             ;   in Loop: Header=BB4_4718 Depth=2
	v_cmp_ne_u16_e32 vcc_lo, 0, v113
	v_mov_b32_e32 v112, 0
	s_and_not1_b32 s10, s10, exec_lo
	s_and_b32 s26, vcc_lo, exec_lo
	s_delay_alu instid0(SALU_CYCLE_1)
	s_or_b32 s10, s10, s26
	s_or_b32 exec_lo, exec_lo, s27
	s_and_saveexec_b32 s26, s10
	s_cbranch_execnz .LBB4_4900
	s_branch .LBB4_4901
.LBB4_5284:                             ;   in Loop: Header=BB4_4718 Depth=2
	s_mov_b32 s10, -1
	s_mov_b32 s28, exec_lo
                                        ; implicit-def: $sgpr26
	v_cmpx_eq_u16_e32 0x80, v112
; %bb.5285:                             ;   in Loop: Header=BB4_4718 Depth=2
	s_mov_b32 s26, 0x7f800001
	s_xor_b32 s10, exec_lo, -1
; %bb.5286:                             ;   in Loop: Header=BB4_4718 Depth=2
	s_or_b32 exec_lo, exec_lo, s28
	s_delay_alu instid0(SALU_CYCLE_1)
	s_and_b32 s10, s10, exec_lo
                                        ; implicit-def: $vgpr112
	s_or_saveexec_b32 s27, s27
	v_mov_b32_e32 v103, s26
	s_xor_b32 exec_lo, exec_lo, s27
	s_cbranch_execz .LBB4_4906
.LBB4_5287:                             ;   in Loop: Header=BB4_4718 Depth=2
	v_cmp_ne_u16_e32 vcc_lo, 0, v112
	v_mov_b32_e32 v103, 0
	s_and_not1_b32 s10, s10, exec_lo
	s_and_b32 s26, vcc_lo, exec_lo
	s_delay_alu instid0(SALU_CYCLE_1)
	s_or_b32 s10, s10, s26
	s_or_b32 exec_lo, exec_lo, s27
	s_and_saveexec_b32 s26, s10
	s_cbranch_execnz .LBB4_4907
	s_branch .LBB4_4908
.LBB4_5288:                             ;   in Loop: Header=BB4_4718 Depth=2
	s_mov_b32 s10, -1
	s_mov_b32 s28, exec_lo
                                        ; implicit-def: $sgpr26
	v_cmpx_eq_u16_e32 0x80, v112
; %bb.5289:                             ;   in Loop: Header=BB4_4718 Depth=2
	s_mov_b32 s26, 0x7f800001
	s_xor_b32 s10, exec_lo, -1
; %bb.5290:                             ;   in Loop: Header=BB4_4718 Depth=2
	s_or_b32 exec_lo, exec_lo, s28
	s_delay_alu instid0(SALU_CYCLE_1)
	s_and_b32 s10, s10, exec_lo
                                        ; implicit-def: $vgpr112
	s_or_saveexec_b32 s27, s27
	v_mov_b32_e32 v102, s26
	s_xor_b32 exec_lo, exec_lo, s27
	s_cbranch_execz .LBB4_4910
.LBB4_5291:                             ;   in Loop: Header=BB4_4718 Depth=2
	v_cmp_ne_u16_e32 vcc_lo, 0, v112
	v_mov_b32_e32 v102, 0
	s_and_not1_b32 s10, s10, exec_lo
	s_and_b32 s26, vcc_lo, exec_lo
	s_delay_alu instid0(SALU_CYCLE_1)
	s_or_b32 s10, s10, s26
	s_or_b32 exec_lo, exec_lo, s27
	s_and_saveexec_b32 s26, s10
	s_cbranch_execnz .LBB4_4911
	s_branch .LBB4_4912
.LBB4_5292:                             ;   in Loop: Header=BB4_4718 Depth=2
	s_mov_b32 s10, -1
	s_mov_b32 s28, exec_lo
                                        ; implicit-def: $sgpr26
	v_cmpx_eq_u16_e32 0x80, v103
; %bb.5293:                             ;   in Loop: Header=BB4_4718 Depth=2
	s_mov_b32 s26, 0x7f800001
	s_xor_b32 s10, exec_lo, -1
; %bb.5294:                             ;   in Loop: Header=BB4_4718 Depth=2
	s_or_b32 exec_lo, exec_lo, s28
	s_delay_alu instid0(SALU_CYCLE_1)
	s_and_b32 s10, s10, exec_lo
	s_or_saveexec_b32 s27, s27
	v_mov_b32_e32 v112, s26
	s_xor_b32 exec_lo, exec_lo, s27
	s_cbranch_execz .LBB4_4924
.LBB4_5295:                             ;   in Loop: Header=BB4_4718 Depth=2
	v_cmp_ne_u16_e32 vcc_lo, 0, v103
	v_mov_b32_e32 v112, 0
	s_and_not1_b32 s10, s10, exec_lo
	s_and_b32 s26, vcc_lo, exec_lo
	s_delay_alu instid0(SALU_CYCLE_1)
	s_or_b32 s10, s10, s26
	s_or_b32 exec_lo, exec_lo, s27
	s_and_saveexec_b32 s26, s10
	s_cbranch_execnz .LBB4_4925
	s_branch .LBB4_4926
.LBB4_5296:                             ;   in Loop: Header=BB4_4718 Depth=2
	s_mov_b32 s10, -1
	s_mov_b32 s28, exec_lo
                                        ; implicit-def: $sgpr26
	v_cmpx_eq_u16_e32 0x80, v102
; %bb.5297:                             ;   in Loop: Header=BB4_4718 Depth=2
	s_mov_b32 s26, 0x7f800001
	s_xor_b32 s10, exec_lo, -1
; %bb.5298:                             ;   in Loop: Header=BB4_4718 Depth=2
	s_or_b32 exec_lo, exec_lo, s28
	s_delay_alu instid0(SALU_CYCLE_1)
	s_and_b32 s10, s10, exec_lo
	s_or_saveexec_b32 s27, s27
	v_mov_b32_e32 v113, s26
	s_xor_b32 exec_lo, exec_lo, s27
	s_cbranch_execz .LBB4_4928
.LBB4_5299:                             ;   in Loop: Header=BB4_4718 Depth=2
	v_cmp_ne_u16_e32 vcc_lo, 0, v102
	v_mov_b32_e32 v113, 0
	s_and_not1_b32 s10, s10, exec_lo
	s_and_b32 s26, vcc_lo, exec_lo
	s_delay_alu instid0(SALU_CYCLE_1)
	s_or_b32 s10, s10, s26
	s_or_b32 exec_lo, exec_lo, s27
	s_and_saveexec_b32 s26, s10
	s_cbranch_execnz .LBB4_4929
	s_branch .LBB4_4930
.LBB4_5300:                             ;   in Loop: Header=BB4_4718 Depth=2
	s_mov_b32 s10, -1
	s_mov_b32 s28, exec_lo
                                        ; implicit-def: $sgpr26
	v_cmpx_eq_u16_e32 0x80, v103
; %bb.5301:                             ;   in Loop: Header=BB4_4718 Depth=2
	s_mov_b32 s26, 0x7f800001
	s_xor_b32 s10, exec_lo, -1
; %bb.5302:                             ;   in Loop: Header=BB4_4718 Depth=2
	s_or_b32 exec_lo, exec_lo, s28
	s_delay_alu instid0(SALU_CYCLE_1)
	s_and_b32 s10, s10, exec_lo
	s_or_saveexec_b32 s27, s27
	v_mov_b32_e32 v112, s26
	s_xor_b32 exec_lo, exec_lo, s27
	s_cbranch_execz .LBB4_4935
.LBB4_5303:                             ;   in Loop: Header=BB4_4718 Depth=2
	v_cmp_ne_u16_e32 vcc_lo, 0, v103
	v_mov_b32_e32 v112, 0
	s_and_not1_b32 s10, s10, exec_lo
	s_and_b32 s26, vcc_lo, exec_lo
	s_delay_alu instid0(SALU_CYCLE_1)
	s_or_b32 s10, s10, s26
	s_or_b32 exec_lo, exec_lo, s27
	s_and_saveexec_b32 s26, s10
	s_cbranch_execnz .LBB4_4936
	s_branch .LBB4_4937
.LBB4_5304:                             ;   in Loop: Header=BB4_4718 Depth=2
	s_mov_b32 s10, -1
	s_mov_b32 s28, exec_lo
                                        ; implicit-def: $sgpr26
	v_cmpx_eq_u16_e32 0x80, v102
; %bb.5305:                             ;   in Loop: Header=BB4_4718 Depth=2
	s_mov_b32 s26, 0x7f800001
	s_xor_b32 s10, exec_lo, -1
; %bb.5306:                             ;   in Loop: Header=BB4_4718 Depth=2
	s_or_b32 exec_lo, exec_lo, s28
	s_delay_alu instid0(SALU_CYCLE_1)
	s_and_b32 s10, s10, exec_lo
	s_or_saveexec_b32 s27, s27
	v_mov_b32_e32 v15, s26
	s_xor_b32 exec_lo, exec_lo, s27
	s_cbranch_execz .LBB4_4939
.LBB4_5307:                             ;   in Loop: Header=BB4_4718 Depth=2
	v_cmp_ne_u16_e32 vcc_lo, 0, v102
	v_mov_b32_e32 v15, 0
	s_and_not1_b32 s10, s10, exec_lo
	s_and_b32 s26, vcc_lo, exec_lo
	s_delay_alu instid0(SALU_CYCLE_1)
	s_or_b32 s10, s10, s26
	s_or_b32 exec_lo, exec_lo, s27
	s_and_saveexec_b32 s26, s10
	s_cbranch_execnz .LBB4_4940
	s_branch .LBB4_4941
.LBB4_5308:                             ;   in Loop: Header=BB4_4718 Depth=2
	s_mov_b32 s10, -1
	s_mov_b32 s28, exec_lo
                                        ; implicit-def: $sgpr26
	v_cmpx_eq_u16_e32 0x80, v102
; %bb.5309:                             ;   in Loop: Header=BB4_4718 Depth=2
	s_mov_b32 s26, 0x7f800001
	s_xor_b32 s10, exec_lo, -1
; %bb.5310:                             ;   in Loop: Header=BB4_4718 Depth=2
	s_or_b32 exec_lo, exec_lo, s28
	s_delay_alu instid0(SALU_CYCLE_1)
	s_and_b32 s10, s10, exec_lo
                                        ; implicit-def: $vgpr102
	s_or_saveexec_b32 s27, s27
	v_mov_b32_e32 v15, s26
	s_xor_b32 exec_lo, exec_lo, s27
	s_cbranch_execz .LBB4_4953
.LBB4_5311:                             ;   in Loop: Header=BB4_4718 Depth=2
	v_cmp_ne_u16_e32 vcc_lo, 0, v102
	v_mov_b32_e32 v15, 0
	s_and_not1_b32 s10, s10, exec_lo
	s_and_b32 s26, vcc_lo, exec_lo
	s_delay_alu instid0(SALU_CYCLE_1)
	s_or_b32 s10, s10, s26
	s_or_b32 exec_lo, exec_lo, s27
	s_and_saveexec_b32 s26, s10
	s_cbranch_execnz .LBB4_4954
	s_branch .LBB4_4955
.LBB4_5312:                             ;   in Loop: Header=BB4_4718 Depth=2
	s_mov_b32 s10, -1
	s_mov_b32 s28, exec_lo
                                        ; implicit-def: $sgpr26
	v_cmpx_eq_u16_e32 0x80, v103
; %bb.5313:                             ;   in Loop: Header=BB4_4718 Depth=2
	s_mov_b32 s26, 0x7f800001
	s_xor_b32 s10, exec_lo, -1
; %bb.5314:                             ;   in Loop: Header=BB4_4718 Depth=2
	s_or_b32 exec_lo, exec_lo, s28
	s_delay_alu instid0(SALU_CYCLE_1)
	s_and_b32 s10, s10, exec_lo
                                        ; implicit-def: $vgpr103
	s_or_saveexec_b32 s27, s27
	v_mov_b32_e32 v102, s26
	s_xor_b32 exec_lo, exec_lo, s27
	s_cbranch_execz .LBB4_4957
.LBB4_5315:                             ;   in Loop: Header=BB4_4718 Depth=2
	v_cmp_ne_u16_e32 vcc_lo, 0, v103
	v_mov_b32_e32 v102, 0
	s_and_not1_b32 s10, s10, exec_lo
	s_and_b32 s26, vcc_lo, exec_lo
	s_delay_alu instid0(SALU_CYCLE_1)
	s_or_b32 s10, s10, s26
	s_or_b32 exec_lo, exec_lo, s27
	s_and_saveexec_b32 s26, s10
	s_cbranch_execnz .LBB4_4958
	s_branch .LBB4_4959
.LBB4_5316:                             ;   in Loop: Header=BB4_4718 Depth=2
	s_mov_b32 s10, -1
	s_mov_b32 s28, exec_lo
                                        ; implicit-def: $sgpr26
	v_cmpx_eq_u16_e32 0x80, v102
; %bb.5317:                             ;   in Loop: Header=BB4_4718 Depth=2
	s_mov_b32 s26, 0x7f800001
	s_xor_b32 s10, exec_lo, -1
; %bb.5318:                             ;   in Loop: Header=BB4_4718 Depth=2
	s_or_b32 exec_lo, exec_lo, s28
	s_delay_alu instid0(SALU_CYCLE_1)
	s_and_b32 s10, s10, exec_lo
                                        ; implicit-def: $vgpr102
	s_or_saveexec_b32 s27, s27
	v_mov_b32_e32 v15, s26
	s_xor_b32 exec_lo, exec_lo, s27
	s_cbranch_execz .LBB4_4964
.LBB4_5319:                             ;   in Loop: Header=BB4_4718 Depth=2
	v_cmp_ne_u16_e32 vcc_lo, 0, v102
	v_mov_b32_e32 v15, 0
	s_and_not1_b32 s10, s10, exec_lo
	s_and_b32 s26, vcc_lo, exec_lo
	s_delay_alu instid0(SALU_CYCLE_1)
	s_or_b32 s10, s10, s26
	s_or_b32 exec_lo, exec_lo, s27
	s_and_saveexec_b32 s26, s10
	s_cbranch_execnz .LBB4_4965
	s_branch .LBB4_4966
.LBB4_5320:                             ;   in Loop: Header=BB4_4718 Depth=2
	s_mov_b32 s10, -1
	s_mov_b32 s28, exec_lo
                                        ; implicit-def: $sgpr26
	v_cmpx_eq_u16_e32 0x80, v103
; %bb.5321:                             ;   in Loop: Header=BB4_4718 Depth=2
	s_mov_b32 s26, 0x7f800001
	s_xor_b32 s10, exec_lo, -1
; %bb.5322:                             ;   in Loop: Header=BB4_4718 Depth=2
	s_or_b32 exec_lo, exec_lo, s28
	s_delay_alu instid0(SALU_CYCLE_1)
	s_and_b32 s10, s10, exec_lo
                                        ; implicit-def: $vgpr103
	s_or_saveexec_b32 s27, s27
	v_mov_b32_e32 v102, s26
	s_xor_b32 exec_lo, exec_lo, s27
	s_cbranch_execz .LBB4_4968
.LBB4_5323:                             ;   in Loop: Header=BB4_4718 Depth=2
	v_cmp_ne_u16_e32 vcc_lo, 0, v103
	v_mov_b32_e32 v102, 0
	s_and_not1_b32 s10, s10, exec_lo
	s_and_b32 s26, vcc_lo, exec_lo
	s_delay_alu instid0(SALU_CYCLE_1)
	s_or_b32 s10, s10, s26
	s_or_b32 exec_lo, exec_lo, s27
	s_and_saveexec_b32 s26, s10
	s_cbranch_execnz .LBB4_4969
	s_branch .LBB4_4970
.LBB4_5324:                             ;   in Loop: Header=BB4_4718 Depth=2
	s_mov_b32 s10, -1
	s_mov_b32 s28, exec_lo
                                        ; implicit-def: $sgpr26
	v_cmpx_eq_u16_e32 0x80, v103
; %bb.5325:                             ;   in Loop: Header=BB4_4718 Depth=2
	s_mov_b32 s26, 0x7f800001
	s_xor_b32 s10, exec_lo, -1
; %bb.5326:                             ;   in Loop: Header=BB4_4718 Depth=2
	s_or_b32 exec_lo, exec_lo, s28
	s_delay_alu instid0(SALU_CYCLE_1)
	s_and_b32 s10, s10, exec_lo
	s_or_saveexec_b32 s27, s27
	v_mov_b32_e32 v112, s26
	s_xor_b32 exec_lo, exec_lo, s27
	s_cbranch_execz .LBB4_4982
.LBB4_5327:                             ;   in Loop: Header=BB4_4718 Depth=2
	v_cmp_ne_u16_e32 vcc_lo, 0, v103
	v_mov_b32_e32 v112, 0
	s_and_not1_b32 s10, s10, exec_lo
	s_and_b32 s26, vcc_lo, exec_lo
	s_delay_alu instid0(SALU_CYCLE_1)
	s_or_b32 s10, s10, s26
	s_or_b32 exec_lo, exec_lo, s27
	s_and_saveexec_b32 s26, s10
	s_cbranch_execnz .LBB4_4983
	s_branch .LBB4_4984
.LBB4_5328:                             ;   in Loop: Header=BB4_4718 Depth=2
	s_mov_b32 s10, -1
	s_mov_b32 s28, exec_lo
                                        ; implicit-def: $sgpr26
	v_cmpx_eq_u16_e32 0x80, v102
; %bb.5329:                             ;   in Loop: Header=BB4_4718 Depth=2
	s_mov_b32 s26, 0x7f800001
	s_xor_b32 s10, exec_lo, -1
; %bb.5330:                             ;   in Loop: Header=BB4_4718 Depth=2
	s_or_b32 exec_lo, exec_lo, s28
	s_delay_alu instid0(SALU_CYCLE_1)
	s_and_b32 s10, s10, exec_lo
	s_or_saveexec_b32 s27, s27
	v_mov_b32_e32 v113, s26
	s_xor_b32 exec_lo, exec_lo, s27
	s_cbranch_execz .LBB4_4986
.LBB4_5331:                             ;   in Loop: Header=BB4_4718 Depth=2
	v_cmp_ne_u16_e32 vcc_lo, 0, v102
	v_mov_b32_e32 v113, 0
	s_and_not1_b32 s10, s10, exec_lo
	s_and_b32 s26, vcc_lo, exec_lo
	s_delay_alu instid0(SALU_CYCLE_1)
	s_or_b32 s10, s10, s26
	s_or_b32 exec_lo, exec_lo, s27
	s_and_saveexec_b32 s26, s10
	s_cbranch_execnz .LBB4_4987
	s_branch .LBB4_4988
.LBB4_5332:                             ;   in Loop: Header=BB4_4718 Depth=2
	s_mov_b32 s10, -1
	s_mov_b32 s28, exec_lo
                                        ; implicit-def: $sgpr26
	v_cmpx_eq_u16_e32 0x80, v103
; %bb.5333:                             ;   in Loop: Header=BB4_4718 Depth=2
	s_mov_b32 s26, 0x7f800001
	s_xor_b32 s10, exec_lo, -1
; %bb.5334:                             ;   in Loop: Header=BB4_4718 Depth=2
	s_or_b32 exec_lo, exec_lo, s28
	s_delay_alu instid0(SALU_CYCLE_1)
	s_and_b32 s10, s10, exec_lo
	s_or_saveexec_b32 s27, s27
	v_mov_b32_e32 v112, s26
	s_xor_b32 exec_lo, exec_lo, s27
	s_cbranch_execz .LBB4_4993
.LBB4_5335:                             ;   in Loop: Header=BB4_4718 Depth=2
	v_cmp_ne_u16_e32 vcc_lo, 0, v103
	v_mov_b32_e32 v112, 0
	s_and_not1_b32 s10, s10, exec_lo
	s_and_b32 s26, vcc_lo, exec_lo
	s_delay_alu instid0(SALU_CYCLE_1)
	s_or_b32 s10, s10, s26
	s_or_b32 exec_lo, exec_lo, s27
	s_and_saveexec_b32 s26, s10
	s_cbranch_execnz .LBB4_4994
	s_branch .LBB4_4995
.LBB4_5336:                             ;   in Loop: Header=BB4_4718 Depth=2
	s_mov_b32 s10, -1
	s_mov_b32 s28, exec_lo
                                        ; implicit-def: $sgpr26
	v_cmpx_eq_u16_e32 0x80, v102
; %bb.5337:                             ;   in Loop: Header=BB4_4718 Depth=2
	s_mov_b32 s26, 0x7f800001
	s_xor_b32 s10, exec_lo, -1
; %bb.5338:                             ;   in Loop: Header=BB4_4718 Depth=2
	s_or_b32 exec_lo, exec_lo, s28
	s_delay_alu instid0(SALU_CYCLE_1)
	s_and_b32 s10, s10, exec_lo
	s_or_saveexec_b32 s27, s27
	v_mov_b32_e32 v103, s26
	s_xor_b32 exec_lo, exec_lo, s27
	s_cbranch_execz .LBB4_4997
.LBB4_5339:                             ;   in Loop: Header=BB4_4718 Depth=2
	v_cmp_ne_u16_e32 vcc_lo, 0, v102
	v_mov_b32_e32 v103, 0
	s_and_not1_b32 s10, s10, exec_lo
	s_and_b32 s26, vcc_lo, exec_lo
	s_delay_alu instid0(SALU_CYCLE_1)
	s_or_b32 s10, s10, s26
	s_or_b32 exec_lo, exec_lo, s27
	s_and_saveexec_b32 s26, s10
	s_cbranch_execnz .LBB4_4998
	s_branch .LBB4_4999
.LBB4_5340:                             ;   in Loop: Header=BB4_4718 Depth=2
	s_mov_b32 s10, -1
	s_mov_b32 s28, exec_lo
                                        ; implicit-def: $sgpr26
	v_cmpx_eq_u16_e32 0x80, v114
; %bb.5341:                             ;   in Loop: Header=BB4_4718 Depth=2
	s_mov_b32 s26, 0x7f800001
	s_xor_b32 s10, exec_lo, -1
; %bb.5342:                             ;   in Loop: Header=BB4_4718 Depth=2
	s_or_b32 exec_lo, exec_lo, s28
	s_delay_alu instid0(SALU_CYCLE_1)
	s_and_b32 s10, s10, exec_lo
                                        ; implicit-def: $vgpr114
	s_or_saveexec_b32 s27, s27
	v_mov_b32_e32 v113, s26
	s_xor_b32 exec_lo, exec_lo, s27
	s_cbranch_execz .LBB4_5011
.LBB4_5343:                             ;   in Loop: Header=BB4_4718 Depth=2
	v_cmp_ne_u16_e32 vcc_lo, 0, v114
	v_mov_b32_e32 v113, 0
	s_and_not1_b32 s10, s10, exec_lo
	s_and_b32 s26, vcc_lo, exec_lo
	s_delay_alu instid0(SALU_CYCLE_1)
	s_or_b32 s10, s10, s26
	s_or_b32 exec_lo, exec_lo, s27
	s_and_saveexec_b32 s26, s10
	s_cbranch_execnz .LBB4_5012
	s_branch .LBB4_5013
.LBB4_5344:                             ;   in Loop: Header=BB4_4718 Depth=2
	s_mov_b32 s10, -1
	s_mov_b32 s28, exec_lo
                                        ; implicit-def: $sgpr26
	v_cmpx_eq_u16_e32 0x80, v115
; %bb.5345:                             ;   in Loop: Header=BB4_4718 Depth=2
	s_mov_b32 s26, 0x7f800001
	s_xor_b32 s10, exec_lo, -1
; %bb.5346:                             ;   in Loop: Header=BB4_4718 Depth=2
	s_or_b32 exec_lo, exec_lo, s28
	s_delay_alu instid0(SALU_CYCLE_1)
	s_and_b32 s10, s10, exec_lo
                                        ; implicit-def: $vgpr115
	s_or_saveexec_b32 s27, s27
	v_mov_b32_e32 v114, s26
	s_xor_b32 exec_lo, exec_lo, s27
	s_cbranch_execz .LBB4_5015
.LBB4_5347:                             ;   in Loop: Header=BB4_4718 Depth=2
	v_cmp_ne_u16_e32 vcc_lo, 0, v115
	v_mov_b32_e32 v114, 0
	s_and_not1_b32 s10, s10, exec_lo
	s_and_b32 s26, vcc_lo, exec_lo
	s_delay_alu instid0(SALU_CYCLE_1)
	s_or_b32 s10, s10, s26
	s_or_b32 exec_lo, exec_lo, s27
	s_and_saveexec_b32 s26, s10
	s_cbranch_execnz .LBB4_5016
	s_branch .LBB4_5017
.LBB4_5348:                             ;   in Loop: Header=BB4_4718 Depth=2
	s_mov_b32 s10, -1
	s_mov_b32 s28, exec_lo
                                        ; implicit-def: $sgpr26
	v_cmpx_eq_u16_e32 0x80, v114
; %bb.5349:                             ;   in Loop: Header=BB4_4718 Depth=2
	s_mov_b32 s26, 0x7f800001
	s_xor_b32 s10, exec_lo, -1
; %bb.5350:                             ;   in Loop: Header=BB4_4718 Depth=2
	s_or_b32 exec_lo, exec_lo, s28
	s_delay_alu instid0(SALU_CYCLE_1)
	s_and_b32 s10, s10, exec_lo
                                        ; implicit-def: $vgpr114
	s_or_saveexec_b32 s27, s27
	v_mov_b32_e32 v113, s26
	s_xor_b32 exec_lo, exec_lo, s27
	s_cbranch_execz .LBB4_5022
.LBB4_5351:                             ;   in Loop: Header=BB4_4718 Depth=2
	v_cmp_ne_u16_e32 vcc_lo, 0, v114
	v_mov_b32_e32 v113, 0
	s_and_not1_b32 s10, s10, exec_lo
	s_and_b32 s26, vcc_lo, exec_lo
	s_delay_alu instid0(SALU_CYCLE_1)
	s_or_b32 s10, s10, s26
	s_or_b32 exec_lo, exec_lo, s27
	s_and_saveexec_b32 s26, s10
	s_cbranch_execnz .LBB4_5023
	s_branch .LBB4_5024
.LBB4_5352:                             ;   in Loop: Header=BB4_4718 Depth=2
	s_mov_b32 s10, -1
	s_mov_b32 s28, exec_lo
                                        ; implicit-def: $sgpr26
	v_cmpx_eq_u16_e32 0x80, v114
; %bb.5353:                             ;   in Loop: Header=BB4_4718 Depth=2
	s_mov_b32 s26, 0x7f800001
	s_xor_b32 s10, exec_lo, -1
; %bb.5354:                             ;   in Loop: Header=BB4_4718 Depth=2
	s_or_b32 exec_lo, exec_lo, s28
	s_delay_alu instid0(SALU_CYCLE_1)
	s_and_b32 s10, s10, exec_lo
                                        ; implicit-def: $vgpr114
	s_or_saveexec_b32 s27, s27
	v_mov_b32_e32 v112, s26
	s_xor_b32 exec_lo, exec_lo, s27
	s_cbranch_execz .LBB4_5026
.LBB4_5355:                             ;   in Loop: Header=BB4_4718 Depth=2
	v_cmp_ne_u16_e32 vcc_lo, 0, v114
	v_mov_b32_e32 v112, 0
	s_and_not1_b32 s10, s10, exec_lo
	s_and_b32 s26, vcc_lo, exec_lo
	s_delay_alu instid0(SALU_CYCLE_1)
	s_or_b32 s10, s10, s26
	s_or_b32 exec_lo, exec_lo, s27
	s_and_saveexec_b32 s26, s10
	s_cbranch_execnz .LBB4_5027
	s_branch .LBB4_5028
.LBB4_5356:                             ;   in Loop: Header=BB4_4718 Depth=2
	s_mov_b32 s10, -1
	s_mov_b32 s28, exec_lo
                                        ; implicit-def: $sgpr26
	v_cmpx_eq_u16_e32 0x80, v113
; %bb.5357:                             ;   in Loop: Header=BB4_4718 Depth=2
	s_mov_b32 s26, 0x7f800001
	s_xor_b32 s10, exec_lo, -1
; %bb.5358:                             ;   in Loop: Header=BB4_4718 Depth=2
	s_or_b32 exec_lo, exec_lo, s28
	s_delay_alu instid0(SALU_CYCLE_1)
	s_and_b32 s10, s10, exec_lo
	s_or_saveexec_b32 s27, s27
	v_mov_b32_e32 v114, s26
	s_xor_b32 exec_lo, exec_lo, s27
	s_cbranch_execz .LBB4_5040
.LBB4_5359:                             ;   in Loop: Header=BB4_4718 Depth=2
	v_cmp_ne_u16_e32 vcc_lo, 0, v113
	v_mov_b32_e32 v114, 0
	s_and_not1_b32 s10, s10, exec_lo
	s_and_b32 s26, vcc_lo, exec_lo
	s_delay_alu instid0(SALU_CYCLE_1)
	s_or_b32 s10, s10, s26
	s_or_b32 exec_lo, exec_lo, s27
	s_and_saveexec_b32 s26, s10
	s_cbranch_execnz .LBB4_5041
	s_branch .LBB4_5042
.LBB4_5360:                             ;   in Loop: Header=BB4_4718 Depth=2
	s_mov_b32 s10, -1
	s_mov_b32 s28, exec_lo
                                        ; implicit-def: $sgpr26
	v_cmpx_eq_u16_e32 0x80, v112
; %bb.5361:                             ;   in Loop: Header=BB4_4718 Depth=2
	s_mov_b32 s26, 0x7f800001
	s_xor_b32 s10, exec_lo, -1
; %bb.5362:                             ;   in Loop: Header=BB4_4718 Depth=2
	s_or_b32 exec_lo, exec_lo, s28
	s_delay_alu instid0(SALU_CYCLE_1)
	s_and_b32 s10, s10, exec_lo
	s_or_saveexec_b32 s27, s27
	v_mov_b32_e32 v115, s26
	s_xor_b32 exec_lo, exec_lo, s27
	s_cbranch_execz .LBB4_5044
.LBB4_5363:                             ;   in Loop: Header=BB4_4718 Depth=2
	v_cmp_ne_u16_e32 vcc_lo, 0, v112
	v_mov_b32_e32 v115, 0
	s_and_not1_b32 s10, s10, exec_lo
	s_and_b32 s26, vcc_lo, exec_lo
	s_delay_alu instid0(SALU_CYCLE_1)
	s_or_b32 s10, s10, s26
	s_or_b32 exec_lo, exec_lo, s27
	s_and_saveexec_b32 s26, s10
	s_cbranch_execnz .LBB4_5045
	s_branch .LBB4_5046
.LBB4_5364:                             ;   in Loop: Header=BB4_4718 Depth=2
	s_mov_b32 s10, -1
	s_mov_b32 s28, exec_lo
                                        ; implicit-def: $sgpr26
	v_cmpx_eq_u16_e32 0x80, v113
; %bb.5365:                             ;   in Loop: Header=BB4_4718 Depth=2
	s_mov_b32 s26, 0x7f800001
	s_xor_b32 s10, exec_lo, -1
; %bb.5366:                             ;   in Loop: Header=BB4_4718 Depth=2
	s_or_b32 exec_lo, exec_lo, s28
	s_delay_alu instid0(SALU_CYCLE_1)
	s_and_b32 s10, s10, exec_lo
	s_or_saveexec_b32 s27, s27
	v_mov_b32_e32 v114, s26
	s_xor_b32 exec_lo, exec_lo, s27
	s_cbranch_execz .LBB4_5051
.LBB4_5367:                             ;   in Loop: Header=BB4_4718 Depth=2
	v_cmp_ne_u16_e32 vcc_lo, 0, v113
	v_mov_b32_e32 v114, 0
	s_and_not1_b32 s10, s10, exec_lo
	s_and_b32 s26, vcc_lo, exec_lo
	s_delay_alu instid0(SALU_CYCLE_1)
	s_or_b32 s10, s10, s26
	s_or_b32 exec_lo, exec_lo, s27
	s_and_saveexec_b32 s26, s10
	s_cbranch_execnz .LBB4_5052
	s_branch .LBB4_5053
.LBB4_5368:                             ;   in Loop: Header=BB4_4718 Depth=2
	s_mov_b32 s10, -1
	s_mov_b32 s28, exec_lo
                                        ; implicit-def: $sgpr26
	v_cmpx_eq_u16_e32 0x80, v112
; %bb.5369:                             ;   in Loop: Header=BB4_4718 Depth=2
	s_mov_b32 s26, 0x7f800001
	s_xor_b32 s10, exec_lo, -1
; %bb.5370:                             ;   in Loop: Header=BB4_4718 Depth=2
	s_or_b32 exec_lo, exec_lo, s28
	s_delay_alu instid0(SALU_CYCLE_1)
	s_and_b32 s10, s10, exec_lo
	s_or_saveexec_b32 s27, s27
	v_mov_b32_e32 v16, s26
	s_xor_b32 exec_lo, exec_lo, s27
	s_cbranch_execz .LBB4_5055
.LBB4_5371:                             ;   in Loop: Header=BB4_4718 Depth=2
	v_cmp_ne_u16_e32 vcc_lo, 0, v112
	v_mov_b32_e32 v16, 0
	s_and_not1_b32 s10, s10, exec_lo
	s_and_b32 s26, vcc_lo, exec_lo
	s_delay_alu instid0(SALU_CYCLE_1)
	s_or_b32 s10, s10, s26
	s_or_b32 exec_lo, exec_lo, s27
	s_and_saveexec_b32 s26, s10
	s_cbranch_execnz .LBB4_5056
	s_branch .LBB4_5057
.LBB4_5372:                             ;   in Loop: Header=BB4_4718 Depth=2
	s_mov_b32 s10, -1
	s_mov_b32 s28, exec_lo
                                        ; implicit-def: $sgpr26
	v_cmpx_eq_u16_e32 0x80, v112
; %bb.5373:                             ;   in Loop: Header=BB4_4718 Depth=2
	s_mov_b32 s26, 0x7f800001
	s_xor_b32 s10, exec_lo, -1
; %bb.5374:                             ;   in Loop: Header=BB4_4718 Depth=2
	s_or_b32 exec_lo, exec_lo, s28
	s_delay_alu instid0(SALU_CYCLE_1)
	s_and_b32 s10, s10, exec_lo
                                        ; implicit-def: $vgpr112
	s_or_saveexec_b32 s27, s27
	v_mov_b32_e32 v16, s26
	s_xor_b32 exec_lo, exec_lo, s27
	s_cbranch_execz .LBB4_5069
.LBB4_5375:                             ;   in Loop: Header=BB4_4718 Depth=2
	v_cmp_ne_u16_e32 vcc_lo, 0, v112
	v_mov_b32_e32 v16, 0
	s_and_not1_b32 s10, s10, exec_lo
	s_and_b32 s26, vcc_lo, exec_lo
	s_delay_alu instid0(SALU_CYCLE_1)
	s_or_b32 s10, s10, s26
	s_or_b32 exec_lo, exec_lo, s27
	s_and_saveexec_b32 s26, s10
	s_cbranch_execnz .LBB4_5070
	s_branch .LBB4_5071
.LBB4_5376:                             ;   in Loop: Header=BB4_4718 Depth=2
	s_mov_b32 s10, -1
	s_mov_b32 s28, exec_lo
                                        ; implicit-def: $sgpr26
	v_cmpx_eq_u16_e32 0x80, v113
; %bb.5377:                             ;   in Loop: Header=BB4_4718 Depth=2
	s_mov_b32 s26, 0x7f800001
	s_xor_b32 s10, exec_lo, -1
; %bb.5378:                             ;   in Loop: Header=BB4_4718 Depth=2
	s_or_b32 exec_lo, exec_lo, s28
	s_delay_alu instid0(SALU_CYCLE_1)
	s_and_b32 s10, s10, exec_lo
                                        ; implicit-def: $vgpr113
	s_or_saveexec_b32 s27, s27
	v_mov_b32_e32 v112, s26
	s_xor_b32 exec_lo, exec_lo, s27
	s_cbranch_execz .LBB4_5073
.LBB4_5379:                             ;   in Loop: Header=BB4_4718 Depth=2
	v_cmp_ne_u16_e32 vcc_lo, 0, v113
	v_mov_b32_e32 v112, 0
	s_and_not1_b32 s10, s10, exec_lo
	s_and_b32 s26, vcc_lo, exec_lo
	s_delay_alu instid0(SALU_CYCLE_1)
	s_or_b32 s10, s10, s26
	s_or_b32 exec_lo, exec_lo, s27
	s_and_saveexec_b32 s26, s10
	s_cbranch_execnz .LBB4_5074
	s_branch .LBB4_5075
.LBB4_5380:                             ;   in Loop: Header=BB4_4718 Depth=2
	s_mov_b32 s10, -1
	s_mov_b32 s28, exec_lo
                                        ; implicit-def: $sgpr26
	v_cmpx_eq_u16_e32 0x80, v112
; %bb.5381:                             ;   in Loop: Header=BB4_4718 Depth=2
	s_mov_b32 s26, 0x7f800001
	s_xor_b32 s10, exec_lo, -1
; %bb.5382:                             ;   in Loop: Header=BB4_4718 Depth=2
	s_or_b32 exec_lo, exec_lo, s28
	s_delay_alu instid0(SALU_CYCLE_1)
	s_and_b32 s10, s10, exec_lo
                                        ; implicit-def: $vgpr112
	s_or_saveexec_b32 s27, s27
	v_mov_b32_e32 v16, s26
	s_xor_b32 exec_lo, exec_lo, s27
	s_cbranch_execz .LBB4_5080
.LBB4_5383:                             ;   in Loop: Header=BB4_4718 Depth=2
	v_cmp_ne_u16_e32 vcc_lo, 0, v112
	v_mov_b32_e32 v16, 0
	s_and_not1_b32 s10, s10, exec_lo
	s_and_b32 s26, vcc_lo, exec_lo
	s_delay_alu instid0(SALU_CYCLE_1)
	s_or_b32 s10, s10, s26
	s_or_b32 exec_lo, exec_lo, s27
	s_and_saveexec_b32 s26, s10
	s_cbranch_execnz .LBB4_5081
	s_branch .LBB4_5082
.LBB4_5384:                             ;   in Loop: Header=BB4_4718 Depth=2
	s_mov_b32 s10, -1
	s_mov_b32 s28, exec_lo
                                        ; implicit-def: $sgpr26
	v_cmpx_eq_u16_e32 0x80, v113
; %bb.5385:                             ;   in Loop: Header=BB4_4718 Depth=2
	s_mov_b32 s26, 0x7f800001
	s_xor_b32 s10, exec_lo, -1
; %bb.5386:                             ;   in Loop: Header=BB4_4718 Depth=2
	s_or_b32 exec_lo, exec_lo, s28
	s_delay_alu instid0(SALU_CYCLE_1)
	s_and_b32 s10, s10, exec_lo
                                        ; implicit-def: $vgpr113
	s_or_saveexec_b32 s27, s27
	v_mov_b32_e32 v112, s26
	s_xor_b32 exec_lo, exec_lo, s27
	s_cbranch_execz .LBB4_5084
.LBB4_5387:                             ;   in Loop: Header=BB4_4718 Depth=2
	v_cmp_ne_u16_e32 vcc_lo, 0, v113
	v_mov_b32_e32 v112, 0
	s_and_not1_b32 s10, s10, exec_lo
	s_and_b32 s26, vcc_lo, exec_lo
	s_delay_alu instid0(SALU_CYCLE_1)
	s_or_b32 s10, s10, s26
	s_or_b32 exec_lo, exec_lo, s27
	s_and_saveexec_b32 s26, s10
	s_cbranch_execnz .LBB4_5085
	s_branch .LBB4_5086
.LBB4_5388:                             ;   in Loop: Header=BB4_4718 Depth=2
	s_mov_b32 s10, -1
	s_mov_b32 s28, exec_lo
                                        ; implicit-def: $sgpr26
	v_cmpx_eq_u16_e32 0x80, v113
; %bb.5389:                             ;   in Loop: Header=BB4_4718 Depth=2
	s_mov_b32 s26, 0x7f800001
	s_xor_b32 s10, exec_lo, -1
; %bb.5390:                             ;   in Loop: Header=BB4_4718 Depth=2
	s_or_b32 exec_lo, exec_lo, s28
	s_delay_alu instid0(SALU_CYCLE_1)
	s_and_b32 s10, s10, exec_lo
	s_or_saveexec_b32 s27, s27
	v_mov_b32_e32 v114, s26
	s_xor_b32 exec_lo, exec_lo, s27
	s_cbranch_execz .LBB4_5098
.LBB4_5391:                             ;   in Loop: Header=BB4_4718 Depth=2
	v_cmp_ne_u16_e32 vcc_lo, 0, v113
	v_mov_b32_e32 v114, 0
	s_and_not1_b32 s10, s10, exec_lo
	s_and_b32 s26, vcc_lo, exec_lo
	s_delay_alu instid0(SALU_CYCLE_1)
	s_or_b32 s10, s10, s26
	s_or_b32 exec_lo, exec_lo, s27
	s_and_saveexec_b32 s26, s10
	s_cbranch_execnz .LBB4_5099
	s_branch .LBB4_5100
.LBB4_5392:                             ;   in Loop: Header=BB4_4718 Depth=2
	s_mov_b32 s10, -1
	s_mov_b32 s28, exec_lo
                                        ; implicit-def: $sgpr26
	v_cmpx_eq_u16_e32 0x80, v112
; %bb.5393:                             ;   in Loop: Header=BB4_4718 Depth=2
	s_mov_b32 s26, 0x7f800001
	s_xor_b32 s10, exec_lo, -1
; %bb.5394:                             ;   in Loop: Header=BB4_4718 Depth=2
	s_or_b32 exec_lo, exec_lo, s28
	s_delay_alu instid0(SALU_CYCLE_1)
	s_and_b32 s10, s10, exec_lo
	s_or_saveexec_b32 s27, s27
	v_mov_b32_e32 v115, s26
	s_xor_b32 exec_lo, exec_lo, s27
	s_cbranch_execz .LBB4_5102
.LBB4_5395:                             ;   in Loop: Header=BB4_4718 Depth=2
	v_cmp_ne_u16_e32 vcc_lo, 0, v112
	v_mov_b32_e32 v115, 0
	s_and_not1_b32 s10, s10, exec_lo
	s_and_b32 s26, vcc_lo, exec_lo
	s_delay_alu instid0(SALU_CYCLE_1)
	s_or_b32 s10, s10, s26
	s_or_b32 exec_lo, exec_lo, s27
	s_and_saveexec_b32 s26, s10
	s_cbranch_execnz .LBB4_5103
	s_branch .LBB4_5104
.LBB4_5396:                             ;   in Loop: Header=BB4_4718 Depth=2
	s_mov_b32 s10, -1
	s_mov_b32 s28, exec_lo
                                        ; implicit-def: $sgpr26
	v_cmpx_eq_u16_e32 0x80, v113
; %bb.5397:                             ;   in Loop: Header=BB4_4718 Depth=2
	s_mov_b32 s26, 0x7f800001
	s_xor_b32 s10, exec_lo, -1
; %bb.5398:                             ;   in Loop: Header=BB4_4718 Depth=2
	s_or_b32 exec_lo, exec_lo, s28
	s_delay_alu instid0(SALU_CYCLE_1)
	s_and_b32 s10, s10, exec_lo
	s_or_saveexec_b32 s27, s27
	v_mov_b32_e32 v114, s26
	s_xor_b32 exec_lo, exec_lo, s27
	s_cbranch_execz .LBB4_5109
.LBB4_5399:                             ;   in Loop: Header=BB4_4718 Depth=2
	v_cmp_ne_u16_e32 vcc_lo, 0, v113
	v_mov_b32_e32 v114, 0
	s_and_not1_b32 s10, s10, exec_lo
	s_and_b32 s26, vcc_lo, exec_lo
	s_delay_alu instid0(SALU_CYCLE_1)
	s_or_b32 s10, s10, s26
	s_or_b32 exec_lo, exec_lo, s27
	s_and_saveexec_b32 s26, s10
	s_cbranch_execnz .LBB4_5110
	s_branch .LBB4_5111
.LBB4_5400:                             ;   in Loop: Header=BB4_4718 Depth=2
	s_mov_b32 s10, -1
	s_mov_b32 s28, exec_lo
                                        ; implicit-def: $sgpr26
	v_cmpx_eq_u16_e32 0x80, v112
; %bb.5401:                             ;   in Loop: Header=BB4_4718 Depth=2
	s_mov_b32 s26, 0x7f800001
	s_xor_b32 s10, exec_lo, -1
; %bb.5402:                             ;   in Loop: Header=BB4_4718 Depth=2
	s_or_b32 exec_lo, exec_lo, s28
	s_delay_alu instid0(SALU_CYCLE_1)
	s_and_b32 s10, s10, exec_lo
	s_or_saveexec_b32 s27, s27
	v_mov_b32_e32 v113, s26
	s_xor_b32 exec_lo, exec_lo, s27
	s_cbranch_execz .LBB4_5113
.LBB4_5403:                             ;   in Loop: Header=BB4_4718 Depth=2
	v_cmp_ne_u16_e32 vcc_lo, 0, v112
	v_mov_b32_e32 v113, 0
	s_and_not1_b32 s10, s10, exec_lo
	s_and_b32 s26, vcc_lo, exec_lo
	s_delay_alu instid0(SALU_CYCLE_1)
	s_or_b32 s10, s10, s26
	s_or_b32 exec_lo, exec_lo, s27
	s_and_saveexec_b32 s26, s10
	s_cbranch_execnz .LBB4_5114
	s_branch .LBB4_5115
.LBB4_5404:                             ;   in Loop: Header=BB4_4718 Depth=2
	s_mov_b32 s10, -1
	s_mov_b32 s28, exec_lo
                                        ; implicit-def: $sgpr26
	v_cmpx_eq_u16_e32 0x80, v116
; %bb.5405:                             ;   in Loop: Header=BB4_4718 Depth=2
	s_mov_b32 s26, 0x7f800001
	s_xor_b32 s10, exec_lo, -1
; %bb.5406:                             ;   in Loop: Header=BB4_4718 Depth=2
	s_or_b32 exec_lo, exec_lo, s28
	s_delay_alu instid0(SALU_CYCLE_1)
	s_and_b32 s10, s10, exec_lo
                                        ; implicit-def: $vgpr116
	s_or_saveexec_b32 s27, s27
	v_mov_b32_e32 v115, s26
	s_xor_b32 exec_lo, exec_lo, s27
	s_cbranch_execz .LBB4_5127
.LBB4_5407:                             ;   in Loop: Header=BB4_4718 Depth=2
	v_cmp_ne_u16_e32 vcc_lo, 0, v116
	v_mov_b32_e32 v115, 0
	s_and_not1_b32 s10, s10, exec_lo
	s_and_b32 s26, vcc_lo, exec_lo
	s_delay_alu instid0(SALU_CYCLE_1)
	s_or_b32 s10, s10, s26
	s_or_b32 exec_lo, exec_lo, s27
	s_and_saveexec_b32 s26, s10
	s_cbranch_execnz .LBB4_5128
	s_branch .LBB4_5129
.LBB4_5408:                             ;   in Loop: Header=BB4_4718 Depth=2
	s_mov_b32 s10, -1
	s_mov_b32 s28, exec_lo
                                        ; implicit-def: $sgpr26
	v_cmpx_eq_u16_e32 0x80, v117
; %bb.5409:                             ;   in Loop: Header=BB4_4718 Depth=2
	s_mov_b32 s26, 0x7f800001
	s_xor_b32 s10, exec_lo, -1
; %bb.5410:                             ;   in Loop: Header=BB4_4718 Depth=2
	s_or_b32 exec_lo, exec_lo, s28
	s_delay_alu instid0(SALU_CYCLE_1)
	s_and_b32 s10, s10, exec_lo
                                        ; implicit-def: $vgpr117
	s_or_saveexec_b32 s27, s27
	v_mov_b32_e32 v116, s26
	s_xor_b32 exec_lo, exec_lo, s27
	s_cbranch_execz .LBB4_5131
.LBB4_5411:                             ;   in Loop: Header=BB4_4718 Depth=2
	v_cmp_ne_u16_e32 vcc_lo, 0, v117
	v_mov_b32_e32 v116, 0
	s_and_not1_b32 s10, s10, exec_lo
	s_and_b32 s26, vcc_lo, exec_lo
	s_delay_alu instid0(SALU_CYCLE_1)
	s_or_b32 s10, s10, s26
	s_or_b32 exec_lo, exec_lo, s27
	s_and_saveexec_b32 s26, s10
	s_cbranch_execnz .LBB4_5132
	s_branch .LBB4_5133
.LBB4_5412:                             ;   in Loop: Header=BB4_4718 Depth=2
	s_mov_b32 s10, -1
	s_mov_b32 s28, exec_lo
                                        ; implicit-def: $sgpr26
	v_cmpx_eq_u16_e32 0x80, v116
; %bb.5413:                             ;   in Loop: Header=BB4_4718 Depth=2
	s_mov_b32 s26, 0x7f800001
	s_xor_b32 s10, exec_lo, -1
; %bb.5414:                             ;   in Loop: Header=BB4_4718 Depth=2
	s_or_b32 exec_lo, exec_lo, s28
	s_delay_alu instid0(SALU_CYCLE_1)
	s_and_b32 s10, s10, exec_lo
                                        ; implicit-def: $vgpr116
	s_or_saveexec_b32 s27, s27
	v_mov_b32_e32 v115, s26
	s_xor_b32 exec_lo, exec_lo, s27
	s_cbranch_execz .LBB4_5138
.LBB4_5415:                             ;   in Loop: Header=BB4_4718 Depth=2
	v_cmp_ne_u16_e32 vcc_lo, 0, v116
	v_mov_b32_e32 v115, 0
	s_and_not1_b32 s10, s10, exec_lo
	s_and_b32 s26, vcc_lo, exec_lo
	s_delay_alu instid0(SALU_CYCLE_1)
	s_or_b32 s10, s10, s26
	s_or_b32 exec_lo, exec_lo, s27
	s_and_saveexec_b32 s26, s10
	s_cbranch_execnz .LBB4_5139
	s_branch .LBB4_5140
.LBB4_5416:                             ;   in Loop: Header=BB4_4718 Depth=2
	s_mov_b32 s10, -1
	s_mov_b32 s28, exec_lo
                                        ; implicit-def: $sgpr26
	v_cmpx_eq_u16_e32 0x80, v116
; %bb.5417:                             ;   in Loop: Header=BB4_4718 Depth=2
	s_mov_b32 s26, 0x7f800001
	s_xor_b32 s10, exec_lo, -1
; %bb.5418:                             ;   in Loop: Header=BB4_4718 Depth=2
	s_or_b32 exec_lo, exec_lo, s28
	s_delay_alu instid0(SALU_CYCLE_1)
	s_and_b32 s10, s10, exec_lo
                                        ; implicit-def: $vgpr116
	s_or_saveexec_b32 s27, s27
	v_mov_b32_e32 v114, s26
	s_xor_b32 exec_lo, exec_lo, s27
	s_cbranch_execz .LBB4_5142
.LBB4_5419:                             ;   in Loop: Header=BB4_4718 Depth=2
	v_cmp_ne_u16_e32 vcc_lo, 0, v116
	v_mov_b32_e32 v114, 0
	s_and_not1_b32 s10, s10, exec_lo
	s_and_b32 s26, vcc_lo, exec_lo
	s_delay_alu instid0(SALU_CYCLE_1)
	s_or_b32 s10, s10, s26
	s_or_b32 exec_lo, exec_lo, s27
	s_and_saveexec_b32 s26, s10
	s_cbranch_execnz .LBB4_5143
	s_branch .LBB4_5144
.LBB4_5420:                             ;   in Loop: Header=BB4_4718 Depth=2
	s_mov_b32 s10, -1
	s_mov_b32 s28, exec_lo
                                        ; implicit-def: $sgpr26
	v_cmpx_eq_u16_e32 0x80, v115
; %bb.5421:                             ;   in Loop: Header=BB4_4718 Depth=2
	s_mov_b32 s26, 0x7f800001
	s_xor_b32 s10, exec_lo, -1
; %bb.5422:                             ;   in Loop: Header=BB4_4718 Depth=2
	s_or_b32 exec_lo, exec_lo, s28
	s_delay_alu instid0(SALU_CYCLE_1)
	s_and_b32 s10, s10, exec_lo
	s_or_saveexec_b32 s27, s27
	v_mov_b32_e32 v116, s26
	s_xor_b32 exec_lo, exec_lo, s27
	s_cbranch_execz .LBB4_5156
.LBB4_5423:                             ;   in Loop: Header=BB4_4718 Depth=2
	v_cmp_ne_u16_e32 vcc_lo, 0, v115
	v_mov_b32_e32 v116, 0
	s_and_not1_b32 s10, s10, exec_lo
	s_and_b32 s26, vcc_lo, exec_lo
	s_delay_alu instid0(SALU_CYCLE_1)
	s_or_b32 s10, s10, s26
	s_or_b32 exec_lo, exec_lo, s27
	s_and_saveexec_b32 s26, s10
	s_cbranch_execnz .LBB4_5157
	s_branch .LBB4_5158
.LBB4_5424:                             ;   in Loop: Header=BB4_4718 Depth=2
	s_mov_b32 s10, -1
	s_mov_b32 s28, exec_lo
                                        ; implicit-def: $sgpr26
	v_cmpx_eq_u16_e32 0x80, v114
; %bb.5425:                             ;   in Loop: Header=BB4_4718 Depth=2
	s_mov_b32 s26, 0x7f800001
	s_xor_b32 s10, exec_lo, -1
; %bb.5426:                             ;   in Loop: Header=BB4_4718 Depth=2
	s_or_b32 exec_lo, exec_lo, s28
	s_delay_alu instid0(SALU_CYCLE_1)
	s_and_b32 s10, s10, exec_lo
	s_or_saveexec_b32 s27, s27
	v_mov_b32_e32 v117, s26
	s_xor_b32 exec_lo, exec_lo, s27
	s_cbranch_execz .LBB4_5160
.LBB4_5427:                             ;   in Loop: Header=BB4_4718 Depth=2
	v_cmp_ne_u16_e32 vcc_lo, 0, v114
	v_mov_b32_e32 v117, 0
	s_and_not1_b32 s10, s10, exec_lo
	s_and_b32 s26, vcc_lo, exec_lo
	s_delay_alu instid0(SALU_CYCLE_1)
	s_or_b32 s10, s10, s26
	s_or_b32 exec_lo, exec_lo, s27
	s_and_saveexec_b32 s26, s10
	s_cbranch_execnz .LBB4_5161
	s_branch .LBB4_5162
.LBB4_5428:                             ;   in Loop: Header=BB4_4718 Depth=2
	s_mov_b32 s10, -1
	s_mov_b32 s28, exec_lo
                                        ; implicit-def: $sgpr26
	v_cmpx_eq_u16_e32 0x80, v115
; %bb.5429:                             ;   in Loop: Header=BB4_4718 Depth=2
	s_mov_b32 s26, 0x7f800001
	s_xor_b32 s10, exec_lo, -1
; %bb.5430:                             ;   in Loop: Header=BB4_4718 Depth=2
	s_or_b32 exec_lo, exec_lo, s28
	s_delay_alu instid0(SALU_CYCLE_1)
	s_and_b32 s10, s10, exec_lo
	s_or_saveexec_b32 s27, s27
	v_mov_b32_e32 v116, s26
	s_xor_b32 exec_lo, exec_lo, s27
	s_cbranch_execz .LBB4_5167
.LBB4_5431:                             ;   in Loop: Header=BB4_4718 Depth=2
	v_cmp_ne_u16_e32 vcc_lo, 0, v115
	v_mov_b32_e32 v116, 0
	s_and_not1_b32 s10, s10, exec_lo
	s_and_b32 s26, vcc_lo, exec_lo
	s_delay_alu instid0(SALU_CYCLE_1)
	s_or_b32 s10, s10, s26
	s_or_b32 exec_lo, exec_lo, s27
	s_and_saveexec_b32 s26, s10
	s_cbranch_execnz .LBB4_5168
	s_branch .LBB4_5169
.LBB4_5432:                             ;   in Loop: Header=BB4_4718 Depth=2
	s_mov_b32 s10, -1
	s_mov_b32 s28, exec_lo
                                        ; implicit-def: $sgpr26
	v_cmpx_eq_u16_e32 0x80, v114
; %bb.5433:                             ;   in Loop: Header=BB4_4718 Depth=2
	s_mov_b32 s26, 0x7f800001
	s_xor_b32 s10, exec_lo, -1
; %bb.5434:                             ;   in Loop: Header=BB4_4718 Depth=2
	s_or_b32 exec_lo, exec_lo, s28
	s_delay_alu instid0(SALU_CYCLE_1)
	s_and_b32 s10, s10, exec_lo
	s_or_saveexec_b32 s27, s27
	v_mov_b32_e32 v17, s26
	s_xor_b32 exec_lo, exec_lo, s27
	s_cbranch_execz .LBB4_5171
.LBB4_5435:                             ;   in Loop: Header=BB4_4718 Depth=2
	v_cmp_ne_u16_e32 vcc_lo, 0, v114
	v_mov_b32_e32 v17, 0
	s_and_not1_b32 s10, s10, exec_lo
	s_and_b32 s26, vcc_lo, exec_lo
	s_delay_alu instid0(SALU_CYCLE_1)
	s_or_b32 s10, s10, s26
	s_or_b32 exec_lo, exec_lo, s27
	s_and_saveexec_b32 s26, s10
	s_cbranch_execnz .LBB4_5172
	s_branch .LBB4_5173
.LBB4_5436:                             ;   in Loop: Header=BB4_3185 Depth=1
	s_or_b32 exec_lo, exec_lo, s24
.LBB4_5437:                             ;   in Loop: Header=BB4_3185 Depth=1
	s_delay_alu instid0(SALU_CYCLE_1) | instskip(SKIP_3) | instid1(VALU_DEP_1)
	s_or_b32 exec_lo, exec_lo, s23
	v_dual_mov_b32 v16, 0 :: v_dual_and_b32 v11, 15, v50
	s_mov_b32 s10, 0
	s_mov_b32 s23, exec_lo
                                        ; implicit-def: $vgpr18
                                        ; implicit-def: $vgpr10
	v_cndmask_b32_e64 v17, v25, v11, s7
	s_delay_alu instid0(VALU_DEP_1)
	v_cmpx_ne_u32_e32 0, v17
	s_cbranch_execz .LBB4_5439
; %bb.5438:                             ;   in Loop: Header=BB4_3185 Depth=1
	v_cmp_lt_i32_e32 vcc_lo, 0, v64
	v_sub_nc_u32_e32 v11, v25, v11
	v_and_b32_e32 v12, 0x3ffffe00, v50
	s_mov_b32 s10, exec_lo
	v_cndmask_b32_e32 v10, 0, v70, vcc_lo
	s_delay_alu instid0(VALU_DEP_3) | instskip(NEXT) | instid1(VALU_DEP_2)
	v_cndmask_b32_e64 v11, 0, v11, s7
	v_sub_nc_u32_e32 v10, v10, v64
	s_delay_alu instid0(VALU_DEP_2) | instskip(NEXT) | instid1(VALU_DEP_2)
	v_add_nc_u32_e32 v16, v11, v12
	v_lshl_add_u32 v18, v10, 5, v24
	s_delay_alu instid0(VALU_DEP_1) | instskip(NEXT) | instid1(VALU_DEP_1)
	v_ashrrev_i32_e32 v10, 31, v18
	v_lshrrev_b32_e32 v10, 27, v10
	s_delay_alu instid0(VALU_DEP_1) | instskip(NEXT) | instid1(VALU_DEP_1)
	v_add_nc_u32_e32 v10, v18, v10
	v_ashrrev_i32_e32 v10, 5, v10
.LBB4_5439:                             ;   in Loop: Header=BB4_3185 Depth=1
	s_or_b32 exec_lo, exec_lo, s23
	s_delay_alu instid0(SALU_CYCLE_1)
	s_and_b32 s7, s10, exec_lo
.LBB4_5440:                             ;   in Loop: Header=BB4_3185 Depth=1
	s_or_b32 exec_lo, exec_lo, s22
.LBB4_5441:                             ;   in Loop: Header=BB4_3185 Depth=1
	s_and_saveexec_b32 s10, s7
	s_cbranch_execz .LBB4_6217
; %bb.5442:                             ;   in Loop: Header=BB4_3185 Depth=1
	s_delay_alu instid0(VALU_DEP_1) | instskip(SKIP_1) | instid1(VALU_DEP_1)
	v_ashrrev_i32_e32 v11, 31, v17
	s_mov_b32 s22, exec_lo
	v_lshrrev_b32_e32 v11, 23, v11
	s_delay_alu instid0(VALU_DEP_1) | instskip(NEXT) | instid1(VALU_DEP_1)
	v_add_nc_u32_e32 v11, v17, v11
	v_ashrrev_i32_e32 v20, 9, v11
	s_waitcnt vmcnt(0)
	s_delay_alu instid0(VALU_DEP_1) | instskip(NEXT) | instid1(VALU_DEP_1)
	v_sub_nc_u32_e32 v19, v20, v10
	v_cmpx_lt_i32_e32 0, v19
	s_cbranch_execz .LBB4_6167
; %bb.5443:                             ;   in Loop: Header=BB4_3185 Depth=1
	s_cbranch_execnz .LBB4_6731
; %bb.5444:                             ;   in Loop: Header=BB4_3185 Depth=1
	v_ashrrev_i32_e32 v11, 31, v18
	ds_load_b64 v[21:22], v0
	v_lshlrev_b32_e32 v10, 9, v10
	s_bitcmp1_b32 s21, 0
	s_mov_b32 s24, 0
	v_lshrrev_b32_e32 v11, 27, v11
	s_cselect_b32 s23, -1, 0
	s_delay_alu instid0(VALU_DEP_1) | instskip(NEXT) | instid1(VALU_DEP_1)
	v_add_nc_u32_e32 v11, v18, v11
	v_and_b32_e32 v15, 0xffffffe0, v11
	ds_load_b128 v[11:14], v0
	v_sub_nc_u32_e32 v15, v18, v15
	s_waitcnt lgkmcnt(1)
	v_add_co_u32 v21, vcc_lo, 0x1e0, v21
	v_add_co_ci_u32_e32 v22, vcc_lo, 0, v22, vcc_lo
	s_delay_alu instid0(VALU_DEP_3) | instskip(NEXT) | instid1(VALU_DEP_1)
	v_add3_u32 v15, v16, v15, v10
	v_ashrrev_i32_e32 v23, 31, v15
	s_waitcnt lgkmcnt(0)
	v_add_co_u32 v10, vcc_lo, v11, v15
	s_delay_alu instid0(VALU_DEP_2)
	v_add_co_ci_u32_e32 v11, vcc_lo, v12, v23, vcc_lo
	v_add_co_u32 v12, vcc_lo, v13, v15
	v_add_co_ci_u32_e32 v13, vcc_lo, v14, v23, vcc_lo
	v_add_co_u32 v14, vcc_lo, v21, v15
	v_add_co_ci_u32_e32 v15, vcc_lo, v22, v23, vcc_lo
	s_branch .LBB4_5448
.LBB4_5445:                             ;   in Loop: Header=BB4_5448 Depth=2
	s_or_b32 exec_lo, exec_lo, s7
	s_delay_alu instid0(VALU_DEP_1) | instskip(NEXT) | instid1(VALU_DEP_2)
	v_lshrrev_b32_e32 v22, 20, v22
	v_cmp_gt_i32_e32 vcc_lo, 16, v21
	v_lshrrev_b32_e32 v25, 24, v66
	v_min_i32_e32 v66, 15, v21
	s_delay_alu instid0(VALU_DEP_2) | instskip(NEXT) | instid1(VALU_DEP_2)
	v_dual_cndmask_b32 v22, 7, v22 :: v_dual_and_b32 v25, 0x80, v25
	v_lshlrev_b32_e32 v66, 3, v66
	s_delay_alu instid0(VALU_DEP_2) | instskip(SKIP_1) | instid1(VALU_DEP_2)
	v_and_b32_e32 v69, 7, v22
	v_or_b32_e32 v21, v21, v22
	v_or3_b32 v22, v66, v25, v69
	s_delay_alu instid0(VALU_DEP_2) | instskip(NEXT) | instid1(VALU_DEP_2)
	v_cmp_ne_u32_e32 vcc_lo, 0, v21
	v_cndmask_b32_e32 v21, 0, v22, vcc_lo
.LBB4_5446:                             ;   in Loop: Header=BB4_5448 Depth=2
	s_or_b32 exec_lo, exec_lo, s26
.LBB4_5447:                             ;   in Loop: Header=BB4_5448 Depth=2
	s_delay_alu instid0(SALU_CYCLE_1)
	s_or_b32 exec_lo, exec_lo, s25
	v_add_co_u32 v130, vcc_lo, 0xfffffe20, v14
	v_add_co_ci_u32_e32 v131, vcc_lo, -1, v15, vcc_lo
	v_add_co_u32 v132, vcc_lo, 0xfffffe40, v14
	v_add_co_ci_u32_e32 v133, vcc_lo, -1, v15, vcc_lo
	;; [unrolled: 2-line block ×5, first 2 shown]
	v_add_co_u32 v22, vcc_lo, 0xfffffec0, v14
	flat_store_b8 v[130:131], v23 glc slc dlc
	flat_store_b8 v[132:133], v64 glc slc dlc
	;; [unrolled: 1-line block ×5, first 2 shown]
	v_add_co_ci_u32_e32 v23, vcc_lo, -1, v15, vcc_lo
	v_add_co_u32 v66, vcc_lo, 0xfffffee0, v14
	v_add_co_ci_u32_e32 v67, vcc_lo, -1, v15, vcc_lo
	v_add_co_u32 v130, vcc_lo, 0xffffff00, v14
	v_add_co_ci_u32_e32 v131, vcc_lo, -1, v15, vcc_lo
	v_add_co_u32 v132, vcc_lo, 0xffffff20, v14
	v_add_co_ci_u32_e32 v133, vcc_lo, -1, v15, vcc_lo
	v_add_co_u32 v134, vcc_lo, 0xffffff40, v14
	v_add_co_ci_u32_e32 v135, vcc_lo, -1, v15, vcc_lo
	flat_store_b8 v[22:23], v115 glc slc dlc
	flat_store_b8 v[66:67], v118 glc slc dlc
	;; [unrolled: 1-line block ×5, first 2 shown]
	v_add_co_u32 v22, vcc_lo, 0xffffff60, v14
	v_add_co_ci_u32_e32 v23, vcc_lo, -1, v15, vcc_lo
	v_add_co_u32 v66, vcc_lo, 0xffffff80, v14
	v_add_co_ci_u32_e32 v67, vcc_lo, -1, v15, vcc_lo
	;; [unrolled: 2-line block ×5, first 2 shown]
	v_add_co_u32 v10, vcc_lo, v10, v97
	v_sub_nc_u32_e32 v19, v19, v70
	v_add_co_ci_u32_e32 v11, vcc_lo, v11, v98, vcc_lo
	v_add_co_u32 v12, vcc_lo, v12, v97
	v_add_co_ci_u32_e32 v13, vcc_lo, v13, v98, vcc_lo
	flat_store_b8 v[22:23], v113 glc slc dlc
	flat_store_b8 v[66:67], v102 glc slc dlc
	;; [unrolled: 1-line block ×6, first 2 shown]
	v_cmp_gt_i32_e32 vcc_lo, 1, v19
	v_add_co_u32 v14, s7, v14, v97
	s_delay_alu instid0(VALU_DEP_1) | instskip(SKIP_1) | instid1(SALU_CYCLE_1)
	v_add_co_ci_u32_e64 v15, s7, v15, v98, s7
	s_or_b32 s24, vcc_lo, s24
	s_and_not1_b32 exec_lo, exec_lo, s24
	s_cbranch_execz .LBB4_6166
.LBB4_5448:                             ;   Parent Loop BB4_3185 Depth=1
                                        ; =>  This Inner Loop Header: Depth=2
	s_clause 0xf
	flat_load_u8 v145, v[10:11] slc dlc
	flat_load_u8 v144, v[10:11] offset:32 slc dlc
	flat_load_u8 v135, v[10:11] offset:64 slc dlc
	;; [unrolled: 1-line block ×15, first 2 shown]
	s_clause 0xf
	flat_load_u8 v23, v[12:13] slc dlc
	flat_load_u8 v64, v[12:13] offset:32 slc dlc
	flat_load_u8 v67, v[12:13] offset:64 slc dlc
	;; [unrolled: 1-line block ×15, first 2 shown]
	s_and_b32 vcc_lo, exec_lo, s23
	s_waitcnt vmcnt(31) lgkmcnt(31)
	v_and_b32_e32 v146, 0xff, v145
	s_delay_alu instid0(VALU_DEP_1)
	v_cmp_lt_i16_e64 s7, 0x7f, v146
	s_cbranch_vccz .LBB4_5458
; %bb.5449:                             ;   in Loop: Header=BB4_5448 Depth=2
	s_mov_b32 s25, 0
                                        ; implicit-def: $sgpr26
	s_delay_alu instid0(VALU_DEP_1) | instskip(NEXT) | instid1(SALU_CYCLE_1)
	s_and_saveexec_b32 s27, s7
	s_xor_b32 s7, exec_lo, s27
	s_cbranch_execnz .LBB4_5910
; %bb.5450:                             ;   in Loop: Header=BB4_5448 Depth=2
	s_or_saveexec_b32 s7, s7
	v_mov_b32_e32 v147, s26
	s_xor_b32 exec_lo, exec_lo, s7
	s_cbranch_execnz .LBB4_5913
.LBB4_5451:                             ;   in Loop: Header=BB4_5448 Depth=2
	s_or_b32 exec_lo, exec_lo, s7
	s_and_saveexec_b32 s7, s25
	s_cbranch_execz .LBB4_5453
.LBB4_5452:                             ;   in Loop: Header=BB4_5448 Depth=2
	v_lshrrev_b16 v150, 3, v145
	v_lshlrev_b32_e32 v151, 24, v145
	s_delay_alu instid0(VALU_DEP_2) | instskip(NEXT) | instid1(VALU_DEP_1)
	v_and_b32_e32 v150, 15, v150
	v_cmp_eq_u32_e32 vcc_lo, 0, v150
	v_and_b32_e32 v147, 7, v145
	s_delay_alu instid0(VALU_DEP_1) | instskip(NEXT) | instid1(VALU_DEP_1)
	v_clz_i32_u32_e32 v148, v147
	v_min_u32_e32 v148, 32, v148
	s_delay_alu instid0(VALU_DEP_1) | instskip(SKIP_1) | instid1(VALU_DEP_1)
	v_subrev_nc_u32_e32 v149, 28, v148
	v_sub_nc_u32_e32 v148, 29, v148
	v_dual_cndmask_b32 v148, v150, v148 :: v_dual_lshlrev_b32 v149, v149, v145
	s_delay_alu instid0(VALU_DEP_1) | instskip(NEXT) | instid1(VALU_DEP_2)
	v_and_b32_e32 v149, 7, v149
	v_lshl_add_u32 v148, v148, 23, 0x3b800000
	s_delay_alu instid0(VALU_DEP_2) | instskip(SKIP_1) | instid1(VALU_DEP_2)
	v_cndmask_b32_e32 v147, v147, v149, vcc_lo
	v_and_b32_e32 v149, 0x80000000, v151
	v_lshlrev_b32_e32 v147, 20, v147
	s_delay_alu instid0(VALU_DEP_1)
	v_or3_b32 v147, v149, v148, v147
.LBB4_5453:                             ;   in Loop: Header=BB4_5448 Depth=2
	s_or_b32 exec_lo, exec_lo, s7
	s_waitcnt vmcnt(15) lgkmcnt(15)
	v_and_b32_e32 v149, 0xff, v23
	s_mov_b32 s7, 0
	s_mov_b32 s26, exec_lo
                                        ; implicit-def: $sgpr25
	s_delay_alu instid0(VALU_DEP_1)
	v_cmpx_lt_i16_e64 0x7f, v149
	s_xor_b32 s26, exec_lo, s26
	s_cbranch_execnz .LBB4_5914
; %bb.5454:                             ;   in Loop: Header=BB4_5448 Depth=2
	s_or_saveexec_b32 s26, s26
	v_mov_b32_e32 v148, s25
	s_xor_b32 exec_lo, exec_lo, s26
	s_cbranch_execnz .LBB4_5917
.LBB4_5455:                             ;   in Loop: Header=BB4_5448 Depth=2
	s_or_b32 exec_lo, exec_lo, s26
	s_and_saveexec_b32 s25, s7
	s_cbranch_execz .LBB4_5457
.LBB4_5456:                             ;   in Loop: Header=BB4_5448 Depth=2
	v_lshrrev_b16 v151, 3, v23
	v_lshlrev_b32_e32 v160, 24, v23
	s_delay_alu instid0(VALU_DEP_2) | instskip(NEXT) | instid1(VALU_DEP_1)
	v_and_b32_e32 v151, 15, v151
	v_cmp_eq_u32_e32 vcc_lo, 0, v151
	v_and_b32_e32 v148, 7, v23
	s_delay_alu instid0(VALU_DEP_1) | instskip(NEXT) | instid1(VALU_DEP_1)
	v_clz_i32_u32_e32 v149, v148
	v_min_u32_e32 v149, 32, v149
	s_delay_alu instid0(VALU_DEP_1) | instskip(SKIP_1) | instid1(VALU_DEP_1)
	v_subrev_nc_u32_e32 v150, 28, v149
	v_sub_nc_u32_e32 v149, 29, v149
	v_dual_cndmask_b32 v149, v151, v149 :: v_dual_lshlrev_b32 v150, v150, v23
	s_delay_alu instid0(VALU_DEP_1) | instskip(NEXT) | instid1(VALU_DEP_2)
	v_and_b32_e32 v150, 7, v150
	v_lshl_add_u32 v149, v149, 23, 0x3b800000
	s_delay_alu instid0(VALU_DEP_2) | instskip(SKIP_1) | instid1(VALU_DEP_2)
	v_cndmask_b32_e32 v148, v148, v150, vcc_lo
	v_and_b32_e32 v150, 0x80000000, v160
	v_lshlrev_b32_e32 v148, 20, v148
	s_delay_alu instid0(VALU_DEP_1)
	v_or3_b32 v148, v150, v149, v148
.LBB4_5457:                             ;   in Loop: Header=BB4_5448 Depth=2
	s_or_b32 exec_lo, exec_lo, s25
	s_delay_alu instid0(VALU_DEP_1) | instskip(SKIP_1) | instid1(VALU_DEP_1)
	v_dual_max_f32 v148, v148, v148 :: v_dual_max_f32 v147, v147, v147
	s_mov_b32 s7, 0
	v_max_f32_e32 v147, v147, v148
	s_branch .LBB4_5459
.LBB4_5458:                             ;   in Loop: Header=BB4_5448 Depth=2
	s_mov_b32 s7, -1
                                        ; implicit-def: $vgpr147
.LBB4_5459:                             ;   in Loop: Header=BB4_5448 Depth=2
	s_delay_alu instid0(SALU_CYCLE_1)
	s_and_b32 vcc_lo, exec_lo, s7
	s_cbranch_vccz .LBB4_5469
; %bb.5460:                             ;   in Loop: Header=BB4_5448 Depth=2
	s_mov_b32 s7, 0
	s_mov_b32 s26, exec_lo
                                        ; implicit-def: $sgpr25
	v_cmpx_lt_i16_e64 0x7f, v146
	s_xor_b32 s26, exec_lo, s26
	s_cbranch_execnz .LBB4_5918
; %bb.5461:                             ;   in Loop: Header=BB4_5448 Depth=2
	s_or_saveexec_b32 s26, s26
	v_mov_b32_e32 v147, s25
	s_xor_b32 exec_lo, exec_lo, s26
	s_cbranch_execnz .LBB4_5921
.LBB4_5462:                             ;   in Loop: Header=BB4_5448 Depth=2
	s_or_b32 exec_lo, exec_lo, s26
	s_and_saveexec_b32 s25, s7
	s_cbranch_execz .LBB4_5464
.LBB4_5463:                             ;   in Loop: Header=BB4_5448 Depth=2
	v_lshrrev_b16 v149, 3, v145
	s_delay_alu instid0(VALU_DEP_1) | instskip(NEXT) | instid1(VALU_DEP_1)
	v_and_b32_e32 v149, 15, v149
	v_cmp_eq_u32_e32 vcc_lo, 0, v149
	v_and_b32_e32 v146, 7, v145
	s_delay_alu instid0(VALU_DEP_1) | instskip(NEXT) | instid1(VALU_DEP_1)
	v_clz_i32_u32_e32 v147, v146
	v_min_u32_e32 v147, 32, v147
	s_delay_alu instid0(VALU_DEP_1) | instskip(SKIP_1) | instid1(VALU_DEP_1)
	v_subrev_nc_u32_e32 v148, 28, v147
	v_sub_nc_u32_e32 v147, 29, v147
	v_dual_cndmask_b32 v147, v149, v147 :: v_dual_lshlrev_b32 v148, v148, v145
	v_lshlrev_b32_e32 v145, 24, v145
	s_delay_alu instid0(VALU_DEP_2) | instskip(NEXT) | instid1(VALU_DEP_3)
	v_and_b32_e32 v148, 7, v148
	v_lshl_add_u32 v147, v147, 23, 0x3b800000
	s_delay_alu instid0(VALU_DEP_2) | instskip(NEXT) | instid1(VALU_DEP_1)
	v_dual_cndmask_b32 v146, v146, v148 :: v_dual_and_b32 v145, 0x80000000, v145
	v_lshlrev_b32_e32 v146, 20, v146
	s_delay_alu instid0(VALU_DEP_1)
	v_or3_b32 v147, v145, v147, v146
.LBB4_5464:                             ;   in Loop: Header=BB4_5448 Depth=2
	s_or_b32 exec_lo, exec_lo, s25
	s_waitcnt vmcnt(15) lgkmcnt(15)
	v_and_b32_e32 v146, 0xff, v23
	s_mov_b32 s7, 0
	s_mov_b32 s26, exec_lo
                                        ; implicit-def: $sgpr25
	s_delay_alu instid0(VALU_DEP_1)
	v_cmpx_lt_i16_e64 0x7f, v146
	s_xor_b32 s26, exec_lo, s26
	s_cbranch_execnz .LBB4_5922
; %bb.5465:                             ;   in Loop: Header=BB4_5448 Depth=2
	s_or_saveexec_b32 s26, s26
	v_mov_b32_e32 v145, s25
	s_xor_b32 exec_lo, exec_lo, s26
	s_cbranch_execnz .LBB4_5925
.LBB4_5466:                             ;   in Loop: Header=BB4_5448 Depth=2
	s_or_b32 exec_lo, exec_lo, s26
	s_and_saveexec_b32 s25, s7
	s_cbranch_execz .LBB4_5468
.LBB4_5467:                             ;   in Loop: Header=BB4_5448 Depth=2
	v_lshrrev_b16 v149, 3, v23
	s_delay_alu instid0(VALU_DEP_1) | instskip(NEXT) | instid1(VALU_DEP_1)
	v_and_b32_e32 v149, 15, v149
	v_cmp_eq_u32_e32 vcc_lo, 0, v149
	v_and_b32_e32 v145, 7, v23
	s_delay_alu instid0(VALU_DEP_1) | instskip(NEXT) | instid1(VALU_DEP_1)
	v_clz_i32_u32_e32 v146, v145
	v_min_u32_e32 v146, 32, v146
	s_delay_alu instid0(VALU_DEP_1) | instskip(SKIP_1) | instid1(VALU_DEP_2)
	v_subrev_nc_u32_e32 v148, 28, v146
	v_sub_nc_u32_e32 v146, 29, v146
	v_lshlrev_b32_e32 v148, v148, v23
	s_delay_alu instid0(VALU_DEP_2) | instskip(NEXT) | instid1(VALU_DEP_2)
	v_dual_cndmask_b32 v146, v149, v146 :: v_dual_lshlrev_b32 v23, 24, v23
	v_and_b32_e32 v148, 7, v148
	s_delay_alu instid0(VALU_DEP_2) | instskip(NEXT) | instid1(VALU_DEP_3)
	v_lshl_add_u32 v146, v146, 23, 0x3b800000
	v_and_b32_e32 v23, 0x80000000, v23
	s_delay_alu instid0(VALU_DEP_3) | instskip(NEXT) | instid1(VALU_DEP_1)
	v_cndmask_b32_e32 v145, v145, v148, vcc_lo
	v_lshlrev_b32_e32 v145, 20, v145
	s_delay_alu instid0(VALU_DEP_1)
	v_or3_b32 v145, v23, v146, v145
.LBB4_5468:                             ;   in Loop: Header=BB4_5448 Depth=2
	s_or_b32 exec_lo, exec_lo, s25
	s_delay_alu instid0(VALU_DEP_1) | instskip(SKIP_1) | instid1(VALU_DEP_1)
	v_max_f32_e32 v23, v145, v145
	v_max_f32_e32 v145, v147, v147
	v_min_f32_e32 v147, v145, v23
.LBB4_5469:                             ;   in Loop: Header=BB4_5448 Depth=2
	s_waitcnt vmcnt(15) lgkmcnt(15)
	s_delay_alu instid0(VALU_DEP_1) | instskip(NEXT) | instid1(VALU_DEP_1)
	v_and_b32_e32 v23, 0x7f800000, v147
	v_cmp_ne_u32_e32 vcc_lo, 0x7f800000, v23
	v_mov_b32_e32 v23, 0x80
	s_and_saveexec_b32 s25, vcc_lo
	s_cbranch_execz .LBB4_5477
; %bb.5470:                             ;   in Loop: Header=BB4_5448 Depth=2
	v_mov_b32_e32 v23, 0
	s_mov_b32 s26, exec_lo
	v_cmpx_ne_u32_e32 0, v147
	s_cbranch_execz .LBB4_5476
; %bb.5471:                             ;   in Loop: Header=BB4_5448 Depth=2
	v_bfe_u32 v23, v147, 23, 8
	s_delay_alu instid0(VALU_DEP_1) | instskip(SKIP_1) | instid1(VALU_DEP_2)
	v_sub_nc_u32_e32 v146, 0x78, v23
	v_cmp_gt_u32_e32 vcc_lo, 0x79, v23
	v_dual_cndmask_b32 v146, 0, v146 :: v_dual_and_b32 v145, 0x7fffff, v147
	s_delay_alu instid0(VALU_DEP_1) | instskip(SKIP_2) | instid1(VALU_DEP_4)
	v_or_b32_e32 v148, 0x800000, v145
	v_cmp_eq_u32_e32 vcc_lo, 0, v23
	v_add_nc_u32_e32 v23, 0xffffff89, v23
	v_cndmask_b32_e64 v146, v146, 0x77, vcc_lo
	s_delay_alu instid0(VALU_DEP_4) | instskip(NEXT) | instid1(VALU_DEP_3)
	v_cndmask_b32_e32 v145, v148, v145, vcc_lo
	v_cndmask_b32_e64 v23, v23, 0xffffff8a, vcc_lo
	s_delay_alu instid0(VALU_DEP_3) | instskip(NEXT) | instid1(VALU_DEP_3)
	v_lshl_add_u32 v148, 0x100000, v146, -1
	v_lshrrev_b32_e32 v149, v146, v145
	v_lshlrev_b32_e64 v151, v146, 0x80000
	s_delay_alu instid0(VALU_DEP_4) | instskip(NEXT) | instid1(VALU_DEP_4)
	v_add_nc_u32_e32 v146, v146, v23
	v_and_b32_e32 v145, v148, v145
	s_delay_alu instid0(VALU_DEP_4) | instskip(NEXT) | instid1(VALU_DEP_2)
	v_bfe_u32 v150, v149, 20, 1
	v_cmp_eq_u32_e64 s7, v145, v151
	s_delay_alu instid0(VALU_DEP_2) | instskip(NEXT) | instid1(VALU_DEP_1)
	v_add_nc_u32_e32 v148, -1, v150
	v_cndmask_b32_e64 v145, 0, v148, s7
	v_lshrrev_b32_e32 v148, 23, v149
	s_mov_b32 s7, exec_lo
	s_delay_alu instid0(VALU_DEP_2) | instskip(NEXT) | instid1(VALU_DEP_2)
	v_add_nc_u32_e32 v145, v145, v149
	v_xor_b32_e32 v148, 1, v148
	s_delay_alu instid0(VALU_DEP_2) | instskip(NEXT) | instid1(VALU_DEP_1)
	v_and_b32_e32 v23, 0xfffff, v145
	v_add_nc_u32_e32 v145, v23, v149
                                        ; implicit-def: $vgpr23
	s_delay_alu instid0(VALU_DEP_3)
	v_cmpx_ne_u32_e64 v146, v148
	s_xor_b32 s7, exec_lo, s7
; %bb.5472:                             ;   in Loop: Header=BB4_5448 Depth=2
	s_delay_alu instid0(VALU_DEP_2) | instskip(SKIP_2) | instid1(VALU_DEP_2)
	v_cmp_lt_u32_e32 vcc_lo, 0xffffff, v145
	v_sub_nc_u32_e32 v23, v146, v148
	v_cndmask_b32_e64 v146, 0, 1, vcc_lo
	v_add_co_ci_u32_e32 v23, vcc_lo, 0, v23, vcc_lo
	s_delay_alu instid0(VALU_DEP_2)
	v_lshrrev_b32_e32 v145, v146, v145
; %bb.5473:                             ;   in Loop: Header=BB4_5448 Depth=2
	s_and_not1_saveexec_b32 s7, s7
; %bb.5474:                             ;   in Loop: Header=BB4_5448 Depth=2
	s_delay_alu instid0(VALU_DEP_1)
	v_bfe_u32 v23, v145, 23, 1
; %bb.5475:                             ;   in Loop: Header=BB4_5448 Depth=2
	s_or_b32 exec_lo, exec_lo, s7
	v_lshrrev_b32_e32 v145, 20, v145
	s_delay_alu instid0(VALU_DEP_2) | instskip(SKIP_2) | instid1(VALU_DEP_2)
	v_cmp_gt_i32_e32 vcc_lo, 16, v23
	v_lshrrev_b32_e32 v146, 24, v147
	v_min_i32_e32 v147, 15, v23
	v_dual_cndmask_b32 v145, 7, v145 :: v_dual_and_b32 v146, 0x80, v146
	s_delay_alu instid0(VALU_DEP_2) | instskip(NEXT) | instid1(VALU_DEP_2)
	v_lshlrev_b32_e32 v147, 3, v147
	v_and_b32_e32 v148, 7, v145
	v_or_b32_e32 v23, v23, v145
	s_delay_alu instid0(VALU_DEP_2) | instskip(NEXT) | instid1(VALU_DEP_2)
	v_or3_b32 v145, v147, v146, v148
	v_cmp_ne_u32_e32 vcc_lo, 0, v23
	s_delay_alu instid0(VALU_DEP_2)
	v_cndmask_b32_e32 v23, 0, v145, vcc_lo
.LBB4_5476:                             ;   in Loop: Header=BB4_5448 Depth=2
	s_or_b32 exec_lo, exec_lo, s26
.LBB4_5477:                             ;   in Loop: Header=BB4_5448 Depth=2
	s_delay_alu instid0(SALU_CYCLE_1) | instskip(SKIP_2) | instid1(VALU_DEP_1)
	s_or_b32 exec_lo, exec_lo, s25
	v_and_b32_e32 v145, 0xff, v144
	s_and_not1_b32 vcc_lo, exec_lo, s23
	v_cmp_lt_i16_e64 s7, 0x7f, v145
	s_cbranch_vccnz .LBB4_5487
; %bb.5478:                             ;   in Loop: Header=BB4_5448 Depth=2
	s_mov_b32 s25, 0
                                        ; implicit-def: $sgpr26
	s_delay_alu instid0(VALU_DEP_1) | instskip(NEXT) | instid1(SALU_CYCLE_1)
	s_and_saveexec_b32 s27, s7
	s_xor_b32 s7, exec_lo, s27
	s_cbranch_execnz .LBB4_5926
; %bb.5479:                             ;   in Loop: Header=BB4_5448 Depth=2
	s_or_saveexec_b32 s7, s7
	v_mov_b32_e32 v146, s26
	s_xor_b32 exec_lo, exec_lo, s7
	s_cbranch_execnz .LBB4_5929
.LBB4_5480:                             ;   in Loop: Header=BB4_5448 Depth=2
	s_or_b32 exec_lo, exec_lo, s7
	s_and_saveexec_b32 s7, s25
	s_cbranch_execz .LBB4_5482
.LBB4_5481:                             ;   in Loop: Header=BB4_5448 Depth=2
	v_lshrrev_b16 v149, 3, v144
	v_lshlrev_b32_e32 v150, 24, v144
	s_delay_alu instid0(VALU_DEP_2) | instskip(NEXT) | instid1(VALU_DEP_1)
	v_and_b32_e32 v149, 15, v149
	v_cmp_eq_u32_e32 vcc_lo, 0, v149
	v_and_b32_e32 v146, 7, v144
	s_delay_alu instid0(VALU_DEP_1) | instskip(NEXT) | instid1(VALU_DEP_1)
	v_clz_i32_u32_e32 v147, v146
	v_min_u32_e32 v147, 32, v147
	s_delay_alu instid0(VALU_DEP_1) | instskip(SKIP_1) | instid1(VALU_DEP_1)
	v_subrev_nc_u32_e32 v148, 28, v147
	v_sub_nc_u32_e32 v147, 29, v147
	v_dual_cndmask_b32 v147, v149, v147 :: v_dual_lshlrev_b32 v148, v148, v144
	s_delay_alu instid0(VALU_DEP_1) | instskip(NEXT) | instid1(VALU_DEP_2)
	v_and_b32_e32 v148, 7, v148
	v_lshl_add_u32 v147, v147, 23, 0x3b800000
	s_delay_alu instid0(VALU_DEP_2) | instskip(SKIP_1) | instid1(VALU_DEP_2)
	v_cndmask_b32_e32 v146, v146, v148, vcc_lo
	v_and_b32_e32 v148, 0x80000000, v150
	v_lshlrev_b32_e32 v146, 20, v146
	s_delay_alu instid0(VALU_DEP_1)
	v_or3_b32 v146, v148, v147, v146
.LBB4_5482:                             ;   in Loop: Header=BB4_5448 Depth=2
	s_or_b32 exec_lo, exec_lo, s7
	s_waitcnt vmcnt(14) lgkmcnt(14)
	v_and_b32_e32 v148, 0xff, v64
	s_mov_b32 s7, 0
	s_mov_b32 s26, exec_lo
                                        ; implicit-def: $sgpr25
	s_delay_alu instid0(VALU_DEP_1)
	v_cmpx_lt_i16_e64 0x7f, v148
	s_xor_b32 s26, exec_lo, s26
	s_cbranch_execnz .LBB4_5930
; %bb.5483:                             ;   in Loop: Header=BB4_5448 Depth=2
	s_or_saveexec_b32 s26, s26
	v_mov_b32_e32 v147, s25
	s_xor_b32 exec_lo, exec_lo, s26
	s_cbranch_execnz .LBB4_5933
.LBB4_5484:                             ;   in Loop: Header=BB4_5448 Depth=2
	s_or_b32 exec_lo, exec_lo, s26
	s_and_saveexec_b32 s25, s7
	s_cbranch_execz .LBB4_5486
.LBB4_5485:                             ;   in Loop: Header=BB4_5448 Depth=2
	v_and_b32_e32 v147, 7, v64
	v_lshrrev_b16 v150, 3, v64
	v_lshlrev_b32_e32 v151, 24, v64
	s_delay_alu instid0(VALU_DEP_3) | instskip(NEXT) | instid1(VALU_DEP_1)
	v_clz_i32_u32_e32 v148, v147
	v_min_u32_e32 v148, 32, v148
	s_delay_alu instid0(VALU_DEP_1) | instskip(SKIP_1) | instid1(VALU_DEP_2)
	v_subrev_nc_u32_e32 v149, 28, v148
	v_sub_nc_u32_e32 v148, 29, v148
	v_lshlrev_b32_e32 v149, v149, v64
	s_delay_alu instid0(VALU_DEP_1) | instskip(SKIP_1) | instid1(VALU_DEP_1)
	v_and_b32_e32 v149, 7, v149
	v_and_b32_e32 v150, 15, v150
	v_cmp_eq_u32_e32 vcc_lo, 0, v150
	s_delay_alu instid0(VALU_DEP_3) | instskip(SKIP_1) | instid1(VALU_DEP_2)
	v_dual_cndmask_b32 v147, v147, v149 :: v_dual_cndmask_b32 v148, v150, v148
	v_and_b32_e32 v149, 0x80000000, v151
	v_lshlrev_b32_e32 v147, 20, v147
	s_delay_alu instid0(VALU_DEP_3) | instskip(NEXT) | instid1(VALU_DEP_1)
	v_lshl_add_u32 v148, v148, 23, 0x3b800000
	v_or3_b32 v147, v149, v148, v147
.LBB4_5486:                             ;   in Loop: Header=BB4_5448 Depth=2
	s_or_b32 exec_lo, exec_lo, s25
	s_delay_alu instid0(VALU_DEP_1) | instskip(SKIP_1) | instid1(VALU_DEP_1)
	v_dual_max_f32 v147, v147, v147 :: v_dual_max_f32 v146, v146, v146
	s_mov_b32 s7, 0
	v_max_f32_e32 v146, v146, v147
	s_branch .LBB4_5488
.LBB4_5487:                             ;   in Loop: Header=BB4_5448 Depth=2
	s_mov_b32 s7, -1
                                        ; implicit-def: $vgpr146
.LBB4_5488:                             ;   in Loop: Header=BB4_5448 Depth=2
	s_delay_alu instid0(SALU_CYCLE_1)
	s_and_b32 vcc_lo, exec_lo, s7
	s_cbranch_vccz .LBB4_5498
; %bb.5489:                             ;   in Loop: Header=BB4_5448 Depth=2
	s_mov_b32 s7, 0
	s_mov_b32 s26, exec_lo
                                        ; implicit-def: $sgpr25
	v_cmpx_lt_i16_e64 0x7f, v145
	s_xor_b32 s26, exec_lo, s26
	s_cbranch_execnz .LBB4_5934
; %bb.5490:                             ;   in Loop: Header=BB4_5448 Depth=2
	s_or_saveexec_b32 s26, s26
	v_mov_b32_e32 v146, s25
	s_xor_b32 exec_lo, exec_lo, s26
	s_cbranch_execnz .LBB4_5937
.LBB4_5491:                             ;   in Loop: Header=BB4_5448 Depth=2
	s_or_b32 exec_lo, exec_lo, s26
	s_and_saveexec_b32 s25, s7
	s_cbranch_execz .LBB4_5493
.LBB4_5492:                             ;   in Loop: Header=BB4_5448 Depth=2
	v_lshrrev_b16 v148, 3, v144
	s_delay_alu instid0(VALU_DEP_1) | instskip(NEXT) | instid1(VALU_DEP_1)
	v_and_b32_e32 v148, 15, v148
	v_cmp_eq_u32_e32 vcc_lo, 0, v148
	v_and_b32_e32 v145, 7, v144
	s_delay_alu instid0(VALU_DEP_1) | instskip(NEXT) | instid1(VALU_DEP_1)
	v_clz_i32_u32_e32 v146, v145
	v_min_u32_e32 v146, 32, v146
	s_delay_alu instid0(VALU_DEP_1) | instskip(SKIP_1) | instid1(VALU_DEP_1)
	v_subrev_nc_u32_e32 v147, 28, v146
	v_sub_nc_u32_e32 v146, 29, v146
	v_dual_cndmask_b32 v146, v148, v146 :: v_dual_lshlrev_b32 v147, v147, v144
	v_lshlrev_b32_e32 v144, 24, v144
	s_delay_alu instid0(VALU_DEP_2) | instskip(NEXT) | instid1(VALU_DEP_3)
	v_and_b32_e32 v147, 7, v147
	v_lshl_add_u32 v146, v146, 23, 0x3b800000
	s_delay_alu instid0(VALU_DEP_2) | instskip(NEXT) | instid1(VALU_DEP_1)
	v_dual_cndmask_b32 v145, v145, v147 :: v_dual_and_b32 v144, 0x80000000, v144
	v_lshlrev_b32_e32 v145, 20, v145
	s_delay_alu instid0(VALU_DEP_1)
	v_or3_b32 v146, v144, v146, v145
.LBB4_5493:                             ;   in Loop: Header=BB4_5448 Depth=2
	s_or_b32 exec_lo, exec_lo, s25
	s_waitcnt vmcnt(14) lgkmcnt(14)
	v_and_b32_e32 v145, 0xff, v64
	s_mov_b32 s7, 0
	s_mov_b32 s26, exec_lo
                                        ; implicit-def: $sgpr25
	s_delay_alu instid0(VALU_DEP_1)
	v_cmpx_lt_i16_e64 0x7f, v145
	s_xor_b32 s26, exec_lo, s26
	s_cbranch_execnz .LBB4_5938
; %bb.5494:                             ;   in Loop: Header=BB4_5448 Depth=2
	s_or_saveexec_b32 s26, s26
	v_mov_b32_e32 v144, s25
	s_xor_b32 exec_lo, exec_lo, s26
	s_cbranch_execnz .LBB4_5941
.LBB4_5495:                             ;   in Loop: Header=BB4_5448 Depth=2
	s_or_b32 exec_lo, exec_lo, s26
	s_and_saveexec_b32 s25, s7
	s_cbranch_execz .LBB4_5497
.LBB4_5496:                             ;   in Loop: Header=BB4_5448 Depth=2
	v_lshrrev_b16 v148, 3, v64
	s_delay_alu instid0(VALU_DEP_1) | instskip(NEXT) | instid1(VALU_DEP_1)
	v_and_b32_e32 v148, 15, v148
	v_cmp_eq_u32_e32 vcc_lo, 0, v148
	v_and_b32_e32 v144, 7, v64
	s_delay_alu instid0(VALU_DEP_1) | instskip(NEXT) | instid1(VALU_DEP_1)
	v_clz_i32_u32_e32 v145, v144
	v_min_u32_e32 v145, 32, v145
	s_delay_alu instid0(VALU_DEP_1) | instskip(SKIP_1) | instid1(VALU_DEP_2)
	v_subrev_nc_u32_e32 v147, 28, v145
	v_sub_nc_u32_e32 v145, 29, v145
	v_lshlrev_b32_e32 v147, v147, v64
	s_delay_alu instid0(VALU_DEP_2) | instskip(NEXT) | instid1(VALU_DEP_2)
	v_dual_cndmask_b32 v145, v148, v145 :: v_dual_lshlrev_b32 v64, 24, v64
	v_and_b32_e32 v147, 7, v147
	s_delay_alu instid0(VALU_DEP_2) | instskip(NEXT) | instid1(VALU_DEP_3)
	v_lshl_add_u32 v145, v145, 23, 0x3b800000
	v_and_b32_e32 v64, 0x80000000, v64
	s_delay_alu instid0(VALU_DEP_3) | instskip(NEXT) | instid1(VALU_DEP_1)
	v_cndmask_b32_e32 v144, v144, v147, vcc_lo
	v_lshlrev_b32_e32 v144, 20, v144
	s_delay_alu instid0(VALU_DEP_1)
	v_or3_b32 v144, v64, v145, v144
.LBB4_5497:                             ;   in Loop: Header=BB4_5448 Depth=2
	s_or_b32 exec_lo, exec_lo, s25
	s_delay_alu instid0(VALU_DEP_1) | instskip(SKIP_1) | instid1(VALU_DEP_1)
	v_max_f32_e32 v64, v144, v144
	v_max_f32_e32 v144, v146, v146
	v_min_f32_e32 v146, v144, v64
.LBB4_5498:                             ;   in Loop: Header=BB4_5448 Depth=2
	s_waitcnt vmcnt(14) lgkmcnt(14)
	s_delay_alu instid0(VALU_DEP_1) | instskip(NEXT) | instid1(VALU_DEP_1)
	v_and_b32_e32 v64, 0x7f800000, v146
	v_cmp_ne_u32_e32 vcc_lo, 0x7f800000, v64
	v_mov_b32_e32 v64, 0x80
	s_and_saveexec_b32 s25, vcc_lo
	s_cbranch_execz .LBB4_5506
; %bb.5499:                             ;   in Loop: Header=BB4_5448 Depth=2
	v_mov_b32_e32 v64, 0
	s_mov_b32 s26, exec_lo
	v_cmpx_ne_u32_e32 0, v146
	s_cbranch_execz .LBB4_5505
; %bb.5500:                             ;   in Loop: Header=BB4_5448 Depth=2
	v_bfe_u32 v64, v146, 23, 8
	s_delay_alu instid0(VALU_DEP_1) | instskip(SKIP_1) | instid1(VALU_DEP_2)
	v_sub_nc_u32_e32 v145, 0x78, v64
	v_cmp_gt_u32_e32 vcc_lo, 0x79, v64
	v_dual_cndmask_b32 v145, 0, v145 :: v_dual_and_b32 v144, 0x7fffff, v146
	s_delay_alu instid0(VALU_DEP_1) | instskip(SKIP_2) | instid1(VALU_DEP_4)
	v_or_b32_e32 v147, 0x800000, v144
	v_cmp_eq_u32_e32 vcc_lo, 0, v64
	v_add_nc_u32_e32 v64, 0xffffff89, v64
	v_cndmask_b32_e64 v145, v145, 0x77, vcc_lo
	s_delay_alu instid0(VALU_DEP_4) | instskip(NEXT) | instid1(VALU_DEP_3)
	v_cndmask_b32_e32 v144, v147, v144, vcc_lo
	v_cndmask_b32_e64 v64, v64, 0xffffff8a, vcc_lo
	s_delay_alu instid0(VALU_DEP_3) | instskip(NEXT) | instid1(VALU_DEP_3)
	v_lshl_add_u32 v147, 0x100000, v145, -1
	v_lshrrev_b32_e32 v148, v145, v144
	v_lshlrev_b32_e64 v150, v145, 0x80000
	s_delay_alu instid0(VALU_DEP_4) | instskip(NEXT) | instid1(VALU_DEP_4)
	v_add_nc_u32_e32 v145, v145, v64
	v_and_b32_e32 v144, v147, v144
	s_delay_alu instid0(VALU_DEP_4) | instskip(NEXT) | instid1(VALU_DEP_2)
	v_bfe_u32 v149, v148, 20, 1
	v_cmp_eq_u32_e64 s7, v144, v150
	s_delay_alu instid0(VALU_DEP_2) | instskip(NEXT) | instid1(VALU_DEP_1)
	v_add_nc_u32_e32 v147, -1, v149
	v_cndmask_b32_e64 v144, 0, v147, s7
	v_lshrrev_b32_e32 v147, 23, v148
	s_mov_b32 s7, exec_lo
	s_delay_alu instid0(VALU_DEP_2) | instskip(NEXT) | instid1(VALU_DEP_2)
	v_add_nc_u32_e32 v144, v144, v148
	v_xor_b32_e32 v147, 1, v147
	s_delay_alu instid0(VALU_DEP_2) | instskip(NEXT) | instid1(VALU_DEP_1)
	v_and_b32_e32 v64, 0xfffff, v144
	v_add_nc_u32_e32 v144, v64, v148
                                        ; implicit-def: $vgpr64
	s_delay_alu instid0(VALU_DEP_3)
	v_cmpx_ne_u32_e64 v145, v147
	s_xor_b32 s7, exec_lo, s7
; %bb.5501:                             ;   in Loop: Header=BB4_5448 Depth=2
	s_delay_alu instid0(VALU_DEP_2) | instskip(SKIP_2) | instid1(VALU_DEP_2)
	v_cmp_lt_u32_e32 vcc_lo, 0xffffff, v144
	v_sub_nc_u32_e32 v64, v145, v147
	v_cndmask_b32_e64 v145, 0, 1, vcc_lo
	v_add_co_ci_u32_e32 v64, vcc_lo, 0, v64, vcc_lo
	s_delay_alu instid0(VALU_DEP_2)
	v_lshrrev_b32_e32 v144, v145, v144
; %bb.5502:                             ;   in Loop: Header=BB4_5448 Depth=2
	s_and_not1_saveexec_b32 s7, s7
; %bb.5503:                             ;   in Loop: Header=BB4_5448 Depth=2
	s_delay_alu instid0(VALU_DEP_1)
	v_bfe_u32 v64, v144, 23, 1
; %bb.5504:                             ;   in Loop: Header=BB4_5448 Depth=2
	s_or_b32 exec_lo, exec_lo, s7
	v_lshrrev_b32_e32 v144, 20, v144
	s_delay_alu instid0(VALU_DEP_2) | instskip(SKIP_2) | instid1(VALU_DEP_2)
	v_cmp_gt_i32_e32 vcc_lo, 16, v64
	v_lshrrev_b32_e32 v145, 24, v146
	v_min_i32_e32 v146, 15, v64
	v_dual_cndmask_b32 v144, 7, v144 :: v_dual_and_b32 v145, 0x80, v145
	s_delay_alu instid0(VALU_DEP_2) | instskip(NEXT) | instid1(VALU_DEP_2)
	v_lshlrev_b32_e32 v146, 3, v146
	v_and_b32_e32 v147, 7, v144
	v_or_b32_e32 v64, v64, v144
	s_delay_alu instid0(VALU_DEP_2) | instskip(NEXT) | instid1(VALU_DEP_2)
	v_or3_b32 v144, v146, v145, v147
	v_cmp_ne_u32_e32 vcc_lo, 0, v64
	s_delay_alu instid0(VALU_DEP_2)
	v_cndmask_b32_e32 v64, 0, v144, vcc_lo
.LBB4_5505:                             ;   in Loop: Header=BB4_5448 Depth=2
	s_or_b32 exec_lo, exec_lo, s26
.LBB4_5506:                             ;   in Loop: Header=BB4_5448 Depth=2
	s_delay_alu instid0(SALU_CYCLE_1) | instskip(SKIP_2) | instid1(VALU_DEP_1)
	s_or_b32 exec_lo, exec_lo, s25
	v_and_b32_e32 v144, 0xff, v135
	s_and_not1_b32 vcc_lo, exec_lo, s23
	v_cmp_lt_i16_e64 s7, 0x7f, v144
	s_cbranch_vccnz .LBB4_5516
; %bb.5507:                             ;   in Loop: Header=BB4_5448 Depth=2
	s_mov_b32 s25, 0
                                        ; implicit-def: $sgpr26
	s_delay_alu instid0(VALU_DEP_1) | instskip(NEXT) | instid1(SALU_CYCLE_1)
	s_and_saveexec_b32 s27, s7
	s_xor_b32 s7, exec_lo, s27
	s_cbranch_execnz .LBB4_5942
; %bb.5508:                             ;   in Loop: Header=BB4_5448 Depth=2
	s_or_saveexec_b32 s7, s7
	v_mov_b32_e32 v145, s26
	s_xor_b32 exec_lo, exec_lo, s7
	s_cbranch_execnz .LBB4_5945
.LBB4_5509:                             ;   in Loop: Header=BB4_5448 Depth=2
	s_or_b32 exec_lo, exec_lo, s7
	s_and_saveexec_b32 s7, s25
	s_cbranch_execz .LBB4_5511
.LBB4_5510:                             ;   in Loop: Header=BB4_5448 Depth=2
	v_lshrrev_b16 v148, 3, v135
	v_lshlrev_b32_e32 v149, 24, v135
	s_delay_alu instid0(VALU_DEP_2) | instskip(NEXT) | instid1(VALU_DEP_1)
	v_and_b32_e32 v148, 15, v148
	v_cmp_eq_u32_e32 vcc_lo, 0, v148
	v_and_b32_e32 v145, 7, v135
	s_delay_alu instid0(VALU_DEP_1) | instskip(NEXT) | instid1(VALU_DEP_1)
	v_clz_i32_u32_e32 v146, v145
	v_min_u32_e32 v146, 32, v146
	s_delay_alu instid0(VALU_DEP_1) | instskip(SKIP_1) | instid1(VALU_DEP_1)
	v_subrev_nc_u32_e32 v147, 28, v146
	v_sub_nc_u32_e32 v146, 29, v146
	v_dual_cndmask_b32 v146, v148, v146 :: v_dual_lshlrev_b32 v147, v147, v135
	s_delay_alu instid0(VALU_DEP_1) | instskip(NEXT) | instid1(VALU_DEP_2)
	v_and_b32_e32 v147, 7, v147
	v_lshl_add_u32 v146, v146, 23, 0x3b800000
	s_delay_alu instid0(VALU_DEP_2) | instskip(SKIP_1) | instid1(VALU_DEP_2)
	v_cndmask_b32_e32 v145, v145, v147, vcc_lo
	v_and_b32_e32 v147, 0x80000000, v149
	v_lshlrev_b32_e32 v145, 20, v145
	s_delay_alu instid0(VALU_DEP_1)
	v_or3_b32 v145, v147, v146, v145
.LBB4_5511:                             ;   in Loop: Header=BB4_5448 Depth=2
	s_or_b32 exec_lo, exec_lo, s7
	s_waitcnt vmcnt(13) lgkmcnt(13)
	v_and_b32_e32 v147, 0xff, v67
	s_mov_b32 s7, 0
	s_mov_b32 s26, exec_lo
                                        ; implicit-def: $sgpr25
	s_delay_alu instid0(VALU_DEP_1)
	v_cmpx_lt_i16_e64 0x7f, v147
	s_xor_b32 s26, exec_lo, s26
	s_cbranch_execnz .LBB4_5946
; %bb.5512:                             ;   in Loop: Header=BB4_5448 Depth=2
	s_or_saveexec_b32 s26, s26
	v_mov_b32_e32 v146, s25
	s_xor_b32 exec_lo, exec_lo, s26
	s_cbranch_execnz .LBB4_5949
.LBB4_5513:                             ;   in Loop: Header=BB4_5448 Depth=2
	s_or_b32 exec_lo, exec_lo, s26
	s_and_saveexec_b32 s25, s7
	s_cbranch_execz .LBB4_5515
.LBB4_5514:                             ;   in Loop: Header=BB4_5448 Depth=2
	v_and_b32_e32 v146, 7, v67
	v_lshrrev_b16 v149, 3, v67
	v_lshlrev_b32_e32 v150, 24, v67
	s_delay_alu instid0(VALU_DEP_3) | instskip(NEXT) | instid1(VALU_DEP_1)
	v_clz_i32_u32_e32 v147, v146
	v_min_u32_e32 v147, 32, v147
	s_delay_alu instid0(VALU_DEP_1) | instskip(SKIP_1) | instid1(VALU_DEP_2)
	v_subrev_nc_u32_e32 v148, 28, v147
	v_sub_nc_u32_e32 v147, 29, v147
	v_lshlrev_b32_e32 v148, v148, v67
	s_delay_alu instid0(VALU_DEP_1) | instskip(SKIP_1) | instid1(VALU_DEP_1)
	v_and_b32_e32 v148, 7, v148
	v_and_b32_e32 v149, 15, v149
	v_cmp_eq_u32_e32 vcc_lo, 0, v149
	s_delay_alu instid0(VALU_DEP_3) | instskip(SKIP_1) | instid1(VALU_DEP_2)
	v_dual_cndmask_b32 v146, v146, v148 :: v_dual_cndmask_b32 v147, v149, v147
	v_and_b32_e32 v148, 0x80000000, v150
	v_lshlrev_b32_e32 v146, 20, v146
	s_delay_alu instid0(VALU_DEP_3) | instskip(NEXT) | instid1(VALU_DEP_1)
	v_lshl_add_u32 v147, v147, 23, 0x3b800000
	v_or3_b32 v146, v148, v147, v146
.LBB4_5515:                             ;   in Loop: Header=BB4_5448 Depth=2
	s_or_b32 exec_lo, exec_lo, s25
	s_delay_alu instid0(VALU_DEP_1) | instskip(SKIP_1) | instid1(VALU_DEP_1)
	v_dual_max_f32 v146, v146, v146 :: v_dual_max_f32 v145, v145, v145
	s_mov_b32 s7, 0
	v_max_f32_e32 v145, v145, v146
	s_branch .LBB4_5517
.LBB4_5516:                             ;   in Loop: Header=BB4_5448 Depth=2
	s_mov_b32 s7, -1
                                        ; implicit-def: $vgpr145
.LBB4_5517:                             ;   in Loop: Header=BB4_5448 Depth=2
	s_delay_alu instid0(SALU_CYCLE_1)
	s_and_b32 vcc_lo, exec_lo, s7
	s_cbranch_vccz .LBB4_5527
; %bb.5518:                             ;   in Loop: Header=BB4_5448 Depth=2
	s_mov_b32 s7, 0
	s_mov_b32 s26, exec_lo
                                        ; implicit-def: $sgpr25
	v_cmpx_lt_i16_e64 0x7f, v144
	s_xor_b32 s26, exec_lo, s26
	s_cbranch_execnz .LBB4_5950
; %bb.5519:                             ;   in Loop: Header=BB4_5448 Depth=2
	s_or_saveexec_b32 s26, s26
	v_mov_b32_e32 v145, s25
	s_xor_b32 exec_lo, exec_lo, s26
	s_cbranch_execnz .LBB4_5953
.LBB4_5520:                             ;   in Loop: Header=BB4_5448 Depth=2
	s_or_b32 exec_lo, exec_lo, s26
	s_and_saveexec_b32 s25, s7
	s_cbranch_execz .LBB4_5522
.LBB4_5521:                             ;   in Loop: Header=BB4_5448 Depth=2
	v_lshrrev_b16 v147, 3, v135
	s_delay_alu instid0(VALU_DEP_1) | instskip(NEXT) | instid1(VALU_DEP_1)
	v_and_b32_e32 v147, 15, v147
	v_cmp_eq_u32_e32 vcc_lo, 0, v147
	v_and_b32_e32 v144, 7, v135
	s_delay_alu instid0(VALU_DEP_1) | instskip(NEXT) | instid1(VALU_DEP_1)
	v_clz_i32_u32_e32 v145, v144
	v_min_u32_e32 v145, 32, v145
	s_delay_alu instid0(VALU_DEP_1) | instskip(SKIP_1) | instid1(VALU_DEP_1)
	v_subrev_nc_u32_e32 v146, 28, v145
	v_sub_nc_u32_e32 v145, 29, v145
	v_dual_cndmask_b32 v145, v147, v145 :: v_dual_lshlrev_b32 v146, v146, v135
	v_lshlrev_b32_e32 v135, 24, v135
	s_delay_alu instid0(VALU_DEP_2) | instskip(NEXT) | instid1(VALU_DEP_3)
	v_and_b32_e32 v146, 7, v146
	v_lshl_add_u32 v145, v145, 23, 0x3b800000
	s_delay_alu instid0(VALU_DEP_2) | instskip(NEXT) | instid1(VALU_DEP_1)
	v_dual_cndmask_b32 v144, v144, v146 :: v_dual_and_b32 v135, 0x80000000, v135
	v_lshlrev_b32_e32 v144, 20, v144
	s_delay_alu instid0(VALU_DEP_1)
	v_or3_b32 v145, v135, v145, v144
.LBB4_5522:                             ;   in Loop: Header=BB4_5448 Depth=2
	s_or_b32 exec_lo, exec_lo, s25
	s_waitcnt vmcnt(13) lgkmcnt(13)
	v_and_b32_e32 v144, 0xff, v67
	s_mov_b32 s7, 0
	s_mov_b32 s26, exec_lo
                                        ; implicit-def: $sgpr25
	s_delay_alu instid0(VALU_DEP_1)
	v_cmpx_lt_i16_e64 0x7f, v144
	s_xor_b32 s26, exec_lo, s26
	s_cbranch_execnz .LBB4_5954
; %bb.5523:                             ;   in Loop: Header=BB4_5448 Depth=2
	s_or_saveexec_b32 s26, s26
	v_mov_b32_e32 v135, s25
	s_xor_b32 exec_lo, exec_lo, s26
	s_cbranch_execnz .LBB4_5957
.LBB4_5524:                             ;   in Loop: Header=BB4_5448 Depth=2
	s_or_b32 exec_lo, exec_lo, s26
	s_and_saveexec_b32 s25, s7
	s_cbranch_execz .LBB4_5526
.LBB4_5525:                             ;   in Loop: Header=BB4_5448 Depth=2
	v_lshrrev_b16 v147, 3, v67
	s_delay_alu instid0(VALU_DEP_1) | instskip(NEXT) | instid1(VALU_DEP_1)
	v_and_b32_e32 v147, 15, v147
	v_cmp_eq_u32_e32 vcc_lo, 0, v147
	v_and_b32_e32 v135, 7, v67
	s_delay_alu instid0(VALU_DEP_1) | instskip(NEXT) | instid1(VALU_DEP_1)
	v_clz_i32_u32_e32 v144, v135
	v_min_u32_e32 v144, 32, v144
	s_delay_alu instid0(VALU_DEP_1) | instskip(SKIP_1) | instid1(VALU_DEP_2)
	v_subrev_nc_u32_e32 v146, 28, v144
	v_sub_nc_u32_e32 v144, 29, v144
	v_lshlrev_b32_e32 v146, v146, v67
	s_delay_alu instid0(VALU_DEP_2) | instskip(NEXT) | instid1(VALU_DEP_2)
	v_dual_cndmask_b32 v144, v147, v144 :: v_dual_lshlrev_b32 v67, 24, v67
	v_and_b32_e32 v146, 7, v146
	s_delay_alu instid0(VALU_DEP_2) | instskip(NEXT) | instid1(VALU_DEP_3)
	v_lshl_add_u32 v144, v144, 23, 0x3b800000
	v_and_b32_e32 v67, 0x80000000, v67
	s_delay_alu instid0(VALU_DEP_3) | instskip(NEXT) | instid1(VALU_DEP_1)
	v_cndmask_b32_e32 v135, v135, v146, vcc_lo
	v_lshlrev_b32_e32 v135, 20, v135
	s_delay_alu instid0(VALU_DEP_1)
	v_or3_b32 v135, v67, v144, v135
.LBB4_5526:                             ;   in Loop: Header=BB4_5448 Depth=2
	s_or_b32 exec_lo, exec_lo, s25
	s_delay_alu instid0(VALU_DEP_1) | instskip(SKIP_1) | instid1(VALU_DEP_1)
	v_max_f32_e32 v67, v135, v135
	v_max_f32_e32 v135, v145, v145
	v_min_f32_e32 v145, v135, v67
.LBB4_5527:                             ;   in Loop: Header=BB4_5448 Depth=2
	s_waitcnt vmcnt(13) lgkmcnt(13)
	s_delay_alu instid0(VALU_DEP_1) | instskip(NEXT) | instid1(VALU_DEP_1)
	v_and_b32_e32 v67, 0x7f800000, v145
	v_cmp_ne_u32_e32 vcc_lo, 0x7f800000, v67
	v_mov_b32_e32 v67, 0x80
	s_and_saveexec_b32 s25, vcc_lo
	s_cbranch_execz .LBB4_5535
; %bb.5528:                             ;   in Loop: Header=BB4_5448 Depth=2
	v_mov_b32_e32 v67, 0
	s_mov_b32 s26, exec_lo
	v_cmpx_ne_u32_e32 0, v145
	s_cbranch_execz .LBB4_5534
; %bb.5529:                             ;   in Loop: Header=BB4_5448 Depth=2
	v_bfe_u32 v67, v145, 23, 8
	s_delay_alu instid0(VALU_DEP_1) | instskip(SKIP_1) | instid1(VALU_DEP_2)
	v_sub_nc_u32_e32 v144, 0x78, v67
	v_cmp_gt_u32_e32 vcc_lo, 0x79, v67
	v_dual_cndmask_b32 v144, 0, v144 :: v_dual_and_b32 v135, 0x7fffff, v145
	s_delay_alu instid0(VALU_DEP_1) | instskip(SKIP_2) | instid1(VALU_DEP_4)
	v_or_b32_e32 v146, 0x800000, v135
	v_cmp_eq_u32_e32 vcc_lo, 0, v67
	v_add_nc_u32_e32 v67, 0xffffff89, v67
	v_cndmask_b32_e64 v144, v144, 0x77, vcc_lo
	s_delay_alu instid0(VALU_DEP_4) | instskip(NEXT) | instid1(VALU_DEP_3)
	v_cndmask_b32_e32 v135, v146, v135, vcc_lo
	v_cndmask_b32_e64 v67, v67, 0xffffff8a, vcc_lo
	s_delay_alu instid0(VALU_DEP_3) | instskip(NEXT) | instid1(VALU_DEP_3)
	v_lshl_add_u32 v146, 0x100000, v144, -1
	v_lshrrev_b32_e32 v147, v144, v135
	v_lshlrev_b32_e64 v149, v144, 0x80000
	s_delay_alu instid0(VALU_DEP_4) | instskip(NEXT) | instid1(VALU_DEP_4)
	v_add_nc_u32_e32 v144, v144, v67
	v_and_b32_e32 v135, v146, v135
	s_delay_alu instid0(VALU_DEP_4) | instskip(NEXT) | instid1(VALU_DEP_2)
	v_bfe_u32 v148, v147, 20, 1
	v_cmp_eq_u32_e64 s7, v135, v149
	s_delay_alu instid0(VALU_DEP_2) | instskip(NEXT) | instid1(VALU_DEP_1)
	v_add_nc_u32_e32 v146, -1, v148
	v_cndmask_b32_e64 v135, 0, v146, s7
	v_lshrrev_b32_e32 v146, 23, v147
	s_mov_b32 s7, exec_lo
	s_delay_alu instid0(VALU_DEP_2) | instskip(NEXT) | instid1(VALU_DEP_2)
	v_add_nc_u32_e32 v135, v135, v147
	v_xor_b32_e32 v146, 1, v146
	s_delay_alu instid0(VALU_DEP_2) | instskip(NEXT) | instid1(VALU_DEP_1)
	v_and_b32_e32 v67, 0xfffff, v135
	v_add_nc_u32_e32 v135, v67, v147
                                        ; implicit-def: $vgpr67
	s_delay_alu instid0(VALU_DEP_3)
	v_cmpx_ne_u32_e64 v144, v146
	s_xor_b32 s7, exec_lo, s7
; %bb.5530:                             ;   in Loop: Header=BB4_5448 Depth=2
	s_delay_alu instid0(VALU_DEP_2) | instskip(SKIP_2) | instid1(VALU_DEP_2)
	v_cmp_lt_u32_e32 vcc_lo, 0xffffff, v135
	v_sub_nc_u32_e32 v67, v144, v146
	v_cndmask_b32_e64 v144, 0, 1, vcc_lo
	v_add_co_ci_u32_e32 v67, vcc_lo, 0, v67, vcc_lo
	s_delay_alu instid0(VALU_DEP_2)
	v_lshrrev_b32_e32 v135, v144, v135
; %bb.5531:                             ;   in Loop: Header=BB4_5448 Depth=2
	s_and_not1_saveexec_b32 s7, s7
; %bb.5532:                             ;   in Loop: Header=BB4_5448 Depth=2
	s_delay_alu instid0(VALU_DEP_1)
	v_bfe_u32 v67, v135, 23, 1
; %bb.5533:                             ;   in Loop: Header=BB4_5448 Depth=2
	s_or_b32 exec_lo, exec_lo, s7
	v_lshrrev_b32_e32 v135, 20, v135
	s_delay_alu instid0(VALU_DEP_2) | instskip(SKIP_2) | instid1(VALU_DEP_2)
	v_cmp_gt_i32_e32 vcc_lo, 16, v67
	v_lshrrev_b32_e32 v144, 24, v145
	v_min_i32_e32 v145, 15, v67
	v_dual_cndmask_b32 v135, 7, v135 :: v_dual_and_b32 v144, 0x80, v144
	s_delay_alu instid0(VALU_DEP_2) | instskip(NEXT) | instid1(VALU_DEP_2)
	v_lshlrev_b32_e32 v145, 3, v145
	v_and_b32_e32 v146, 7, v135
	v_or_b32_e32 v67, v67, v135
	s_delay_alu instid0(VALU_DEP_2) | instskip(NEXT) | instid1(VALU_DEP_2)
	v_or3_b32 v135, v145, v144, v146
	v_cmp_ne_u32_e32 vcc_lo, 0, v67
	s_delay_alu instid0(VALU_DEP_2)
	v_cndmask_b32_e32 v67, 0, v135, vcc_lo
.LBB4_5534:                             ;   in Loop: Header=BB4_5448 Depth=2
	s_or_b32 exec_lo, exec_lo, s26
.LBB4_5535:                             ;   in Loop: Header=BB4_5448 Depth=2
	s_delay_alu instid0(SALU_CYCLE_1) | instskip(SKIP_2) | instid1(VALU_DEP_1)
	s_or_b32 exec_lo, exec_lo, s25
	v_and_b32_e32 v135, 0xff, v134
	s_and_not1_b32 vcc_lo, exec_lo, s23
	v_cmp_lt_i16_e64 s7, 0x7f, v135
	s_cbranch_vccnz .LBB4_5545
; %bb.5536:                             ;   in Loop: Header=BB4_5448 Depth=2
	s_mov_b32 s25, 0
                                        ; implicit-def: $sgpr26
	s_delay_alu instid0(VALU_DEP_1) | instskip(NEXT) | instid1(SALU_CYCLE_1)
	s_and_saveexec_b32 s27, s7
	s_xor_b32 s7, exec_lo, s27
	s_cbranch_execnz .LBB4_5958
; %bb.5537:                             ;   in Loop: Header=BB4_5448 Depth=2
	s_or_saveexec_b32 s7, s7
	v_mov_b32_e32 v144, s26
	s_xor_b32 exec_lo, exec_lo, s7
	s_cbranch_execnz .LBB4_5961
.LBB4_5538:                             ;   in Loop: Header=BB4_5448 Depth=2
	s_or_b32 exec_lo, exec_lo, s7
	s_and_saveexec_b32 s7, s25
	s_cbranch_execz .LBB4_5540
.LBB4_5539:                             ;   in Loop: Header=BB4_5448 Depth=2
	v_lshrrev_b16 v147, 3, v134
	v_lshlrev_b32_e32 v148, 24, v134
	s_delay_alu instid0(VALU_DEP_2) | instskip(NEXT) | instid1(VALU_DEP_1)
	v_and_b32_e32 v147, 15, v147
	v_cmp_eq_u32_e32 vcc_lo, 0, v147
	v_and_b32_e32 v144, 7, v134
	s_delay_alu instid0(VALU_DEP_1) | instskip(NEXT) | instid1(VALU_DEP_1)
	v_clz_i32_u32_e32 v145, v144
	v_min_u32_e32 v145, 32, v145
	s_delay_alu instid0(VALU_DEP_1) | instskip(SKIP_1) | instid1(VALU_DEP_1)
	v_subrev_nc_u32_e32 v146, 28, v145
	v_sub_nc_u32_e32 v145, 29, v145
	v_dual_cndmask_b32 v145, v147, v145 :: v_dual_lshlrev_b32 v146, v146, v134
	s_delay_alu instid0(VALU_DEP_1) | instskip(NEXT) | instid1(VALU_DEP_2)
	v_and_b32_e32 v146, 7, v146
	v_lshl_add_u32 v145, v145, 23, 0x3b800000
	s_delay_alu instid0(VALU_DEP_2) | instskip(SKIP_1) | instid1(VALU_DEP_2)
	v_cndmask_b32_e32 v144, v144, v146, vcc_lo
	v_and_b32_e32 v146, 0x80000000, v148
	v_lshlrev_b32_e32 v144, 20, v144
	s_delay_alu instid0(VALU_DEP_1)
	v_or3_b32 v144, v146, v145, v144
.LBB4_5540:                             ;   in Loop: Header=BB4_5448 Depth=2
	s_or_b32 exec_lo, exec_lo, s7
	s_waitcnt vmcnt(12) lgkmcnt(12)
	v_and_b32_e32 v146, 0xff, v101
	s_mov_b32 s7, 0
	s_mov_b32 s26, exec_lo
                                        ; implicit-def: $sgpr25
	s_delay_alu instid0(VALU_DEP_1)
	v_cmpx_lt_i16_e64 0x7f, v146
	s_xor_b32 s26, exec_lo, s26
	s_cbranch_execnz .LBB4_5962
; %bb.5541:                             ;   in Loop: Header=BB4_5448 Depth=2
	s_or_saveexec_b32 s26, s26
	v_mov_b32_e32 v145, s25
	s_xor_b32 exec_lo, exec_lo, s26
	s_cbranch_execnz .LBB4_5965
.LBB4_5542:                             ;   in Loop: Header=BB4_5448 Depth=2
	s_or_b32 exec_lo, exec_lo, s26
	s_and_saveexec_b32 s25, s7
	s_cbranch_execz .LBB4_5544
.LBB4_5543:                             ;   in Loop: Header=BB4_5448 Depth=2
	v_lshrrev_b16 v148, 3, v101
	v_lshlrev_b32_e32 v149, 24, v101
	s_delay_alu instid0(VALU_DEP_2) | instskip(NEXT) | instid1(VALU_DEP_1)
	v_and_b32_e32 v148, 15, v148
	v_cmp_eq_u32_e32 vcc_lo, 0, v148
	v_and_b32_e32 v145, 7, v101
	s_delay_alu instid0(VALU_DEP_1) | instskip(NEXT) | instid1(VALU_DEP_1)
	v_clz_i32_u32_e32 v146, v145
	v_min_u32_e32 v146, 32, v146
	s_delay_alu instid0(VALU_DEP_1) | instskip(SKIP_1) | instid1(VALU_DEP_1)
	v_subrev_nc_u32_e32 v147, 28, v146
	v_sub_nc_u32_e32 v146, 29, v146
	v_dual_cndmask_b32 v146, v148, v146 :: v_dual_lshlrev_b32 v147, v147, v101
	s_delay_alu instid0(VALU_DEP_1) | instskip(NEXT) | instid1(VALU_DEP_2)
	v_and_b32_e32 v147, 7, v147
	v_lshl_add_u32 v146, v146, 23, 0x3b800000
	s_delay_alu instid0(VALU_DEP_2) | instskip(SKIP_1) | instid1(VALU_DEP_2)
	v_cndmask_b32_e32 v145, v145, v147, vcc_lo
	v_and_b32_e32 v147, 0x80000000, v149
	v_lshlrev_b32_e32 v145, 20, v145
	s_delay_alu instid0(VALU_DEP_1)
	v_or3_b32 v145, v147, v146, v145
.LBB4_5544:                             ;   in Loop: Header=BB4_5448 Depth=2
	s_or_b32 exec_lo, exec_lo, s25
	s_delay_alu instid0(VALU_DEP_1) | instskip(SKIP_1) | instid1(VALU_DEP_1)
	v_dual_max_f32 v145, v145, v145 :: v_dual_max_f32 v144, v144, v144
	s_mov_b32 s7, 0
	v_max_f32_e32 v144, v144, v145
	s_branch .LBB4_5546
.LBB4_5545:                             ;   in Loop: Header=BB4_5448 Depth=2
	s_mov_b32 s7, -1
                                        ; implicit-def: $vgpr144
.LBB4_5546:                             ;   in Loop: Header=BB4_5448 Depth=2
	s_delay_alu instid0(SALU_CYCLE_1)
	s_and_b32 vcc_lo, exec_lo, s7
	s_cbranch_vccz .LBB4_5556
; %bb.5547:                             ;   in Loop: Header=BB4_5448 Depth=2
	s_mov_b32 s7, 0
	s_mov_b32 s26, exec_lo
                                        ; implicit-def: $sgpr25
	v_cmpx_lt_i16_e64 0x7f, v135
	s_xor_b32 s26, exec_lo, s26
	s_cbranch_execnz .LBB4_5966
; %bb.5548:                             ;   in Loop: Header=BB4_5448 Depth=2
	s_or_saveexec_b32 s26, s26
	v_mov_b32_e32 v144, s25
	s_xor_b32 exec_lo, exec_lo, s26
	s_cbranch_execnz .LBB4_5969
.LBB4_5549:                             ;   in Loop: Header=BB4_5448 Depth=2
	s_or_b32 exec_lo, exec_lo, s26
	s_and_saveexec_b32 s25, s7
	s_cbranch_execz .LBB4_5551
.LBB4_5550:                             ;   in Loop: Header=BB4_5448 Depth=2
	v_lshrrev_b16 v146, 3, v134
	s_delay_alu instid0(VALU_DEP_1) | instskip(NEXT) | instid1(VALU_DEP_1)
	v_and_b32_e32 v146, 15, v146
	v_cmp_eq_u32_e32 vcc_lo, 0, v146
	v_and_b32_e32 v135, 7, v134
	s_delay_alu instid0(VALU_DEP_1) | instskip(NEXT) | instid1(VALU_DEP_1)
	v_clz_i32_u32_e32 v144, v135
	v_min_u32_e32 v144, 32, v144
	s_delay_alu instid0(VALU_DEP_1) | instskip(SKIP_1) | instid1(VALU_DEP_1)
	v_subrev_nc_u32_e32 v145, 28, v144
	v_sub_nc_u32_e32 v144, 29, v144
	v_dual_cndmask_b32 v144, v146, v144 :: v_dual_lshlrev_b32 v145, v145, v134
	v_lshlrev_b32_e32 v134, 24, v134
	s_delay_alu instid0(VALU_DEP_2) | instskip(NEXT) | instid1(VALU_DEP_3)
	v_and_b32_e32 v145, 7, v145
	v_lshl_add_u32 v144, v144, 23, 0x3b800000
	s_delay_alu instid0(VALU_DEP_2) | instskip(NEXT) | instid1(VALU_DEP_1)
	v_dual_cndmask_b32 v135, v135, v145 :: v_dual_and_b32 v134, 0x80000000, v134
	v_lshlrev_b32_e32 v135, 20, v135
	s_delay_alu instid0(VALU_DEP_1)
	v_or3_b32 v144, v134, v144, v135
.LBB4_5551:                             ;   in Loop: Header=BB4_5448 Depth=2
	s_or_b32 exec_lo, exec_lo, s25
	s_waitcnt vmcnt(12) lgkmcnt(12)
	v_and_b32_e32 v135, 0xff, v101
	s_mov_b32 s7, 0
	s_mov_b32 s26, exec_lo
                                        ; implicit-def: $sgpr25
	s_delay_alu instid0(VALU_DEP_1)
	v_cmpx_lt_i16_e64 0x7f, v135
	s_xor_b32 s26, exec_lo, s26
	s_cbranch_execnz .LBB4_5970
; %bb.5552:                             ;   in Loop: Header=BB4_5448 Depth=2
	s_or_saveexec_b32 s26, s26
	v_mov_b32_e32 v134, s25
	s_xor_b32 exec_lo, exec_lo, s26
	s_cbranch_execnz .LBB4_5973
.LBB4_5553:                             ;   in Loop: Header=BB4_5448 Depth=2
	s_or_b32 exec_lo, exec_lo, s26
	s_and_saveexec_b32 s25, s7
	s_cbranch_execz .LBB4_5555
.LBB4_5554:                             ;   in Loop: Header=BB4_5448 Depth=2
	v_lshrrev_b16 v146, 3, v101
	s_delay_alu instid0(VALU_DEP_1) | instskip(NEXT) | instid1(VALU_DEP_1)
	v_and_b32_e32 v146, 15, v146
	v_cmp_eq_u32_e32 vcc_lo, 0, v146
	v_and_b32_e32 v134, 7, v101
	s_delay_alu instid0(VALU_DEP_1) | instskip(NEXT) | instid1(VALU_DEP_1)
	v_clz_i32_u32_e32 v135, v134
	v_min_u32_e32 v135, 32, v135
	s_delay_alu instid0(VALU_DEP_1) | instskip(SKIP_1) | instid1(VALU_DEP_2)
	v_subrev_nc_u32_e32 v145, 28, v135
	v_sub_nc_u32_e32 v135, 29, v135
	v_lshlrev_b32_e32 v145, v145, v101
	s_delay_alu instid0(VALU_DEP_2) | instskip(SKIP_1) | instid1(VALU_DEP_3)
	v_cndmask_b32_e32 v135, v146, v135, vcc_lo
	v_lshlrev_b32_e32 v101, 24, v101
	v_and_b32_e32 v145, 7, v145
	s_delay_alu instid0(VALU_DEP_3) | instskip(NEXT) | instid1(VALU_DEP_3)
	v_lshl_add_u32 v135, v135, 23, 0x3b800000
	v_and_b32_e32 v101, 0x80000000, v101
	s_delay_alu instid0(VALU_DEP_3) | instskip(NEXT) | instid1(VALU_DEP_1)
	v_cndmask_b32_e32 v134, v134, v145, vcc_lo
	v_lshlrev_b32_e32 v134, 20, v134
	s_delay_alu instid0(VALU_DEP_1)
	v_or3_b32 v134, v101, v135, v134
.LBB4_5555:                             ;   in Loop: Header=BB4_5448 Depth=2
	s_or_b32 exec_lo, exec_lo, s25
	s_delay_alu instid0(VALU_DEP_1) | instskip(NEXT) | instid1(VALU_DEP_1)
	v_dual_max_f32 v101, v134, v134 :: v_dual_max_f32 v134, v144, v144
	v_min_f32_e32 v144, v134, v101
.LBB4_5556:                             ;   in Loop: Header=BB4_5448 Depth=2
	s_waitcnt vmcnt(12) lgkmcnt(12)
	s_delay_alu instid0(VALU_DEP_1) | instskip(NEXT) | instid1(VALU_DEP_1)
	v_and_b32_e32 v101, 0x7f800000, v144
	v_cmp_ne_u32_e32 vcc_lo, 0x7f800000, v101
	v_mov_b32_e32 v101, 0x80
	s_and_saveexec_b32 s25, vcc_lo
	s_cbranch_execz .LBB4_5564
; %bb.5557:                             ;   in Loop: Header=BB4_5448 Depth=2
	v_mov_b32_e32 v101, 0
	s_mov_b32 s26, exec_lo
	v_cmpx_ne_u32_e32 0, v144
	s_cbranch_execz .LBB4_5563
; %bb.5558:                             ;   in Loop: Header=BB4_5448 Depth=2
	v_bfe_u32 v101, v144, 23, 8
	s_delay_alu instid0(VALU_DEP_1) | instskip(SKIP_1) | instid1(VALU_DEP_2)
	v_sub_nc_u32_e32 v135, 0x78, v101
	v_cmp_gt_u32_e32 vcc_lo, 0x79, v101
	v_dual_cndmask_b32 v135, 0, v135 :: v_dual_and_b32 v134, 0x7fffff, v144
	s_delay_alu instid0(VALU_DEP_1) | instskip(SKIP_2) | instid1(VALU_DEP_4)
	v_or_b32_e32 v145, 0x800000, v134
	v_cmp_eq_u32_e32 vcc_lo, 0, v101
	v_add_nc_u32_e32 v101, 0xffffff89, v101
	v_cndmask_b32_e64 v135, v135, 0x77, vcc_lo
	s_delay_alu instid0(VALU_DEP_4) | instskip(NEXT) | instid1(VALU_DEP_3)
	v_cndmask_b32_e32 v134, v145, v134, vcc_lo
	v_cndmask_b32_e64 v101, v101, 0xffffff8a, vcc_lo
	s_delay_alu instid0(VALU_DEP_3) | instskip(NEXT) | instid1(VALU_DEP_3)
	v_lshl_add_u32 v145, 0x100000, v135, -1
	v_lshrrev_b32_e32 v146, v135, v134
	v_lshlrev_b32_e64 v148, v135, 0x80000
	s_delay_alu instid0(VALU_DEP_4) | instskip(NEXT) | instid1(VALU_DEP_4)
	v_add_nc_u32_e32 v135, v135, v101
	v_and_b32_e32 v134, v145, v134
	s_delay_alu instid0(VALU_DEP_4) | instskip(NEXT) | instid1(VALU_DEP_2)
	v_bfe_u32 v147, v146, 20, 1
	v_cmp_eq_u32_e64 s7, v134, v148
	s_delay_alu instid0(VALU_DEP_2) | instskip(NEXT) | instid1(VALU_DEP_1)
	v_add_nc_u32_e32 v145, -1, v147
	v_cndmask_b32_e64 v134, 0, v145, s7
	v_lshrrev_b32_e32 v145, 23, v146
	s_mov_b32 s7, exec_lo
	s_delay_alu instid0(VALU_DEP_2) | instskip(NEXT) | instid1(VALU_DEP_2)
	v_add_nc_u32_e32 v134, v134, v146
	v_xor_b32_e32 v145, 1, v145
	s_delay_alu instid0(VALU_DEP_2) | instskip(NEXT) | instid1(VALU_DEP_1)
	v_and_b32_e32 v101, 0xfffff, v134
	v_add_nc_u32_e32 v134, v101, v146
                                        ; implicit-def: $vgpr101
	s_delay_alu instid0(VALU_DEP_3)
	v_cmpx_ne_u32_e64 v135, v145
	s_xor_b32 s7, exec_lo, s7
; %bb.5559:                             ;   in Loop: Header=BB4_5448 Depth=2
	s_delay_alu instid0(VALU_DEP_2) | instskip(SKIP_2) | instid1(VALU_DEP_2)
	v_cmp_lt_u32_e32 vcc_lo, 0xffffff, v134
	v_sub_nc_u32_e32 v101, v135, v145
	v_cndmask_b32_e64 v135, 0, 1, vcc_lo
	v_add_co_ci_u32_e32 v101, vcc_lo, 0, v101, vcc_lo
	s_delay_alu instid0(VALU_DEP_2)
	v_lshrrev_b32_e32 v134, v135, v134
; %bb.5560:                             ;   in Loop: Header=BB4_5448 Depth=2
	s_and_not1_saveexec_b32 s7, s7
; %bb.5561:                             ;   in Loop: Header=BB4_5448 Depth=2
	s_delay_alu instid0(VALU_DEP_1)
	v_bfe_u32 v101, v134, 23, 1
; %bb.5562:                             ;   in Loop: Header=BB4_5448 Depth=2
	s_or_b32 exec_lo, exec_lo, s7
	v_lshrrev_b32_e32 v134, 20, v134
	s_delay_alu instid0(VALU_DEP_2) | instskip(SKIP_2) | instid1(VALU_DEP_2)
	v_cmp_gt_i32_e32 vcc_lo, 16, v101
	v_lshrrev_b32_e32 v135, 24, v144
	v_min_i32_e32 v144, 15, v101
	v_dual_cndmask_b32 v134, 7, v134 :: v_dual_and_b32 v135, 0x80, v135
	s_delay_alu instid0(VALU_DEP_1) | instskip(SKIP_1) | instid1(VALU_DEP_2)
	v_or_b32_e32 v101, v101, v134
	v_and_b32_e32 v145, 7, v134
	v_cmp_ne_u32_e32 vcc_lo, 0, v101
	v_lshlrev_b32_e32 v144, 3, v144
	s_delay_alu instid0(VALU_DEP_1) | instskip(NEXT) | instid1(VALU_DEP_1)
	v_or3_b32 v134, v144, v135, v145
	v_cndmask_b32_e32 v101, 0, v134, vcc_lo
.LBB4_5563:                             ;   in Loop: Header=BB4_5448 Depth=2
	s_or_b32 exec_lo, exec_lo, s26
.LBB4_5564:                             ;   in Loop: Header=BB4_5448 Depth=2
	s_delay_alu instid0(SALU_CYCLE_1) | instskip(SKIP_2) | instid1(VALU_DEP_1)
	s_or_b32 exec_lo, exec_lo, s25
	v_and_b32_e32 v134, 0xff, v133
	s_and_not1_b32 vcc_lo, exec_lo, s23
	v_cmp_lt_i16_e64 s7, 0x7f, v134
	s_cbranch_vccnz .LBB4_5574
; %bb.5565:                             ;   in Loop: Header=BB4_5448 Depth=2
	s_mov_b32 s25, 0
                                        ; implicit-def: $sgpr26
	s_delay_alu instid0(VALU_DEP_1) | instskip(NEXT) | instid1(SALU_CYCLE_1)
	s_and_saveexec_b32 s27, s7
	s_xor_b32 s7, exec_lo, s27
	s_cbranch_execnz .LBB4_5974
; %bb.5566:                             ;   in Loop: Header=BB4_5448 Depth=2
	s_or_saveexec_b32 s7, s7
	v_mov_b32_e32 v135, s26
	s_xor_b32 exec_lo, exec_lo, s7
	s_cbranch_execnz .LBB4_5977
.LBB4_5567:                             ;   in Loop: Header=BB4_5448 Depth=2
	s_or_b32 exec_lo, exec_lo, s7
	s_and_saveexec_b32 s7, s25
	s_cbranch_execz .LBB4_5569
.LBB4_5568:                             ;   in Loop: Header=BB4_5448 Depth=2
	v_lshrrev_b16 v146, 3, v133
	v_lshlrev_b32_e32 v147, 24, v133
	s_delay_alu instid0(VALU_DEP_2) | instskip(NEXT) | instid1(VALU_DEP_1)
	v_and_b32_e32 v146, 15, v146
	v_cmp_eq_u32_e32 vcc_lo, 0, v146
	v_and_b32_e32 v135, 7, v133
	s_delay_alu instid0(VALU_DEP_1) | instskip(NEXT) | instid1(VALU_DEP_1)
	v_clz_i32_u32_e32 v144, v135
	v_min_u32_e32 v144, 32, v144
	s_delay_alu instid0(VALU_DEP_1) | instskip(SKIP_1) | instid1(VALU_DEP_1)
	v_subrev_nc_u32_e32 v145, 28, v144
	v_sub_nc_u32_e32 v144, 29, v144
	v_dual_cndmask_b32 v144, v146, v144 :: v_dual_lshlrev_b32 v145, v145, v133
	s_delay_alu instid0(VALU_DEP_1) | instskip(NEXT) | instid1(VALU_DEP_2)
	v_and_b32_e32 v145, 7, v145
	v_lshl_add_u32 v144, v144, 23, 0x3b800000
	s_delay_alu instid0(VALU_DEP_2) | instskip(SKIP_1) | instid1(VALU_DEP_2)
	v_cndmask_b32_e32 v135, v135, v145, vcc_lo
	v_and_b32_e32 v145, 0x80000000, v147
	v_lshlrev_b32_e32 v135, 20, v135
	s_delay_alu instid0(VALU_DEP_1)
	v_or3_b32 v135, v145, v144, v135
.LBB4_5569:                             ;   in Loop: Header=BB4_5448 Depth=2
	s_or_b32 exec_lo, exec_lo, s7
	s_waitcnt vmcnt(11) lgkmcnt(11)
	v_and_b32_e32 v145, 0xff, v112
	s_mov_b32 s7, 0
	s_mov_b32 s26, exec_lo
                                        ; implicit-def: $sgpr25
	s_delay_alu instid0(VALU_DEP_1)
	v_cmpx_lt_i16_e64 0x7f, v145
	s_xor_b32 s26, exec_lo, s26
	s_cbranch_execnz .LBB4_5978
; %bb.5570:                             ;   in Loop: Header=BB4_5448 Depth=2
	s_or_saveexec_b32 s26, s26
	v_mov_b32_e32 v144, s25
	s_xor_b32 exec_lo, exec_lo, s26
	s_cbranch_execnz .LBB4_5981
.LBB4_5571:                             ;   in Loop: Header=BB4_5448 Depth=2
	s_or_b32 exec_lo, exec_lo, s26
	s_and_saveexec_b32 s25, s7
	s_cbranch_execz .LBB4_5573
.LBB4_5572:                             ;   in Loop: Header=BB4_5448 Depth=2
	v_lshrrev_b16 v147, 3, v112
	v_lshlrev_b32_e32 v148, 24, v112
	s_delay_alu instid0(VALU_DEP_2) | instskip(NEXT) | instid1(VALU_DEP_1)
	v_and_b32_e32 v147, 15, v147
	v_cmp_eq_u32_e32 vcc_lo, 0, v147
	v_and_b32_e32 v144, 7, v112
	s_delay_alu instid0(VALU_DEP_1) | instskip(NEXT) | instid1(VALU_DEP_1)
	v_clz_i32_u32_e32 v145, v144
	v_min_u32_e32 v145, 32, v145
	s_delay_alu instid0(VALU_DEP_1) | instskip(SKIP_1) | instid1(VALU_DEP_1)
	v_subrev_nc_u32_e32 v146, 28, v145
	v_sub_nc_u32_e32 v145, 29, v145
	v_dual_cndmask_b32 v145, v147, v145 :: v_dual_lshlrev_b32 v146, v146, v112
	s_delay_alu instid0(VALU_DEP_1) | instskip(NEXT) | instid1(VALU_DEP_2)
	v_and_b32_e32 v146, 7, v146
	v_lshl_add_u32 v145, v145, 23, 0x3b800000
	s_delay_alu instid0(VALU_DEP_2) | instskip(SKIP_1) | instid1(VALU_DEP_2)
	v_cndmask_b32_e32 v144, v144, v146, vcc_lo
	v_and_b32_e32 v146, 0x80000000, v148
	v_lshlrev_b32_e32 v144, 20, v144
	s_delay_alu instid0(VALU_DEP_1)
	v_or3_b32 v144, v146, v145, v144
.LBB4_5573:                             ;   in Loop: Header=BB4_5448 Depth=2
	s_or_b32 exec_lo, exec_lo, s25
	s_delay_alu instid0(VALU_DEP_1) | instskip(SKIP_1) | instid1(VALU_DEP_1)
	v_dual_max_f32 v144, v144, v144 :: v_dual_max_f32 v135, v135, v135
	s_mov_b32 s7, 0
	v_max_f32_e32 v135, v135, v144
	s_branch .LBB4_5575
.LBB4_5574:                             ;   in Loop: Header=BB4_5448 Depth=2
	s_mov_b32 s7, -1
                                        ; implicit-def: $vgpr135
.LBB4_5575:                             ;   in Loop: Header=BB4_5448 Depth=2
	s_delay_alu instid0(SALU_CYCLE_1)
	s_and_b32 vcc_lo, exec_lo, s7
	s_cbranch_vccz .LBB4_5585
; %bb.5576:                             ;   in Loop: Header=BB4_5448 Depth=2
	s_mov_b32 s7, 0
	s_mov_b32 s26, exec_lo
                                        ; implicit-def: $sgpr25
	v_cmpx_lt_i16_e64 0x7f, v134
	s_xor_b32 s26, exec_lo, s26
	s_cbranch_execnz .LBB4_5982
; %bb.5577:                             ;   in Loop: Header=BB4_5448 Depth=2
	s_or_saveexec_b32 s26, s26
	v_mov_b32_e32 v135, s25
	s_xor_b32 exec_lo, exec_lo, s26
	s_cbranch_execnz .LBB4_5985
.LBB4_5578:                             ;   in Loop: Header=BB4_5448 Depth=2
	s_or_b32 exec_lo, exec_lo, s26
	s_and_saveexec_b32 s25, s7
	s_cbranch_execz .LBB4_5580
.LBB4_5579:                             ;   in Loop: Header=BB4_5448 Depth=2
	v_lshrrev_b16 v145, 3, v133
	s_delay_alu instid0(VALU_DEP_1) | instskip(NEXT) | instid1(VALU_DEP_1)
	v_and_b32_e32 v145, 15, v145
	v_cmp_eq_u32_e32 vcc_lo, 0, v145
	v_and_b32_e32 v134, 7, v133
	s_delay_alu instid0(VALU_DEP_1) | instskip(NEXT) | instid1(VALU_DEP_1)
	v_clz_i32_u32_e32 v135, v134
	v_min_u32_e32 v135, 32, v135
	s_delay_alu instid0(VALU_DEP_1) | instskip(SKIP_1) | instid1(VALU_DEP_1)
	v_subrev_nc_u32_e32 v144, 28, v135
	v_sub_nc_u32_e32 v135, 29, v135
	v_dual_cndmask_b32 v135, v145, v135 :: v_dual_lshlrev_b32 v144, v144, v133
	v_lshlrev_b32_e32 v133, 24, v133
	s_delay_alu instid0(VALU_DEP_2) | instskip(NEXT) | instid1(VALU_DEP_3)
	v_and_b32_e32 v144, 7, v144
	v_lshl_add_u32 v135, v135, 23, 0x3b800000
	s_delay_alu instid0(VALU_DEP_2) | instskip(NEXT) | instid1(VALU_DEP_1)
	v_dual_cndmask_b32 v134, v134, v144 :: v_dual_and_b32 v133, 0x80000000, v133
	v_lshlrev_b32_e32 v134, 20, v134
	s_delay_alu instid0(VALU_DEP_1)
	v_or3_b32 v135, v133, v135, v134
.LBB4_5580:                             ;   in Loop: Header=BB4_5448 Depth=2
	s_or_b32 exec_lo, exec_lo, s25
	s_waitcnt vmcnt(11) lgkmcnt(11)
	v_and_b32_e32 v134, 0xff, v112
	s_mov_b32 s7, 0
	s_mov_b32 s26, exec_lo
                                        ; implicit-def: $sgpr25
	s_delay_alu instid0(VALU_DEP_1)
	v_cmpx_lt_i16_e64 0x7f, v134
	s_xor_b32 s26, exec_lo, s26
	s_cbranch_execnz .LBB4_5986
; %bb.5581:                             ;   in Loop: Header=BB4_5448 Depth=2
	s_or_saveexec_b32 s26, s26
	v_mov_b32_e32 v133, s25
	s_xor_b32 exec_lo, exec_lo, s26
	s_cbranch_execnz .LBB4_5989
.LBB4_5582:                             ;   in Loop: Header=BB4_5448 Depth=2
	s_or_b32 exec_lo, exec_lo, s26
	s_and_saveexec_b32 s25, s7
	s_cbranch_execz .LBB4_5584
.LBB4_5583:                             ;   in Loop: Header=BB4_5448 Depth=2
	v_lshrrev_b16 v145, 3, v112
	s_delay_alu instid0(VALU_DEP_1) | instskip(NEXT) | instid1(VALU_DEP_1)
	v_and_b32_e32 v145, 15, v145
	v_cmp_eq_u32_e32 vcc_lo, 0, v145
	v_and_b32_e32 v133, 7, v112
	s_delay_alu instid0(VALU_DEP_1) | instskip(NEXT) | instid1(VALU_DEP_1)
	v_clz_i32_u32_e32 v134, v133
	v_min_u32_e32 v134, 32, v134
	s_delay_alu instid0(VALU_DEP_1) | instskip(SKIP_1) | instid1(VALU_DEP_2)
	v_subrev_nc_u32_e32 v144, 28, v134
	v_sub_nc_u32_e32 v134, 29, v134
	v_lshlrev_b32_e32 v144, v144, v112
	s_delay_alu instid0(VALU_DEP_2) | instskip(SKIP_1) | instid1(VALU_DEP_3)
	v_cndmask_b32_e32 v134, v145, v134, vcc_lo
	v_lshlrev_b32_e32 v112, 24, v112
	v_and_b32_e32 v144, 7, v144
	s_delay_alu instid0(VALU_DEP_3) | instskip(NEXT) | instid1(VALU_DEP_3)
	v_lshl_add_u32 v134, v134, 23, 0x3b800000
	v_and_b32_e32 v112, 0x80000000, v112
	s_delay_alu instid0(VALU_DEP_3) | instskip(NEXT) | instid1(VALU_DEP_1)
	v_cndmask_b32_e32 v133, v133, v144, vcc_lo
	v_lshlrev_b32_e32 v133, 20, v133
	s_delay_alu instid0(VALU_DEP_1)
	v_or3_b32 v133, v112, v134, v133
.LBB4_5584:                             ;   in Loop: Header=BB4_5448 Depth=2
	s_or_b32 exec_lo, exec_lo, s25
	s_delay_alu instid0(VALU_DEP_1) | instskip(NEXT) | instid1(VALU_DEP_1)
	v_dual_max_f32 v112, v133, v133 :: v_dual_max_f32 v133, v135, v135
	v_min_f32_e32 v135, v133, v112
.LBB4_5585:                             ;   in Loop: Header=BB4_5448 Depth=2
	s_waitcnt vmcnt(11) lgkmcnt(11)
	s_delay_alu instid0(VALU_DEP_1) | instskip(NEXT) | instid1(VALU_DEP_1)
	v_and_b32_e32 v112, 0x7f800000, v135
	v_cmp_ne_u32_e32 vcc_lo, 0x7f800000, v112
	v_mov_b32_e32 v112, 0x80
	s_and_saveexec_b32 s25, vcc_lo
	s_cbranch_execz .LBB4_5593
; %bb.5586:                             ;   in Loop: Header=BB4_5448 Depth=2
	v_mov_b32_e32 v112, 0
	s_mov_b32 s26, exec_lo
	v_cmpx_ne_u32_e32 0, v135
	s_cbranch_execz .LBB4_5592
; %bb.5587:                             ;   in Loop: Header=BB4_5448 Depth=2
	v_bfe_u32 v112, v135, 23, 8
	s_delay_alu instid0(VALU_DEP_1) | instskip(SKIP_1) | instid1(VALU_DEP_2)
	v_sub_nc_u32_e32 v134, 0x78, v112
	v_cmp_gt_u32_e32 vcc_lo, 0x79, v112
	v_dual_cndmask_b32 v134, 0, v134 :: v_dual_and_b32 v133, 0x7fffff, v135
	s_delay_alu instid0(VALU_DEP_1) | instskip(SKIP_2) | instid1(VALU_DEP_4)
	v_or_b32_e32 v144, 0x800000, v133
	v_cmp_eq_u32_e32 vcc_lo, 0, v112
	v_add_nc_u32_e32 v112, 0xffffff89, v112
	v_cndmask_b32_e64 v134, v134, 0x77, vcc_lo
	s_delay_alu instid0(VALU_DEP_4) | instskip(NEXT) | instid1(VALU_DEP_3)
	v_cndmask_b32_e32 v133, v144, v133, vcc_lo
	v_cndmask_b32_e64 v112, v112, 0xffffff8a, vcc_lo
	s_delay_alu instid0(VALU_DEP_3) | instskip(NEXT) | instid1(VALU_DEP_3)
	v_lshl_add_u32 v144, 0x100000, v134, -1
	v_lshrrev_b32_e32 v145, v134, v133
	v_lshlrev_b32_e64 v147, v134, 0x80000
	s_delay_alu instid0(VALU_DEP_4) | instskip(NEXT) | instid1(VALU_DEP_4)
	v_add_nc_u32_e32 v134, v134, v112
	v_and_b32_e32 v133, v144, v133
	s_delay_alu instid0(VALU_DEP_4) | instskip(NEXT) | instid1(VALU_DEP_2)
	v_bfe_u32 v146, v145, 20, 1
	v_cmp_eq_u32_e64 s7, v133, v147
	s_delay_alu instid0(VALU_DEP_2) | instskip(NEXT) | instid1(VALU_DEP_1)
	v_add_nc_u32_e32 v144, -1, v146
	v_cndmask_b32_e64 v133, 0, v144, s7
	v_lshrrev_b32_e32 v144, 23, v145
	s_mov_b32 s7, exec_lo
	s_delay_alu instid0(VALU_DEP_2) | instskip(NEXT) | instid1(VALU_DEP_2)
	v_add_nc_u32_e32 v133, v133, v145
	v_xor_b32_e32 v144, 1, v144
	s_delay_alu instid0(VALU_DEP_2) | instskip(NEXT) | instid1(VALU_DEP_1)
	v_and_b32_e32 v112, 0xfffff, v133
	v_add_nc_u32_e32 v133, v112, v145
                                        ; implicit-def: $vgpr112
	s_delay_alu instid0(VALU_DEP_3)
	v_cmpx_ne_u32_e64 v134, v144
	s_xor_b32 s7, exec_lo, s7
; %bb.5588:                             ;   in Loop: Header=BB4_5448 Depth=2
	s_delay_alu instid0(VALU_DEP_2) | instskip(SKIP_2) | instid1(VALU_DEP_2)
	v_cmp_lt_u32_e32 vcc_lo, 0xffffff, v133
	v_sub_nc_u32_e32 v112, v134, v144
	v_cndmask_b32_e64 v134, 0, 1, vcc_lo
	v_add_co_ci_u32_e32 v112, vcc_lo, 0, v112, vcc_lo
	s_delay_alu instid0(VALU_DEP_2)
	v_lshrrev_b32_e32 v133, v134, v133
; %bb.5589:                             ;   in Loop: Header=BB4_5448 Depth=2
	s_and_not1_saveexec_b32 s7, s7
; %bb.5590:                             ;   in Loop: Header=BB4_5448 Depth=2
	s_delay_alu instid0(VALU_DEP_1)
	v_bfe_u32 v112, v133, 23, 1
; %bb.5591:                             ;   in Loop: Header=BB4_5448 Depth=2
	s_or_b32 exec_lo, exec_lo, s7
	v_lshrrev_b32_e32 v133, 20, v133
	s_delay_alu instid0(VALU_DEP_2) | instskip(SKIP_2) | instid1(VALU_DEP_2)
	v_cmp_gt_i32_e32 vcc_lo, 16, v112
	v_lshrrev_b32_e32 v134, 24, v135
	v_min_i32_e32 v135, 15, v112
	v_dual_cndmask_b32 v133, 7, v133 :: v_dual_and_b32 v134, 0x80, v134
	s_delay_alu instid0(VALU_DEP_1) | instskip(SKIP_1) | instid1(VALU_DEP_2)
	v_or_b32_e32 v112, v112, v133
	v_and_b32_e32 v144, 7, v133
	v_cmp_ne_u32_e32 vcc_lo, 0, v112
	v_lshlrev_b32_e32 v135, 3, v135
	s_delay_alu instid0(VALU_DEP_1) | instskip(NEXT) | instid1(VALU_DEP_1)
	v_or3_b32 v133, v135, v134, v144
	v_cndmask_b32_e32 v112, 0, v133, vcc_lo
.LBB4_5592:                             ;   in Loop: Header=BB4_5448 Depth=2
	s_or_b32 exec_lo, exec_lo, s26
.LBB4_5593:                             ;   in Loop: Header=BB4_5448 Depth=2
	s_delay_alu instid0(SALU_CYCLE_1) | instskip(SKIP_2) | instid1(VALU_DEP_1)
	s_or_b32 exec_lo, exec_lo, s25
	v_and_b32_e32 v133, 0xff, v132
	s_and_not1_b32 vcc_lo, exec_lo, s23
	v_cmp_lt_i16_e64 s7, 0x7f, v133
	s_cbranch_vccnz .LBB4_5603
; %bb.5594:                             ;   in Loop: Header=BB4_5448 Depth=2
	s_mov_b32 s25, 0
                                        ; implicit-def: $sgpr26
	s_delay_alu instid0(VALU_DEP_1) | instskip(NEXT) | instid1(SALU_CYCLE_1)
	s_and_saveexec_b32 s27, s7
	s_xor_b32 s7, exec_lo, s27
	s_cbranch_execnz .LBB4_5990
; %bb.5595:                             ;   in Loop: Header=BB4_5448 Depth=2
	s_or_saveexec_b32 s7, s7
	v_mov_b32_e32 v134, s26
	s_xor_b32 exec_lo, exec_lo, s7
	s_cbranch_execnz .LBB4_5993
.LBB4_5596:                             ;   in Loop: Header=BB4_5448 Depth=2
	s_or_b32 exec_lo, exec_lo, s7
	s_and_saveexec_b32 s7, s25
	s_cbranch_execz .LBB4_5598
.LBB4_5597:                             ;   in Loop: Header=BB4_5448 Depth=2
	v_lshrrev_b16 v145, 3, v132
	v_lshlrev_b32_e32 v146, 24, v132
	s_delay_alu instid0(VALU_DEP_2) | instskip(NEXT) | instid1(VALU_DEP_1)
	v_and_b32_e32 v145, 15, v145
	v_cmp_eq_u32_e32 vcc_lo, 0, v145
	v_and_b32_e32 v134, 7, v132
	s_delay_alu instid0(VALU_DEP_1) | instskip(NEXT) | instid1(VALU_DEP_1)
	v_clz_i32_u32_e32 v135, v134
	v_min_u32_e32 v135, 32, v135
	s_delay_alu instid0(VALU_DEP_1) | instskip(SKIP_1) | instid1(VALU_DEP_1)
	v_subrev_nc_u32_e32 v144, 28, v135
	v_sub_nc_u32_e32 v135, 29, v135
	v_dual_cndmask_b32 v135, v145, v135 :: v_dual_lshlrev_b32 v144, v144, v132
	s_delay_alu instid0(VALU_DEP_1) | instskip(NEXT) | instid1(VALU_DEP_2)
	v_and_b32_e32 v144, 7, v144
	v_lshl_add_u32 v135, v135, 23, 0x3b800000
	s_delay_alu instid0(VALU_DEP_2) | instskip(SKIP_1) | instid1(VALU_DEP_2)
	v_cndmask_b32_e32 v134, v134, v144, vcc_lo
	v_and_b32_e32 v144, 0x80000000, v146
	v_lshlrev_b32_e32 v134, 20, v134
	s_delay_alu instid0(VALU_DEP_1)
	v_or3_b32 v134, v144, v135, v134
.LBB4_5598:                             ;   in Loop: Header=BB4_5448 Depth=2
	s_or_b32 exec_lo, exec_lo, s7
	s_waitcnt vmcnt(10) lgkmcnt(10)
	v_and_b32_e32 v144, 0xff, v115
	s_mov_b32 s7, 0
	s_mov_b32 s26, exec_lo
                                        ; implicit-def: $sgpr25
	s_delay_alu instid0(VALU_DEP_1)
	v_cmpx_lt_i16_e64 0x7f, v144
	s_xor_b32 s26, exec_lo, s26
	s_cbranch_execnz .LBB4_5994
; %bb.5599:                             ;   in Loop: Header=BB4_5448 Depth=2
	s_or_saveexec_b32 s26, s26
	v_mov_b32_e32 v135, s25
	s_xor_b32 exec_lo, exec_lo, s26
	s_cbranch_execnz .LBB4_5997
.LBB4_5600:                             ;   in Loop: Header=BB4_5448 Depth=2
	s_or_b32 exec_lo, exec_lo, s26
	s_and_saveexec_b32 s25, s7
	s_cbranch_execz .LBB4_5602
.LBB4_5601:                             ;   in Loop: Header=BB4_5448 Depth=2
	v_lshrrev_b16 v146, 3, v115
	v_lshlrev_b32_e32 v147, 24, v115
	s_delay_alu instid0(VALU_DEP_2) | instskip(NEXT) | instid1(VALU_DEP_1)
	v_and_b32_e32 v146, 15, v146
	v_cmp_eq_u32_e32 vcc_lo, 0, v146
	v_and_b32_e32 v135, 7, v115
	s_delay_alu instid0(VALU_DEP_1) | instskip(NEXT) | instid1(VALU_DEP_1)
	v_clz_i32_u32_e32 v144, v135
	v_min_u32_e32 v144, 32, v144
	s_delay_alu instid0(VALU_DEP_1) | instskip(SKIP_1) | instid1(VALU_DEP_1)
	v_subrev_nc_u32_e32 v145, 28, v144
	v_sub_nc_u32_e32 v144, 29, v144
	v_dual_cndmask_b32 v144, v146, v144 :: v_dual_lshlrev_b32 v145, v145, v115
	s_delay_alu instid0(VALU_DEP_1) | instskip(NEXT) | instid1(VALU_DEP_2)
	v_and_b32_e32 v145, 7, v145
	v_lshl_add_u32 v144, v144, 23, 0x3b800000
	s_delay_alu instid0(VALU_DEP_2) | instskip(SKIP_1) | instid1(VALU_DEP_2)
	v_cndmask_b32_e32 v135, v135, v145, vcc_lo
	v_and_b32_e32 v145, 0x80000000, v147
	v_lshlrev_b32_e32 v135, 20, v135
	s_delay_alu instid0(VALU_DEP_1)
	v_or3_b32 v135, v145, v144, v135
.LBB4_5602:                             ;   in Loop: Header=BB4_5448 Depth=2
	s_or_b32 exec_lo, exec_lo, s25
	s_delay_alu instid0(VALU_DEP_1) | instskip(SKIP_1) | instid1(VALU_DEP_1)
	v_dual_max_f32 v135, v135, v135 :: v_dual_max_f32 v134, v134, v134
	s_mov_b32 s7, 0
	v_max_f32_e32 v134, v134, v135
	s_branch .LBB4_5604
.LBB4_5603:                             ;   in Loop: Header=BB4_5448 Depth=2
	s_mov_b32 s7, -1
                                        ; implicit-def: $vgpr134
.LBB4_5604:                             ;   in Loop: Header=BB4_5448 Depth=2
	s_delay_alu instid0(SALU_CYCLE_1)
	s_and_b32 vcc_lo, exec_lo, s7
	s_cbranch_vccz .LBB4_5614
; %bb.5605:                             ;   in Loop: Header=BB4_5448 Depth=2
	s_mov_b32 s7, 0
	s_mov_b32 s26, exec_lo
                                        ; implicit-def: $sgpr25
	v_cmpx_lt_i16_e64 0x7f, v133
	s_xor_b32 s26, exec_lo, s26
	s_cbranch_execnz .LBB4_5998
; %bb.5606:                             ;   in Loop: Header=BB4_5448 Depth=2
	s_or_saveexec_b32 s26, s26
	v_mov_b32_e32 v134, s25
	s_xor_b32 exec_lo, exec_lo, s26
	s_cbranch_execnz .LBB4_6001
.LBB4_5607:                             ;   in Loop: Header=BB4_5448 Depth=2
	s_or_b32 exec_lo, exec_lo, s26
	s_and_saveexec_b32 s25, s7
	s_cbranch_execz .LBB4_5609
.LBB4_5608:                             ;   in Loop: Header=BB4_5448 Depth=2
	v_lshrrev_b16 v144, 3, v132
	s_delay_alu instid0(VALU_DEP_1) | instskip(NEXT) | instid1(VALU_DEP_1)
	v_and_b32_e32 v144, 15, v144
	v_cmp_eq_u32_e32 vcc_lo, 0, v144
	v_and_b32_e32 v133, 7, v132
	s_delay_alu instid0(VALU_DEP_1) | instskip(NEXT) | instid1(VALU_DEP_1)
	v_clz_i32_u32_e32 v134, v133
	v_min_u32_e32 v134, 32, v134
	s_delay_alu instid0(VALU_DEP_1) | instskip(SKIP_1) | instid1(VALU_DEP_1)
	v_subrev_nc_u32_e32 v135, 28, v134
	v_sub_nc_u32_e32 v134, 29, v134
	v_dual_cndmask_b32 v134, v144, v134 :: v_dual_lshlrev_b32 v135, v135, v132
	v_lshlrev_b32_e32 v132, 24, v132
	s_delay_alu instid0(VALU_DEP_2) | instskip(NEXT) | instid1(VALU_DEP_3)
	v_and_b32_e32 v135, 7, v135
	v_lshl_add_u32 v134, v134, 23, 0x3b800000
	s_delay_alu instid0(VALU_DEP_2) | instskip(NEXT) | instid1(VALU_DEP_1)
	v_dual_cndmask_b32 v133, v133, v135 :: v_dual_and_b32 v132, 0x80000000, v132
	v_lshlrev_b32_e32 v133, 20, v133
	s_delay_alu instid0(VALU_DEP_1)
	v_or3_b32 v134, v132, v134, v133
.LBB4_5609:                             ;   in Loop: Header=BB4_5448 Depth=2
	s_or_b32 exec_lo, exec_lo, s25
	s_waitcnt vmcnt(10) lgkmcnt(10)
	v_and_b32_e32 v133, 0xff, v115
	s_mov_b32 s7, 0
	s_mov_b32 s26, exec_lo
                                        ; implicit-def: $sgpr25
	s_delay_alu instid0(VALU_DEP_1)
	v_cmpx_lt_i16_e64 0x7f, v133
	s_xor_b32 s26, exec_lo, s26
	s_cbranch_execnz .LBB4_6002
; %bb.5610:                             ;   in Loop: Header=BB4_5448 Depth=2
	s_or_saveexec_b32 s26, s26
	v_mov_b32_e32 v132, s25
	s_xor_b32 exec_lo, exec_lo, s26
	s_cbranch_execnz .LBB4_6005
.LBB4_5611:                             ;   in Loop: Header=BB4_5448 Depth=2
	s_or_b32 exec_lo, exec_lo, s26
	s_and_saveexec_b32 s25, s7
	s_cbranch_execz .LBB4_5613
.LBB4_5612:                             ;   in Loop: Header=BB4_5448 Depth=2
	v_lshrrev_b16 v144, 3, v115
	s_delay_alu instid0(VALU_DEP_1) | instskip(NEXT) | instid1(VALU_DEP_1)
	v_and_b32_e32 v144, 15, v144
	v_cmp_eq_u32_e32 vcc_lo, 0, v144
	v_and_b32_e32 v132, 7, v115
	s_delay_alu instid0(VALU_DEP_1) | instskip(NEXT) | instid1(VALU_DEP_1)
	v_clz_i32_u32_e32 v133, v132
	v_min_u32_e32 v133, 32, v133
	s_delay_alu instid0(VALU_DEP_1) | instskip(SKIP_1) | instid1(VALU_DEP_2)
	v_subrev_nc_u32_e32 v135, 28, v133
	v_sub_nc_u32_e32 v133, 29, v133
	v_lshlrev_b32_e32 v135, v135, v115
	s_delay_alu instid0(VALU_DEP_2) | instskip(SKIP_1) | instid1(VALU_DEP_3)
	v_cndmask_b32_e32 v133, v144, v133, vcc_lo
	v_lshlrev_b32_e32 v115, 24, v115
	v_and_b32_e32 v135, 7, v135
	s_delay_alu instid0(VALU_DEP_3) | instskip(NEXT) | instid1(VALU_DEP_3)
	v_lshl_add_u32 v133, v133, 23, 0x3b800000
	v_and_b32_e32 v115, 0x80000000, v115
	s_delay_alu instid0(VALU_DEP_3) | instskip(NEXT) | instid1(VALU_DEP_1)
	v_cndmask_b32_e32 v132, v132, v135, vcc_lo
	v_lshlrev_b32_e32 v132, 20, v132
	s_delay_alu instid0(VALU_DEP_1)
	v_or3_b32 v132, v115, v133, v132
.LBB4_5613:                             ;   in Loop: Header=BB4_5448 Depth=2
	s_or_b32 exec_lo, exec_lo, s25
	s_delay_alu instid0(VALU_DEP_1) | instskip(NEXT) | instid1(VALU_DEP_1)
	v_dual_max_f32 v115, v132, v132 :: v_dual_max_f32 v132, v134, v134
	v_min_f32_e32 v134, v132, v115
.LBB4_5614:                             ;   in Loop: Header=BB4_5448 Depth=2
	s_waitcnt vmcnt(10) lgkmcnt(10)
	s_delay_alu instid0(VALU_DEP_1) | instskip(NEXT) | instid1(VALU_DEP_1)
	v_and_b32_e32 v115, 0x7f800000, v134
	v_cmp_ne_u32_e32 vcc_lo, 0x7f800000, v115
	v_mov_b32_e32 v115, 0x80
	s_and_saveexec_b32 s25, vcc_lo
	s_cbranch_execz .LBB4_5622
; %bb.5615:                             ;   in Loop: Header=BB4_5448 Depth=2
	v_mov_b32_e32 v115, 0
	s_mov_b32 s26, exec_lo
	v_cmpx_ne_u32_e32 0, v134
	s_cbranch_execz .LBB4_5621
; %bb.5616:                             ;   in Loop: Header=BB4_5448 Depth=2
	v_bfe_u32 v115, v134, 23, 8
	s_delay_alu instid0(VALU_DEP_1) | instskip(SKIP_1) | instid1(VALU_DEP_2)
	v_sub_nc_u32_e32 v133, 0x78, v115
	v_cmp_gt_u32_e32 vcc_lo, 0x79, v115
	v_dual_cndmask_b32 v133, 0, v133 :: v_dual_and_b32 v132, 0x7fffff, v134
	s_delay_alu instid0(VALU_DEP_1) | instskip(SKIP_2) | instid1(VALU_DEP_4)
	v_or_b32_e32 v135, 0x800000, v132
	v_cmp_eq_u32_e32 vcc_lo, 0, v115
	v_add_nc_u32_e32 v115, 0xffffff89, v115
	v_cndmask_b32_e64 v133, v133, 0x77, vcc_lo
	s_delay_alu instid0(VALU_DEP_4) | instskip(NEXT) | instid1(VALU_DEP_3)
	v_cndmask_b32_e32 v132, v135, v132, vcc_lo
	v_cndmask_b32_e64 v115, v115, 0xffffff8a, vcc_lo
	s_delay_alu instid0(VALU_DEP_3) | instskip(NEXT) | instid1(VALU_DEP_3)
	v_lshl_add_u32 v135, 0x100000, v133, -1
	v_lshrrev_b32_e32 v144, v133, v132
	v_lshlrev_b32_e64 v146, v133, 0x80000
	s_delay_alu instid0(VALU_DEP_4) | instskip(NEXT) | instid1(VALU_DEP_4)
	v_add_nc_u32_e32 v133, v133, v115
	v_and_b32_e32 v132, v135, v132
	s_delay_alu instid0(VALU_DEP_4) | instskip(NEXT) | instid1(VALU_DEP_2)
	v_bfe_u32 v145, v144, 20, 1
	v_cmp_eq_u32_e64 s7, v132, v146
	s_delay_alu instid0(VALU_DEP_2) | instskip(NEXT) | instid1(VALU_DEP_1)
	v_add_nc_u32_e32 v135, -1, v145
	v_cndmask_b32_e64 v132, 0, v135, s7
	v_lshrrev_b32_e32 v135, 23, v144
	s_mov_b32 s7, exec_lo
	s_delay_alu instid0(VALU_DEP_2) | instskip(NEXT) | instid1(VALU_DEP_2)
	v_add_nc_u32_e32 v132, v132, v144
	v_xor_b32_e32 v135, 1, v135
	s_delay_alu instid0(VALU_DEP_2) | instskip(NEXT) | instid1(VALU_DEP_1)
	v_and_b32_e32 v115, 0xfffff, v132
	v_add_nc_u32_e32 v132, v115, v144
                                        ; implicit-def: $vgpr115
	s_delay_alu instid0(VALU_DEP_3)
	v_cmpx_ne_u32_e64 v133, v135
	s_xor_b32 s7, exec_lo, s7
; %bb.5617:                             ;   in Loop: Header=BB4_5448 Depth=2
	s_delay_alu instid0(VALU_DEP_2) | instskip(SKIP_2) | instid1(VALU_DEP_2)
	v_cmp_lt_u32_e32 vcc_lo, 0xffffff, v132
	v_sub_nc_u32_e32 v115, v133, v135
	v_cndmask_b32_e64 v133, 0, 1, vcc_lo
	v_add_co_ci_u32_e32 v115, vcc_lo, 0, v115, vcc_lo
	s_delay_alu instid0(VALU_DEP_2)
	v_lshrrev_b32_e32 v132, v133, v132
; %bb.5618:                             ;   in Loop: Header=BB4_5448 Depth=2
	s_and_not1_saveexec_b32 s7, s7
; %bb.5619:                             ;   in Loop: Header=BB4_5448 Depth=2
	s_delay_alu instid0(VALU_DEP_1)
	v_bfe_u32 v115, v132, 23, 1
; %bb.5620:                             ;   in Loop: Header=BB4_5448 Depth=2
	s_or_b32 exec_lo, exec_lo, s7
	v_lshrrev_b32_e32 v132, 20, v132
	s_delay_alu instid0(VALU_DEP_2) | instskip(SKIP_2) | instid1(VALU_DEP_2)
	v_cmp_gt_i32_e32 vcc_lo, 16, v115
	v_lshrrev_b32_e32 v133, 24, v134
	v_min_i32_e32 v134, 15, v115
	v_dual_cndmask_b32 v132, 7, v132 :: v_dual_and_b32 v133, 0x80, v133
	s_delay_alu instid0(VALU_DEP_1) | instskip(SKIP_1) | instid1(VALU_DEP_2)
	v_or_b32_e32 v115, v115, v132
	v_and_b32_e32 v135, 7, v132
	v_cmp_ne_u32_e32 vcc_lo, 0, v115
	v_lshlrev_b32_e32 v134, 3, v134
	s_delay_alu instid0(VALU_DEP_1) | instskip(NEXT) | instid1(VALU_DEP_1)
	v_or3_b32 v132, v134, v133, v135
	v_cndmask_b32_e32 v115, 0, v132, vcc_lo
.LBB4_5621:                             ;   in Loop: Header=BB4_5448 Depth=2
	s_or_b32 exec_lo, exec_lo, s26
.LBB4_5622:                             ;   in Loop: Header=BB4_5448 Depth=2
	s_delay_alu instid0(SALU_CYCLE_1) | instskip(SKIP_2) | instid1(VALU_DEP_1)
	s_or_b32 exec_lo, exec_lo, s25
	v_and_b32_e32 v132, 0xff, v131
	s_and_not1_b32 vcc_lo, exec_lo, s23
	v_cmp_lt_i16_e64 s7, 0x7f, v132
	s_cbranch_vccnz .LBB4_5632
; %bb.5623:                             ;   in Loop: Header=BB4_5448 Depth=2
	s_mov_b32 s25, 0
                                        ; implicit-def: $sgpr26
	s_delay_alu instid0(VALU_DEP_1) | instskip(NEXT) | instid1(SALU_CYCLE_1)
	s_and_saveexec_b32 s27, s7
	s_xor_b32 s7, exec_lo, s27
	s_cbranch_execnz .LBB4_6006
; %bb.5624:                             ;   in Loop: Header=BB4_5448 Depth=2
	s_or_saveexec_b32 s7, s7
	v_mov_b32_e32 v133, s26
	s_xor_b32 exec_lo, exec_lo, s7
	s_cbranch_execnz .LBB4_6009
.LBB4_5625:                             ;   in Loop: Header=BB4_5448 Depth=2
	s_or_b32 exec_lo, exec_lo, s7
	s_and_saveexec_b32 s7, s25
	s_cbranch_execz .LBB4_5627
.LBB4_5626:                             ;   in Loop: Header=BB4_5448 Depth=2
	v_lshrrev_b16 v144, 3, v131
	v_lshlrev_b32_e32 v145, 24, v131
	s_delay_alu instid0(VALU_DEP_2) | instskip(NEXT) | instid1(VALU_DEP_1)
	v_and_b32_e32 v144, 15, v144
	v_cmp_eq_u32_e32 vcc_lo, 0, v144
	v_and_b32_e32 v133, 7, v131
	s_delay_alu instid0(VALU_DEP_1) | instskip(NEXT) | instid1(VALU_DEP_1)
	v_clz_i32_u32_e32 v134, v133
	v_min_u32_e32 v134, 32, v134
	s_delay_alu instid0(VALU_DEP_1) | instskip(SKIP_1) | instid1(VALU_DEP_1)
	v_subrev_nc_u32_e32 v135, 28, v134
	v_sub_nc_u32_e32 v134, 29, v134
	v_dual_cndmask_b32 v134, v144, v134 :: v_dual_lshlrev_b32 v135, v135, v131
	s_delay_alu instid0(VALU_DEP_1) | instskip(NEXT) | instid1(VALU_DEP_2)
	v_and_b32_e32 v135, 7, v135
	v_lshl_add_u32 v134, v134, 23, 0x3b800000
	s_delay_alu instid0(VALU_DEP_2) | instskip(SKIP_1) | instid1(VALU_DEP_2)
	v_cndmask_b32_e32 v133, v133, v135, vcc_lo
	v_and_b32_e32 v135, 0x80000000, v145
	v_lshlrev_b32_e32 v133, 20, v133
	s_delay_alu instid0(VALU_DEP_1)
	v_or3_b32 v133, v135, v134, v133
.LBB4_5627:                             ;   in Loop: Header=BB4_5448 Depth=2
	s_or_b32 exec_lo, exec_lo, s7
	s_waitcnt vmcnt(9) lgkmcnt(9)
	v_and_b32_e32 v135, 0xff, v118
	s_mov_b32 s7, 0
	s_mov_b32 s26, exec_lo
                                        ; implicit-def: $sgpr25
	s_delay_alu instid0(VALU_DEP_1)
	v_cmpx_lt_i16_e64 0x7f, v135
	s_xor_b32 s26, exec_lo, s26
	s_cbranch_execnz .LBB4_6010
; %bb.5628:                             ;   in Loop: Header=BB4_5448 Depth=2
	s_or_saveexec_b32 s26, s26
	v_mov_b32_e32 v134, s25
	s_xor_b32 exec_lo, exec_lo, s26
	s_cbranch_execnz .LBB4_6013
.LBB4_5629:                             ;   in Loop: Header=BB4_5448 Depth=2
	s_or_b32 exec_lo, exec_lo, s26
	s_and_saveexec_b32 s25, s7
	s_cbranch_execz .LBB4_5631
.LBB4_5630:                             ;   in Loop: Header=BB4_5448 Depth=2
	v_lshrrev_b16 v145, 3, v118
	v_lshlrev_b32_e32 v146, 24, v118
	s_delay_alu instid0(VALU_DEP_2) | instskip(NEXT) | instid1(VALU_DEP_1)
	v_and_b32_e32 v145, 15, v145
	v_cmp_eq_u32_e32 vcc_lo, 0, v145
	v_and_b32_e32 v134, 7, v118
	s_delay_alu instid0(VALU_DEP_1) | instskip(NEXT) | instid1(VALU_DEP_1)
	v_clz_i32_u32_e32 v135, v134
	v_min_u32_e32 v135, 32, v135
	s_delay_alu instid0(VALU_DEP_1) | instskip(SKIP_1) | instid1(VALU_DEP_1)
	v_subrev_nc_u32_e32 v144, 28, v135
	v_sub_nc_u32_e32 v135, 29, v135
	v_dual_cndmask_b32 v135, v145, v135 :: v_dual_lshlrev_b32 v144, v144, v118
	s_delay_alu instid0(VALU_DEP_1) | instskip(NEXT) | instid1(VALU_DEP_2)
	v_and_b32_e32 v144, 7, v144
	v_lshl_add_u32 v135, v135, 23, 0x3b800000
	s_delay_alu instid0(VALU_DEP_2) | instskip(SKIP_1) | instid1(VALU_DEP_2)
	v_cndmask_b32_e32 v134, v134, v144, vcc_lo
	v_and_b32_e32 v144, 0x80000000, v146
	v_lshlrev_b32_e32 v134, 20, v134
	s_delay_alu instid0(VALU_DEP_1)
	v_or3_b32 v134, v144, v135, v134
.LBB4_5631:                             ;   in Loop: Header=BB4_5448 Depth=2
	s_or_b32 exec_lo, exec_lo, s25
	s_delay_alu instid0(VALU_DEP_1) | instskip(SKIP_1) | instid1(VALU_DEP_1)
	v_dual_max_f32 v134, v134, v134 :: v_dual_max_f32 v133, v133, v133
	s_mov_b32 s7, 0
	v_max_f32_e32 v133, v133, v134
	s_branch .LBB4_5633
.LBB4_5632:                             ;   in Loop: Header=BB4_5448 Depth=2
	s_mov_b32 s7, -1
                                        ; implicit-def: $vgpr133
.LBB4_5633:                             ;   in Loop: Header=BB4_5448 Depth=2
	s_delay_alu instid0(SALU_CYCLE_1)
	s_and_b32 vcc_lo, exec_lo, s7
	s_cbranch_vccz .LBB4_5643
; %bb.5634:                             ;   in Loop: Header=BB4_5448 Depth=2
	s_mov_b32 s7, 0
	s_mov_b32 s26, exec_lo
                                        ; implicit-def: $sgpr25
	v_cmpx_lt_i16_e64 0x7f, v132
	s_xor_b32 s26, exec_lo, s26
	s_cbranch_execnz .LBB4_6014
; %bb.5635:                             ;   in Loop: Header=BB4_5448 Depth=2
	s_or_saveexec_b32 s26, s26
	v_mov_b32_e32 v133, s25
	s_xor_b32 exec_lo, exec_lo, s26
	s_cbranch_execnz .LBB4_6017
.LBB4_5636:                             ;   in Loop: Header=BB4_5448 Depth=2
	s_or_b32 exec_lo, exec_lo, s26
	s_and_saveexec_b32 s25, s7
	s_cbranch_execz .LBB4_5638
.LBB4_5637:                             ;   in Loop: Header=BB4_5448 Depth=2
	v_lshrrev_b16 v135, 3, v131
	s_delay_alu instid0(VALU_DEP_1) | instskip(NEXT) | instid1(VALU_DEP_1)
	v_and_b32_e32 v135, 15, v135
	v_cmp_eq_u32_e32 vcc_lo, 0, v135
	v_and_b32_e32 v132, 7, v131
	s_delay_alu instid0(VALU_DEP_1) | instskip(NEXT) | instid1(VALU_DEP_1)
	v_clz_i32_u32_e32 v133, v132
	v_min_u32_e32 v133, 32, v133
	s_delay_alu instid0(VALU_DEP_1) | instskip(SKIP_1) | instid1(VALU_DEP_1)
	v_subrev_nc_u32_e32 v134, 28, v133
	v_sub_nc_u32_e32 v133, 29, v133
	v_dual_cndmask_b32 v133, v135, v133 :: v_dual_lshlrev_b32 v134, v134, v131
	v_lshlrev_b32_e32 v131, 24, v131
	s_delay_alu instid0(VALU_DEP_2) | instskip(NEXT) | instid1(VALU_DEP_3)
	v_and_b32_e32 v134, 7, v134
	v_lshl_add_u32 v133, v133, 23, 0x3b800000
	s_delay_alu instid0(VALU_DEP_2) | instskip(NEXT) | instid1(VALU_DEP_1)
	v_dual_cndmask_b32 v132, v132, v134 :: v_dual_and_b32 v131, 0x80000000, v131
	v_lshlrev_b32_e32 v132, 20, v132
	s_delay_alu instid0(VALU_DEP_1)
	v_or3_b32 v133, v131, v133, v132
.LBB4_5638:                             ;   in Loop: Header=BB4_5448 Depth=2
	s_or_b32 exec_lo, exec_lo, s25
	s_waitcnt vmcnt(9) lgkmcnt(9)
	v_and_b32_e32 v132, 0xff, v118
	s_mov_b32 s7, 0
	s_mov_b32 s26, exec_lo
                                        ; implicit-def: $sgpr25
	s_delay_alu instid0(VALU_DEP_1)
	v_cmpx_lt_i16_e64 0x7f, v132
	s_xor_b32 s26, exec_lo, s26
	s_cbranch_execnz .LBB4_6018
; %bb.5639:                             ;   in Loop: Header=BB4_5448 Depth=2
	s_or_saveexec_b32 s26, s26
	v_mov_b32_e32 v131, s25
	s_xor_b32 exec_lo, exec_lo, s26
	s_cbranch_execnz .LBB4_6021
.LBB4_5640:                             ;   in Loop: Header=BB4_5448 Depth=2
	s_or_b32 exec_lo, exec_lo, s26
	s_and_saveexec_b32 s25, s7
	s_cbranch_execz .LBB4_5642
.LBB4_5641:                             ;   in Loop: Header=BB4_5448 Depth=2
	v_lshrrev_b16 v135, 3, v118
	s_delay_alu instid0(VALU_DEP_1) | instskip(NEXT) | instid1(VALU_DEP_1)
	v_and_b32_e32 v135, 15, v135
	v_cmp_eq_u32_e32 vcc_lo, 0, v135
	v_and_b32_e32 v131, 7, v118
	s_delay_alu instid0(VALU_DEP_1) | instskip(NEXT) | instid1(VALU_DEP_1)
	v_clz_i32_u32_e32 v132, v131
	v_min_u32_e32 v132, 32, v132
	s_delay_alu instid0(VALU_DEP_1) | instskip(SKIP_1) | instid1(VALU_DEP_2)
	v_subrev_nc_u32_e32 v134, 28, v132
	v_sub_nc_u32_e32 v132, 29, v132
	v_lshlrev_b32_e32 v134, v134, v118
	s_delay_alu instid0(VALU_DEP_2) | instskip(SKIP_1) | instid1(VALU_DEP_3)
	v_cndmask_b32_e32 v132, v135, v132, vcc_lo
	v_lshlrev_b32_e32 v118, 24, v118
	v_and_b32_e32 v134, 7, v134
	s_delay_alu instid0(VALU_DEP_3) | instskip(NEXT) | instid1(VALU_DEP_3)
	v_lshl_add_u32 v132, v132, 23, 0x3b800000
	v_and_b32_e32 v118, 0x80000000, v118
	s_delay_alu instid0(VALU_DEP_3) | instskip(NEXT) | instid1(VALU_DEP_1)
	v_cndmask_b32_e32 v131, v131, v134, vcc_lo
	v_lshlrev_b32_e32 v131, 20, v131
	s_delay_alu instid0(VALU_DEP_1)
	v_or3_b32 v131, v118, v132, v131
.LBB4_5642:                             ;   in Loop: Header=BB4_5448 Depth=2
	s_or_b32 exec_lo, exec_lo, s25
	s_delay_alu instid0(VALU_DEP_1) | instskip(NEXT) | instid1(VALU_DEP_1)
	v_dual_max_f32 v118, v131, v131 :: v_dual_max_f32 v131, v133, v133
	v_min_f32_e32 v133, v131, v118
.LBB4_5643:                             ;   in Loop: Header=BB4_5448 Depth=2
	s_waitcnt vmcnt(9) lgkmcnt(9)
	s_delay_alu instid0(VALU_DEP_1) | instskip(NEXT) | instid1(VALU_DEP_1)
	v_and_b32_e32 v118, 0x7f800000, v133
	v_cmp_ne_u32_e32 vcc_lo, 0x7f800000, v118
	v_mov_b32_e32 v118, 0x80
	s_and_saveexec_b32 s25, vcc_lo
	s_cbranch_execz .LBB4_5651
; %bb.5644:                             ;   in Loop: Header=BB4_5448 Depth=2
	v_mov_b32_e32 v118, 0
	s_mov_b32 s26, exec_lo
	v_cmpx_ne_u32_e32 0, v133
	s_cbranch_execz .LBB4_5650
; %bb.5645:                             ;   in Loop: Header=BB4_5448 Depth=2
	v_bfe_u32 v118, v133, 23, 8
	s_delay_alu instid0(VALU_DEP_1) | instskip(SKIP_1) | instid1(VALU_DEP_2)
	v_sub_nc_u32_e32 v132, 0x78, v118
	v_cmp_gt_u32_e32 vcc_lo, 0x79, v118
	v_dual_cndmask_b32 v132, 0, v132 :: v_dual_and_b32 v131, 0x7fffff, v133
	s_delay_alu instid0(VALU_DEP_1) | instskip(SKIP_2) | instid1(VALU_DEP_4)
	v_or_b32_e32 v134, 0x800000, v131
	v_cmp_eq_u32_e32 vcc_lo, 0, v118
	v_add_nc_u32_e32 v118, 0xffffff89, v118
	v_cndmask_b32_e64 v132, v132, 0x77, vcc_lo
	s_delay_alu instid0(VALU_DEP_4) | instskip(NEXT) | instid1(VALU_DEP_3)
	v_cndmask_b32_e32 v131, v134, v131, vcc_lo
	v_cndmask_b32_e64 v118, v118, 0xffffff8a, vcc_lo
	s_delay_alu instid0(VALU_DEP_3) | instskip(NEXT) | instid1(VALU_DEP_3)
	v_lshl_add_u32 v134, 0x100000, v132, -1
	v_lshrrev_b32_e32 v135, v132, v131
	v_lshlrev_b32_e64 v145, v132, 0x80000
	s_delay_alu instid0(VALU_DEP_4) | instskip(NEXT) | instid1(VALU_DEP_4)
	v_add_nc_u32_e32 v132, v132, v118
	v_and_b32_e32 v131, v134, v131
	s_delay_alu instid0(VALU_DEP_4) | instskip(NEXT) | instid1(VALU_DEP_2)
	v_bfe_u32 v144, v135, 20, 1
	v_cmp_eq_u32_e64 s7, v131, v145
	s_delay_alu instid0(VALU_DEP_2) | instskip(NEXT) | instid1(VALU_DEP_1)
	v_add_nc_u32_e32 v134, -1, v144
	v_cndmask_b32_e64 v131, 0, v134, s7
	v_lshrrev_b32_e32 v134, 23, v135
	s_mov_b32 s7, exec_lo
	s_delay_alu instid0(VALU_DEP_2) | instskip(NEXT) | instid1(VALU_DEP_2)
	v_add_nc_u32_e32 v131, v131, v135
	v_xor_b32_e32 v134, 1, v134
	s_delay_alu instid0(VALU_DEP_2) | instskip(NEXT) | instid1(VALU_DEP_1)
	v_and_b32_e32 v118, 0xfffff, v131
	v_add_nc_u32_e32 v131, v118, v135
                                        ; implicit-def: $vgpr118
	s_delay_alu instid0(VALU_DEP_3)
	v_cmpx_ne_u32_e64 v132, v134
	s_xor_b32 s7, exec_lo, s7
; %bb.5646:                             ;   in Loop: Header=BB4_5448 Depth=2
	s_delay_alu instid0(VALU_DEP_2) | instskip(SKIP_2) | instid1(VALU_DEP_2)
	v_cmp_lt_u32_e32 vcc_lo, 0xffffff, v131
	v_sub_nc_u32_e32 v118, v132, v134
	v_cndmask_b32_e64 v132, 0, 1, vcc_lo
	v_add_co_ci_u32_e32 v118, vcc_lo, 0, v118, vcc_lo
	s_delay_alu instid0(VALU_DEP_2)
	v_lshrrev_b32_e32 v131, v132, v131
; %bb.5647:                             ;   in Loop: Header=BB4_5448 Depth=2
	s_and_not1_saveexec_b32 s7, s7
; %bb.5648:                             ;   in Loop: Header=BB4_5448 Depth=2
	s_delay_alu instid0(VALU_DEP_1)
	v_bfe_u32 v118, v131, 23, 1
; %bb.5649:                             ;   in Loop: Header=BB4_5448 Depth=2
	s_or_b32 exec_lo, exec_lo, s7
	v_lshrrev_b32_e32 v131, 20, v131
	s_delay_alu instid0(VALU_DEP_2) | instskip(SKIP_2) | instid1(VALU_DEP_2)
	v_cmp_gt_i32_e32 vcc_lo, 16, v118
	v_lshrrev_b32_e32 v132, 24, v133
	v_min_i32_e32 v133, 15, v118
	v_dual_cndmask_b32 v131, 7, v131 :: v_dual_and_b32 v132, 0x80, v132
	s_delay_alu instid0(VALU_DEP_1) | instskip(SKIP_1) | instid1(VALU_DEP_2)
	v_or_b32_e32 v118, v118, v131
	v_and_b32_e32 v134, 7, v131
	v_cmp_ne_u32_e32 vcc_lo, 0, v118
	v_lshlrev_b32_e32 v133, 3, v133
	s_delay_alu instid0(VALU_DEP_1) | instskip(NEXT) | instid1(VALU_DEP_1)
	v_or3_b32 v131, v133, v132, v134
	v_cndmask_b32_e32 v118, 0, v131, vcc_lo
.LBB4_5650:                             ;   in Loop: Header=BB4_5448 Depth=2
	s_or_b32 exec_lo, exec_lo, s26
.LBB4_5651:                             ;   in Loop: Header=BB4_5448 Depth=2
	s_delay_alu instid0(SALU_CYCLE_1) | instskip(SKIP_2) | instid1(VALU_DEP_1)
	s_or_b32 exec_lo, exec_lo, s25
	v_and_b32_e32 v131, 0xff, v130
	s_and_not1_b32 vcc_lo, exec_lo, s23
	v_cmp_lt_i16_e64 s7, 0x7f, v131
	s_cbranch_vccnz .LBB4_5661
; %bb.5652:                             ;   in Loop: Header=BB4_5448 Depth=2
	s_mov_b32 s25, 0
                                        ; implicit-def: $sgpr26
	s_delay_alu instid0(VALU_DEP_1) | instskip(NEXT) | instid1(SALU_CYCLE_1)
	s_and_saveexec_b32 s27, s7
	s_xor_b32 s7, exec_lo, s27
	s_cbranch_execnz .LBB4_6022
; %bb.5653:                             ;   in Loop: Header=BB4_5448 Depth=2
	s_or_saveexec_b32 s7, s7
	v_mov_b32_e32 v132, s26
	s_xor_b32 exec_lo, exec_lo, s7
	s_cbranch_execnz .LBB4_6025
.LBB4_5654:                             ;   in Loop: Header=BB4_5448 Depth=2
	s_or_b32 exec_lo, exec_lo, s7
	s_and_saveexec_b32 s7, s25
	s_cbranch_execz .LBB4_5656
.LBB4_5655:                             ;   in Loop: Header=BB4_5448 Depth=2
	v_lshrrev_b16 v135, 3, v130
	v_lshlrev_b32_e32 v144, 24, v130
	s_delay_alu instid0(VALU_DEP_2) | instskip(NEXT) | instid1(VALU_DEP_1)
	v_and_b32_e32 v135, 15, v135
	v_cmp_eq_u32_e32 vcc_lo, 0, v135
	v_and_b32_e32 v132, 7, v130
	s_delay_alu instid0(VALU_DEP_1) | instskip(NEXT) | instid1(VALU_DEP_1)
	v_clz_i32_u32_e32 v133, v132
	v_min_u32_e32 v133, 32, v133
	s_delay_alu instid0(VALU_DEP_1) | instskip(SKIP_1) | instid1(VALU_DEP_1)
	v_subrev_nc_u32_e32 v134, 28, v133
	v_sub_nc_u32_e32 v133, 29, v133
	v_dual_cndmask_b32 v133, v135, v133 :: v_dual_lshlrev_b32 v134, v134, v130
	s_delay_alu instid0(VALU_DEP_1) | instskip(NEXT) | instid1(VALU_DEP_2)
	v_and_b32_e32 v134, 7, v134
	v_lshl_add_u32 v133, v133, 23, 0x3b800000
	s_delay_alu instid0(VALU_DEP_2) | instskip(SKIP_1) | instid1(VALU_DEP_2)
	v_cndmask_b32_e32 v132, v132, v134, vcc_lo
	v_and_b32_e32 v134, 0x80000000, v144
	v_lshlrev_b32_e32 v132, 20, v132
	s_delay_alu instid0(VALU_DEP_1)
	v_or3_b32 v132, v134, v133, v132
.LBB4_5656:                             ;   in Loop: Header=BB4_5448 Depth=2
	s_or_b32 exec_lo, exec_lo, s7
	s_waitcnt vmcnt(8) lgkmcnt(8)
	v_and_b32_e32 v134, 0xff, v129
	s_mov_b32 s7, 0
	s_mov_b32 s26, exec_lo
                                        ; implicit-def: $sgpr25
	s_delay_alu instid0(VALU_DEP_1)
	v_cmpx_lt_i16_e64 0x7f, v134
	s_xor_b32 s26, exec_lo, s26
	s_cbranch_execnz .LBB4_6026
; %bb.5657:                             ;   in Loop: Header=BB4_5448 Depth=2
	s_or_saveexec_b32 s26, s26
	v_mov_b32_e32 v133, s25
	s_xor_b32 exec_lo, exec_lo, s26
	s_cbranch_execnz .LBB4_6029
.LBB4_5658:                             ;   in Loop: Header=BB4_5448 Depth=2
	s_or_b32 exec_lo, exec_lo, s26
	s_and_saveexec_b32 s25, s7
	s_cbranch_execz .LBB4_5660
.LBB4_5659:                             ;   in Loop: Header=BB4_5448 Depth=2
	v_lshrrev_b16 v144, 3, v129
	v_lshlrev_b32_e32 v145, 24, v129
	s_delay_alu instid0(VALU_DEP_2) | instskip(NEXT) | instid1(VALU_DEP_1)
	v_and_b32_e32 v144, 15, v144
	v_cmp_eq_u32_e32 vcc_lo, 0, v144
	v_and_b32_e32 v133, 7, v129
	s_delay_alu instid0(VALU_DEP_1) | instskip(NEXT) | instid1(VALU_DEP_1)
	v_clz_i32_u32_e32 v134, v133
	v_min_u32_e32 v134, 32, v134
	s_delay_alu instid0(VALU_DEP_1) | instskip(SKIP_1) | instid1(VALU_DEP_1)
	v_subrev_nc_u32_e32 v135, 28, v134
	v_sub_nc_u32_e32 v134, 29, v134
	v_dual_cndmask_b32 v134, v144, v134 :: v_dual_lshlrev_b32 v135, v135, v129
	s_delay_alu instid0(VALU_DEP_1) | instskip(NEXT) | instid1(VALU_DEP_2)
	v_and_b32_e32 v135, 7, v135
	v_lshl_add_u32 v134, v134, 23, 0x3b800000
	s_delay_alu instid0(VALU_DEP_2) | instskip(SKIP_1) | instid1(VALU_DEP_2)
	v_cndmask_b32_e32 v133, v133, v135, vcc_lo
	v_and_b32_e32 v135, 0x80000000, v145
	v_lshlrev_b32_e32 v133, 20, v133
	s_delay_alu instid0(VALU_DEP_1)
	v_or3_b32 v133, v135, v134, v133
.LBB4_5660:                             ;   in Loop: Header=BB4_5448 Depth=2
	s_or_b32 exec_lo, exec_lo, s25
	s_delay_alu instid0(VALU_DEP_1) | instskip(SKIP_1) | instid1(VALU_DEP_1)
	v_dual_max_f32 v133, v133, v133 :: v_dual_max_f32 v132, v132, v132
	s_mov_b32 s7, 0
	v_max_f32_e32 v132, v132, v133
	s_branch .LBB4_5662
.LBB4_5661:                             ;   in Loop: Header=BB4_5448 Depth=2
	s_mov_b32 s7, -1
                                        ; implicit-def: $vgpr132
.LBB4_5662:                             ;   in Loop: Header=BB4_5448 Depth=2
	s_delay_alu instid0(SALU_CYCLE_1)
	s_and_b32 vcc_lo, exec_lo, s7
	s_cbranch_vccz .LBB4_5672
; %bb.5663:                             ;   in Loop: Header=BB4_5448 Depth=2
	s_mov_b32 s7, 0
	s_mov_b32 s26, exec_lo
                                        ; implicit-def: $sgpr25
	v_cmpx_lt_i16_e64 0x7f, v131
	s_xor_b32 s26, exec_lo, s26
	s_cbranch_execnz .LBB4_6030
; %bb.5664:                             ;   in Loop: Header=BB4_5448 Depth=2
	s_or_saveexec_b32 s26, s26
	v_mov_b32_e32 v132, s25
	s_xor_b32 exec_lo, exec_lo, s26
	s_cbranch_execnz .LBB4_6033
.LBB4_5665:                             ;   in Loop: Header=BB4_5448 Depth=2
	s_or_b32 exec_lo, exec_lo, s26
	s_and_saveexec_b32 s25, s7
	s_cbranch_execz .LBB4_5667
.LBB4_5666:                             ;   in Loop: Header=BB4_5448 Depth=2
	v_lshrrev_b16 v134, 3, v130
	s_delay_alu instid0(VALU_DEP_1) | instskip(NEXT) | instid1(VALU_DEP_1)
	v_and_b32_e32 v134, 15, v134
	v_cmp_eq_u32_e32 vcc_lo, 0, v134
	v_and_b32_e32 v131, 7, v130
	s_delay_alu instid0(VALU_DEP_1) | instskip(NEXT) | instid1(VALU_DEP_1)
	v_clz_i32_u32_e32 v132, v131
	v_min_u32_e32 v132, 32, v132
	s_delay_alu instid0(VALU_DEP_1) | instskip(SKIP_1) | instid1(VALU_DEP_1)
	v_subrev_nc_u32_e32 v133, 28, v132
	v_sub_nc_u32_e32 v132, 29, v132
	v_dual_cndmask_b32 v132, v134, v132 :: v_dual_lshlrev_b32 v133, v133, v130
	v_lshlrev_b32_e32 v130, 24, v130
	s_delay_alu instid0(VALU_DEP_2) | instskip(NEXT) | instid1(VALU_DEP_3)
	v_and_b32_e32 v133, 7, v133
	v_lshl_add_u32 v132, v132, 23, 0x3b800000
	s_delay_alu instid0(VALU_DEP_2) | instskip(NEXT) | instid1(VALU_DEP_1)
	v_dual_cndmask_b32 v131, v131, v133 :: v_dual_and_b32 v130, 0x80000000, v130
	v_lshlrev_b32_e32 v131, 20, v131
	s_delay_alu instid0(VALU_DEP_1)
	v_or3_b32 v132, v130, v132, v131
.LBB4_5667:                             ;   in Loop: Header=BB4_5448 Depth=2
	s_or_b32 exec_lo, exec_lo, s25
	s_waitcnt vmcnt(8) lgkmcnt(8)
	v_and_b32_e32 v131, 0xff, v129
	s_mov_b32 s7, 0
	s_mov_b32 s26, exec_lo
                                        ; implicit-def: $sgpr25
	s_delay_alu instid0(VALU_DEP_1)
	v_cmpx_lt_i16_e64 0x7f, v131
	s_xor_b32 s26, exec_lo, s26
	s_cbranch_execnz .LBB4_6034
; %bb.5668:                             ;   in Loop: Header=BB4_5448 Depth=2
	s_or_saveexec_b32 s26, s26
	v_mov_b32_e32 v130, s25
	s_xor_b32 exec_lo, exec_lo, s26
	s_cbranch_execnz .LBB4_6037
.LBB4_5669:                             ;   in Loop: Header=BB4_5448 Depth=2
	s_or_b32 exec_lo, exec_lo, s26
	s_and_saveexec_b32 s25, s7
	s_cbranch_execz .LBB4_5671
.LBB4_5670:                             ;   in Loop: Header=BB4_5448 Depth=2
	v_lshrrev_b16 v134, 3, v129
	s_delay_alu instid0(VALU_DEP_1) | instskip(NEXT) | instid1(VALU_DEP_1)
	v_and_b32_e32 v134, 15, v134
	v_cmp_eq_u32_e32 vcc_lo, 0, v134
	v_and_b32_e32 v130, 7, v129
	s_delay_alu instid0(VALU_DEP_1) | instskip(NEXT) | instid1(VALU_DEP_1)
	v_clz_i32_u32_e32 v131, v130
	v_min_u32_e32 v131, 32, v131
	s_delay_alu instid0(VALU_DEP_1) | instskip(SKIP_1) | instid1(VALU_DEP_2)
	v_subrev_nc_u32_e32 v133, 28, v131
	v_sub_nc_u32_e32 v131, 29, v131
	v_lshlrev_b32_e32 v133, v133, v129
	s_delay_alu instid0(VALU_DEP_2) | instskip(SKIP_1) | instid1(VALU_DEP_3)
	v_cndmask_b32_e32 v131, v134, v131, vcc_lo
	v_lshlrev_b32_e32 v129, 24, v129
	v_and_b32_e32 v133, 7, v133
	s_delay_alu instid0(VALU_DEP_3) | instskip(NEXT) | instid1(VALU_DEP_3)
	v_lshl_add_u32 v131, v131, 23, 0x3b800000
	v_and_b32_e32 v129, 0x80000000, v129
	s_delay_alu instid0(VALU_DEP_3) | instskip(NEXT) | instid1(VALU_DEP_1)
	v_cndmask_b32_e32 v130, v130, v133, vcc_lo
	v_lshlrev_b32_e32 v130, 20, v130
	s_delay_alu instid0(VALU_DEP_1)
	v_or3_b32 v130, v129, v131, v130
.LBB4_5671:                             ;   in Loop: Header=BB4_5448 Depth=2
	s_or_b32 exec_lo, exec_lo, s25
	s_delay_alu instid0(VALU_DEP_1) | instskip(NEXT) | instid1(VALU_DEP_1)
	v_dual_max_f32 v129, v130, v130 :: v_dual_max_f32 v130, v132, v132
	v_min_f32_e32 v132, v130, v129
.LBB4_5672:                             ;   in Loop: Header=BB4_5448 Depth=2
	s_waitcnt vmcnt(8) lgkmcnt(8)
	s_delay_alu instid0(VALU_DEP_1) | instskip(NEXT) | instid1(VALU_DEP_1)
	v_and_b32_e32 v129, 0x7f800000, v132
	v_cmp_ne_u32_e32 vcc_lo, 0x7f800000, v129
	v_mov_b32_e32 v129, 0x80
	s_and_saveexec_b32 s25, vcc_lo
	s_cbranch_execz .LBB4_5680
; %bb.5673:                             ;   in Loop: Header=BB4_5448 Depth=2
	v_mov_b32_e32 v129, 0
	s_mov_b32 s26, exec_lo
	v_cmpx_ne_u32_e32 0, v132
	s_cbranch_execz .LBB4_5679
; %bb.5674:                             ;   in Loop: Header=BB4_5448 Depth=2
	v_bfe_u32 v129, v132, 23, 8
	s_delay_alu instid0(VALU_DEP_1) | instskip(SKIP_1) | instid1(VALU_DEP_2)
	v_sub_nc_u32_e32 v131, 0x78, v129
	v_cmp_gt_u32_e32 vcc_lo, 0x79, v129
	v_dual_cndmask_b32 v131, 0, v131 :: v_dual_and_b32 v130, 0x7fffff, v132
	s_delay_alu instid0(VALU_DEP_1) | instskip(SKIP_2) | instid1(VALU_DEP_4)
	v_or_b32_e32 v133, 0x800000, v130
	v_cmp_eq_u32_e32 vcc_lo, 0, v129
	v_add_nc_u32_e32 v129, 0xffffff89, v129
	v_cndmask_b32_e64 v131, v131, 0x77, vcc_lo
	s_delay_alu instid0(VALU_DEP_4) | instskip(NEXT) | instid1(VALU_DEP_3)
	v_cndmask_b32_e32 v130, v133, v130, vcc_lo
	v_cndmask_b32_e64 v129, v129, 0xffffff8a, vcc_lo
	s_delay_alu instid0(VALU_DEP_3) | instskip(NEXT) | instid1(VALU_DEP_3)
	v_lshl_add_u32 v133, 0x100000, v131, -1
	v_lshrrev_b32_e32 v134, v131, v130
	v_lshlrev_b32_e64 v144, v131, 0x80000
	s_delay_alu instid0(VALU_DEP_4) | instskip(NEXT) | instid1(VALU_DEP_4)
	v_add_nc_u32_e32 v131, v131, v129
	v_and_b32_e32 v130, v133, v130
	s_delay_alu instid0(VALU_DEP_4) | instskip(NEXT) | instid1(VALU_DEP_2)
	v_bfe_u32 v135, v134, 20, 1
	v_cmp_eq_u32_e64 s7, v130, v144
	s_delay_alu instid0(VALU_DEP_2) | instskip(NEXT) | instid1(VALU_DEP_1)
	v_add_nc_u32_e32 v133, -1, v135
	v_cndmask_b32_e64 v130, 0, v133, s7
	v_lshrrev_b32_e32 v133, 23, v134
	s_mov_b32 s7, exec_lo
	s_delay_alu instid0(VALU_DEP_2) | instskip(NEXT) | instid1(VALU_DEP_2)
	v_add_nc_u32_e32 v130, v130, v134
	v_xor_b32_e32 v133, 1, v133
	s_delay_alu instid0(VALU_DEP_2) | instskip(NEXT) | instid1(VALU_DEP_1)
	v_and_b32_e32 v129, 0xfffff, v130
	v_add_nc_u32_e32 v130, v129, v134
                                        ; implicit-def: $vgpr129
	s_delay_alu instid0(VALU_DEP_3)
	v_cmpx_ne_u32_e64 v131, v133
	s_xor_b32 s7, exec_lo, s7
; %bb.5675:                             ;   in Loop: Header=BB4_5448 Depth=2
	s_delay_alu instid0(VALU_DEP_2) | instskip(SKIP_2) | instid1(VALU_DEP_2)
	v_cmp_lt_u32_e32 vcc_lo, 0xffffff, v130
	v_sub_nc_u32_e32 v129, v131, v133
	v_cndmask_b32_e64 v131, 0, 1, vcc_lo
	v_add_co_ci_u32_e32 v129, vcc_lo, 0, v129, vcc_lo
	s_delay_alu instid0(VALU_DEP_2)
	v_lshrrev_b32_e32 v130, v131, v130
; %bb.5676:                             ;   in Loop: Header=BB4_5448 Depth=2
	s_and_not1_saveexec_b32 s7, s7
; %bb.5677:                             ;   in Loop: Header=BB4_5448 Depth=2
	s_delay_alu instid0(VALU_DEP_1)
	v_bfe_u32 v129, v130, 23, 1
; %bb.5678:                             ;   in Loop: Header=BB4_5448 Depth=2
	s_or_b32 exec_lo, exec_lo, s7
	v_lshrrev_b32_e32 v130, 20, v130
	s_delay_alu instid0(VALU_DEP_2) | instskip(SKIP_2) | instid1(VALU_DEP_2)
	v_cmp_gt_i32_e32 vcc_lo, 16, v129
	v_lshrrev_b32_e32 v131, 24, v132
	v_min_i32_e32 v132, 15, v129
	v_dual_cndmask_b32 v130, 7, v130 :: v_dual_and_b32 v131, 0x80, v131
	s_delay_alu instid0(VALU_DEP_1) | instskip(SKIP_1) | instid1(VALU_DEP_2)
	v_or_b32_e32 v129, v129, v130
	v_and_b32_e32 v133, 7, v130
	v_cmp_ne_u32_e32 vcc_lo, 0, v129
	v_lshlrev_b32_e32 v132, 3, v132
	s_delay_alu instid0(VALU_DEP_1) | instskip(NEXT) | instid1(VALU_DEP_1)
	v_or3_b32 v130, v132, v131, v133
	v_cndmask_b32_e32 v129, 0, v130, vcc_lo
.LBB4_5679:                             ;   in Loop: Header=BB4_5448 Depth=2
	s_or_b32 exec_lo, exec_lo, s26
.LBB4_5680:                             ;   in Loop: Header=BB4_5448 Depth=2
	s_delay_alu instid0(SALU_CYCLE_1) | instskip(SKIP_2) | instid1(VALU_DEP_1)
	s_or_b32 exec_lo, exec_lo, s25
	v_and_b32_e32 v130, 0xff, v128
	s_and_not1_b32 vcc_lo, exec_lo, s23
	v_cmp_lt_i16_e64 s7, 0x7f, v130
	s_cbranch_vccnz .LBB4_5690
; %bb.5681:                             ;   in Loop: Header=BB4_5448 Depth=2
	s_mov_b32 s25, 0
                                        ; implicit-def: $sgpr26
	s_delay_alu instid0(VALU_DEP_1) | instskip(NEXT) | instid1(SALU_CYCLE_1)
	s_and_saveexec_b32 s27, s7
	s_xor_b32 s7, exec_lo, s27
	s_cbranch_execnz .LBB4_6038
; %bb.5682:                             ;   in Loop: Header=BB4_5448 Depth=2
	s_or_saveexec_b32 s7, s7
	v_mov_b32_e32 v131, s26
	s_xor_b32 exec_lo, exec_lo, s7
	s_cbranch_execnz .LBB4_6041
.LBB4_5683:                             ;   in Loop: Header=BB4_5448 Depth=2
	s_or_b32 exec_lo, exec_lo, s7
	s_and_saveexec_b32 s7, s25
	s_cbranch_execz .LBB4_5685
.LBB4_5684:                             ;   in Loop: Header=BB4_5448 Depth=2
	v_and_b32_e32 v131, 7, v128
	v_lshrrev_b16 v134, 3, v128
	v_lshlrev_b32_e32 v135, 24, v128
	s_delay_alu instid0(VALU_DEP_3) | instskip(NEXT) | instid1(VALU_DEP_1)
	v_clz_i32_u32_e32 v132, v131
	v_min_u32_e32 v132, 32, v132
	s_delay_alu instid0(VALU_DEP_1) | instskip(SKIP_1) | instid1(VALU_DEP_2)
	v_subrev_nc_u32_e32 v133, 28, v132
	v_sub_nc_u32_e32 v132, 29, v132
	v_lshlrev_b32_e32 v133, v133, v128
	s_delay_alu instid0(VALU_DEP_1) | instskip(SKIP_1) | instid1(VALU_DEP_1)
	v_and_b32_e32 v133, 7, v133
	v_and_b32_e32 v134, 15, v134
	v_cmp_eq_u32_e32 vcc_lo, 0, v134
	s_delay_alu instid0(VALU_DEP_3) | instskip(SKIP_1) | instid1(VALU_DEP_2)
	v_dual_cndmask_b32 v131, v131, v133 :: v_dual_cndmask_b32 v132, v134, v132
	v_and_b32_e32 v133, 0x80000000, v135
	v_lshlrev_b32_e32 v131, 20, v131
	s_delay_alu instid0(VALU_DEP_3) | instskip(NEXT) | instid1(VALU_DEP_1)
	v_lshl_add_u32 v132, v132, 23, 0x3b800000
	v_or3_b32 v131, v133, v132, v131
.LBB4_5685:                             ;   in Loop: Header=BB4_5448 Depth=2
	s_or_b32 exec_lo, exec_lo, s7
	s_waitcnt vmcnt(7) lgkmcnt(7)
	v_and_b32_e32 v133, 0xff, v119
	s_mov_b32 s7, 0
	s_mov_b32 s26, exec_lo
                                        ; implicit-def: $sgpr25
	s_delay_alu instid0(VALU_DEP_1)
	v_cmpx_lt_i16_e64 0x7f, v133
	s_xor_b32 s26, exec_lo, s26
	s_cbranch_execnz .LBB4_6042
; %bb.5686:                             ;   in Loop: Header=BB4_5448 Depth=2
	s_or_saveexec_b32 s26, s26
	v_mov_b32_e32 v132, s25
	s_xor_b32 exec_lo, exec_lo, s26
	s_cbranch_execnz .LBB4_6045
.LBB4_5687:                             ;   in Loop: Header=BB4_5448 Depth=2
	s_or_b32 exec_lo, exec_lo, s26
	s_and_saveexec_b32 s25, s7
	s_cbranch_execz .LBB4_5689
.LBB4_5688:                             ;   in Loop: Header=BB4_5448 Depth=2
	v_lshrrev_b16 v135, 3, v119
	v_lshlrev_b32_e32 v144, 24, v119
	s_delay_alu instid0(VALU_DEP_2) | instskip(NEXT) | instid1(VALU_DEP_1)
	v_and_b32_e32 v135, 15, v135
	v_cmp_eq_u32_e32 vcc_lo, 0, v135
	v_and_b32_e32 v132, 7, v119
	s_delay_alu instid0(VALU_DEP_1) | instskip(NEXT) | instid1(VALU_DEP_1)
	v_clz_i32_u32_e32 v133, v132
	v_min_u32_e32 v133, 32, v133
	s_delay_alu instid0(VALU_DEP_1) | instskip(SKIP_1) | instid1(VALU_DEP_1)
	v_subrev_nc_u32_e32 v134, 28, v133
	v_sub_nc_u32_e32 v133, 29, v133
	v_dual_cndmask_b32 v133, v135, v133 :: v_dual_lshlrev_b32 v134, v134, v119
	s_delay_alu instid0(VALU_DEP_1) | instskip(NEXT) | instid1(VALU_DEP_2)
	v_and_b32_e32 v134, 7, v134
	v_lshl_add_u32 v133, v133, 23, 0x3b800000
	s_delay_alu instid0(VALU_DEP_2) | instskip(SKIP_1) | instid1(VALU_DEP_2)
	v_cndmask_b32_e32 v132, v132, v134, vcc_lo
	v_and_b32_e32 v134, 0x80000000, v144
	v_lshlrev_b32_e32 v132, 20, v132
	s_delay_alu instid0(VALU_DEP_1)
	v_or3_b32 v132, v134, v133, v132
.LBB4_5689:                             ;   in Loop: Header=BB4_5448 Depth=2
	s_or_b32 exec_lo, exec_lo, s25
	s_delay_alu instid0(VALU_DEP_1) | instskip(SKIP_1) | instid1(VALU_DEP_1)
	v_dual_max_f32 v132, v132, v132 :: v_dual_max_f32 v131, v131, v131
	s_mov_b32 s7, 0
	v_max_f32_e32 v131, v131, v132
	s_branch .LBB4_5691
.LBB4_5690:                             ;   in Loop: Header=BB4_5448 Depth=2
	s_mov_b32 s7, -1
                                        ; implicit-def: $vgpr131
.LBB4_5691:                             ;   in Loop: Header=BB4_5448 Depth=2
	s_delay_alu instid0(SALU_CYCLE_1)
	s_and_b32 vcc_lo, exec_lo, s7
	s_cbranch_vccz .LBB4_5701
; %bb.5692:                             ;   in Loop: Header=BB4_5448 Depth=2
	s_mov_b32 s7, 0
	s_mov_b32 s26, exec_lo
                                        ; implicit-def: $sgpr25
	v_cmpx_lt_i16_e64 0x7f, v130
	s_xor_b32 s26, exec_lo, s26
	s_cbranch_execnz .LBB4_6046
; %bb.5693:                             ;   in Loop: Header=BB4_5448 Depth=2
	s_or_saveexec_b32 s26, s26
	v_mov_b32_e32 v131, s25
	s_xor_b32 exec_lo, exec_lo, s26
	s_cbranch_execnz .LBB4_6049
.LBB4_5694:                             ;   in Loop: Header=BB4_5448 Depth=2
	s_or_b32 exec_lo, exec_lo, s26
	s_and_saveexec_b32 s25, s7
	s_cbranch_execz .LBB4_5696
.LBB4_5695:                             ;   in Loop: Header=BB4_5448 Depth=2
	v_lshrrev_b16 v133, 3, v128
	s_delay_alu instid0(VALU_DEP_1) | instskip(NEXT) | instid1(VALU_DEP_1)
	v_and_b32_e32 v133, 15, v133
	v_cmp_eq_u32_e32 vcc_lo, 0, v133
	v_and_b32_e32 v130, 7, v128
	s_delay_alu instid0(VALU_DEP_1) | instskip(NEXT) | instid1(VALU_DEP_1)
	v_clz_i32_u32_e32 v131, v130
	v_min_u32_e32 v131, 32, v131
	s_delay_alu instid0(VALU_DEP_1) | instskip(SKIP_1) | instid1(VALU_DEP_1)
	v_subrev_nc_u32_e32 v132, 28, v131
	v_sub_nc_u32_e32 v131, 29, v131
	v_dual_cndmask_b32 v131, v133, v131 :: v_dual_lshlrev_b32 v132, v132, v128
	v_lshlrev_b32_e32 v128, 24, v128
	s_delay_alu instid0(VALU_DEP_2) | instskip(NEXT) | instid1(VALU_DEP_3)
	v_and_b32_e32 v132, 7, v132
	v_lshl_add_u32 v131, v131, 23, 0x3b800000
	s_delay_alu instid0(VALU_DEP_3) | instskip(NEXT) | instid1(VALU_DEP_3)
	v_and_b32_e32 v128, 0x80000000, v128
	v_cndmask_b32_e32 v130, v130, v132, vcc_lo
	s_delay_alu instid0(VALU_DEP_1) | instskip(NEXT) | instid1(VALU_DEP_1)
	v_lshlrev_b32_e32 v130, 20, v130
	v_or3_b32 v131, v128, v131, v130
.LBB4_5696:                             ;   in Loop: Header=BB4_5448 Depth=2
	s_or_b32 exec_lo, exec_lo, s25
	s_waitcnt vmcnt(7) lgkmcnt(7)
	v_and_b32_e32 v130, 0xff, v119
	s_mov_b32 s7, 0
	s_mov_b32 s26, exec_lo
                                        ; implicit-def: $sgpr25
	s_delay_alu instid0(VALU_DEP_1)
	v_cmpx_lt_i16_e64 0x7f, v130
	s_xor_b32 s26, exec_lo, s26
	s_cbranch_execnz .LBB4_6050
; %bb.5697:                             ;   in Loop: Header=BB4_5448 Depth=2
	s_or_saveexec_b32 s26, s26
	v_mov_b32_e32 v128, s25
	s_xor_b32 exec_lo, exec_lo, s26
	s_cbranch_execnz .LBB4_6053
.LBB4_5698:                             ;   in Loop: Header=BB4_5448 Depth=2
	s_or_b32 exec_lo, exec_lo, s26
	s_and_saveexec_b32 s25, s7
	s_cbranch_execz .LBB4_5700
.LBB4_5699:                             ;   in Loop: Header=BB4_5448 Depth=2
	v_and_b32_e32 v128, 7, v119
	v_lshrrev_b16 v133, 3, v119
	s_delay_alu instid0(VALU_DEP_2) | instskip(NEXT) | instid1(VALU_DEP_1)
	v_clz_i32_u32_e32 v130, v128
	v_min_u32_e32 v130, 32, v130
	s_delay_alu instid0(VALU_DEP_1) | instskip(SKIP_1) | instid1(VALU_DEP_2)
	v_subrev_nc_u32_e32 v132, 28, v130
	v_sub_nc_u32_e32 v130, 29, v130
	v_lshlrev_b32_e32 v132, v132, v119
	s_delay_alu instid0(VALU_DEP_1) | instskip(SKIP_1) | instid1(VALU_DEP_1)
	v_and_b32_e32 v132, 7, v132
	v_and_b32_e32 v133, 15, v133
	v_cmp_eq_u32_e32 vcc_lo, 0, v133
	s_delay_alu instid0(VALU_DEP_3) | instskip(SKIP_1) | instid1(VALU_DEP_2)
	v_dual_cndmask_b32 v128, v128, v132 :: v_dual_lshlrev_b32 v119, 24, v119
	v_cndmask_b32_e32 v130, v133, v130, vcc_lo
	v_lshlrev_b32_e32 v128, 20, v128
	s_delay_alu instid0(VALU_DEP_3) | instskip(NEXT) | instid1(VALU_DEP_3)
	v_and_b32_e32 v119, 0x80000000, v119
	v_lshl_add_u32 v130, v130, 23, 0x3b800000
	s_delay_alu instid0(VALU_DEP_1)
	v_or3_b32 v128, v119, v130, v128
.LBB4_5700:                             ;   in Loop: Header=BB4_5448 Depth=2
	s_or_b32 exec_lo, exec_lo, s25
	s_delay_alu instid0(VALU_DEP_1) | instskip(NEXT) | instid1(VALU_DEP_1)
	v_dual_max_f32 v119, v128, v128 :: v_dual_max_f32 v128, v131, v131
	v_min_f32_e32 v131, v128, v119
.LBB4_5701:                             ;   in Loop: Header=BB4_5448 Depth=2
	s_waitcnt vmcnt(7) lgkmcnt(7)
	s_delay_alu instid0(VALU_DEP_1) | instskip(NEXT) | instid1(VALU_DEP_1)
	v_and_b32_e32 v119, 0x7f800000, v131
	v_cmp_ne_u32_e32 vcc_lo, 0x7f800000, v119
	v_mov_b32_e32 v119, 0x80
	s_and_saveexec_b32 s25, vcc_lo
	s_cbranch_execz .LBB4_5709
; %bb.5702:                             ;   in Loop: Header=BB4_5448 Depth=2
	v_mov_b32_e32 v119, 0
	s_mov_b32 s26, exec_lo
	v_cmpx_ne_u32_e32 0, v131
	s_cbranch_execz .LBB4_5708
; %bb.5703:                             ;   in Loop: Header=BB4_5448 Depth=2
	v_bfe_u32 v119, v131, 23, 8
	v_and_b32_e32 v128, 0x7fffff, v131
	s_delay_alu instid0(VALU_DEP_2) | instskip(SKIP_1) | instid1(VALU_DEP_3)
	v_sub_nc_u32_e32 v130, 0x78, v119
	v_cmp_gt_u32_e32 vcc_lo, 0x79, v119
	v_or_b32_e32 v132, 0x800000, v128
	s_delay_alu instid0(VALU_DEP_3) | instskip(SKIP_2) | instid1(VALU_DEP_3)
	v_cndmask_b32_e32 v130, 0, v130, vcc_lo
	v_cmp_eq_u32_e32 vcc_lo, 0, v119
	v_add_nc_u32_e32 v119, 0xffffff89, v119
	v_cndmask_b32_e64 v130, v130, 0x77, vcc_lo
	v_cndmask_b32_e32 v128, v132, v128, vcc_lo
	s_delay_alu instid0(VALU_DEP_3) | instskip(NEXT) | instid1(VALU_DEP_3)
	v_cndmask_b32_e64 v119, v119, 0xffffff8a, vcc_lo
	v_lshl_add_u32 v132, 0x100000, v130, -1
	s_delay_alu instid0(VALU_DEP_3) | instskip(SKIP_1) | instid1(VALU_DEP_4)
	v_lshrrev_b32_e32 v133, v130, v128
	v_lshlrev_b32_e64 v135, v130, 0x80000
	v_add_nc_u32_e32 v130, v130, v119
	s_delay_alu instid0(VALU_DEP_4) | instskip(NEXT) | instid1(VALU_DEP_4)
	v_and_b32_e32 v128, v132, v128
	v_bfe_u32 v134, v133, 20, 1
	s_delay_alu instid0(VALU_DEP_2) | instskip(NEXT) | instid1(VALU_DEP_2)
	v_cmp_eq_u32_e64 s7, v128, v135
	v_add_nc_u32_e32 v132, -1, v134
	s_delay_alu instid0(VALU_DEP_1) | instskip(SKIP_2) | instid1(VALU_DEP_2)
	v_cndmask_b32_e64 v128, 0, v132, s7
	v_lshrrev_b32_e32 v132, 23, v133
	s_mov_b32 s7, exec_lo
	v_add_nc_u32_e32 v128, v128, v133
	s_delay_alu instid0(VALU_DEP_2) | instskip(NEXT) | instid1(VALU_DEP_2)
	v_xor_b32_e32 v132, 1, v132
	v_and_b32_e32 v119, 0xfffff, v128
	s_delay_alu instid0(VALU_DEP_1) | instskip(NEXT) | instid1(VALU_DEP_3)
	v_add_nc_u32_e32 v128, v119, v133
                                        ; implicit-def: $vgpr119
	v_cmpx_ne_u32_e64 v130, v132
	s_xor_b32 s7, exec_lo, s7
; %bb.5704:                             ;   in Loop: Header=BB4_5448 Depth=2
	s_delay_alu instid0(VALU_DEP_2) | instskip(SKIP_2) | instid1(VALU_DEP_2)
	v_cmp_lt_u32_e32 vcc_lo, 0xffffff, v128
	v_sub_nc_u32_e32 v119, v130, v132
	v_cndmask_b32_e64 v130, 0, 1, vcc_lo
	v_add_co_ci_u32_e32 v119, vcc_lo, 0, v119, vcc_lo
	s_delay_alu instid0(VALU_DEP_2)
	v_lshrrev_b32_e32 v128, v130, v128
; %bb.5705:                             ;   in Loop: Header=BB4_5448 Depth=2
	s_and_not1_saveexec_b32 s7, s7
; %bb.5706:                             ;   in Loop: Header=BB4_5448 Depth=2
	s_delay_alu instid0(VALU_DEP_1)
	v_bfe_u32 v119, v128, 23, 1
; %bb.5707:                             ;   in Loop: Header=BB4_5448 Depth=2
	s_or_b32 exec_lo, exec_lo, s7
	v_lshrrev_b32_e32 v128, 20, v128
	s_delay_alu instid0(VALU_DEP_2) | instskip(SKIP_2) | instid1(VALU_DEP_1)
	v_cmp_gt_i32_e32 vcc_lo, 16, v119
	v_lshrrev_b32_e32 v130, 24, v131
	v_min_i32_e32 v131, 15, v119
	v_dual_cndmask_b32 v128, 7, v128 :: v_dual_lshlrev_b32 v131, 3, v131
	s_delay_alu instid0(VALU_DEP_1) | instskip(SKIP_1) | instid1(VALU_DEP_2)
	v_or_b32_e32 v119, v119, v128
	v_and_b32_e32 v132, 7, v128
	v_cmp_ne_u32_e32 vcc_lo, 0, v119
	v_and_b32_e32 v130, 0x80, v130
	s_delay_alu instid0(VALU_DEP_1) | instskip(NEXT) | instid1(VALU_DEP_1)
	v_or3_b32 v128, v131, v130, v132
	v_cndmask_b32_e32 v119, 0, v128, vcc_lo
.LBB4_5708:                             ;   in Loop: Header=BB4_5448 Depth=2
	s_or_b32 exec_lo, exec_lo, s26
.LBB4_5709:                             ;   in Loop: Header=BB4_5448 Depth=2
	s_delay_alu instid0(SALU_CYCLE_1) | instskip(SKIP_2) | instid1(VALU_DEP_1)
	s_or_b32 exec_lo, exec_lo, s25
	v_and_b32_e32 v128, 0xff, v117
	s_and_not1_b32 vcc_lo, exec_lo, s23
	v_cmp_lt_i16_e64 s7, 0x7f, v128
	s_cbranch_vccnz .LBB4_5719
; %bb.5710:                             ;   in Loop: Header=BB4_5448 Depth=2
	s_mov_b32 s25, 0
                                        ; implicit-def: $sgpr26
	s_delay_alu instid0(VALU_DEP_1) | instskip(NEXT) | instid1(SALU_CYCLE_1)
	s_and_saveexec_b32 s27, s7
	s_xor_b32 s7, exec_lo, s27
	s_cbranch_execnz .LBB4_6054
; %bb.5711:                             ;   in Loop: Header=BB4_5448 Depth=2
	s_or_saveexec_b32 s7, s7
	v_mov_b32_e32 v130, s26
	s_xor_b32 exec_lo, exec_lo, s7
	s_cbranch_execnz .LBB4_6057
.LBB4_5712:                             ;   in Loop: Header=BB4_5448 Depth=2
	s_or_b32 exec_lo, exec_lo, s7
	s_and_saveexec_b32 s7, s25
	s_cbranch_execz .LBB4_5714
.LBB4_5713:                             ;   in Loop: Header=BB4_5448 Depth=2
	v_lshrrev_b16 v133, 3, v117
	v_lshlrev_b32_e32 v134, 24, v117
	s_delay_alu instid0(VALU_DEP_2) | instskip(NEXT) | instid1(VALU_DEP_1)
	v_and_b32_e32 v133, 15, v133
	v_cmp_eq_u32_e32 vcc_lo, 0, v133
	v_and_b32_e32 v130, 7, v117
	s_delay_alu instid0(VALU_DEP_1) | instskip(NEXT) | instid1(VALU_DEP_1)
	v_clz_i32_u32_e32 v131, v130
	v_min_u32_e32 v131, 32, v131
	s_delay_alu instid0(VALU_DEP_1) | instskip(SKIP_1) | instid1(VALU_DEP_1)
	v_subrev_nc_u32_e32 v132, 28, v131
	v_sub_nc_u32_e32 v131, 29, v131
	v_dual_cndmask_b32 v131, v133, v131 :: v_dual_lshlrev_b32 v132, v132, v117
	s_delay_alu instid0(VALU_DEP_1) | instskip(NEXT) | instid1(VALU_DEP_2)
	v_and_b32_e32 v132, 7, v132
	v_lshl_add_u32 v131, v131, 23, 0x3b800000
	s_delay_alu instid0(VALU_DEP_2) | instskip(SKIP_1) | instid1(VALU_DEP_2)
	v_cndmask_b32_e32 v130, v130, v132, vcc_lo
	v_and_b32_e32 v132, 0x80000000, v134
	v_lshlrev_b32_e32 v130, 20, v130
	s_delay_alu instid0(VALU_DEP_1)
	v_or3_b32 v130, v132, v131, v130
.LBB4_5714:                             ;   in Loop: Header=BB4_5448 Depth=2
	s_or_b32 exec_lo, exec_lo, s7
	s_waitcnt vmcnt(6) lgkmcnt(6)
	v_and_b32_e32 v132, 0xff, v116
	s_mov_b32 s7, 0
	s_mov_b32 s26, exec_lo
                                        ; implicit-def: $sgpr25
	s_delay_alu instid0(VALU_DEP_1)
	v_cmpx_lt_i16_e64 0x7f, v132
	s_xor_b32 s26, exec_lo, s26
	s_cbranch_execnz .LBB4_6058
; %bb.5715:                             ;   in Loop: Header=BB4_5448 Depth=2
	s_or_saveexec_b32 s26, s26
	v_mov_b32_e32 v131, s25
	s_xor_b32 exec_lo, exec_lo, s26
	s_cbranch_execnz .LBB4_6061
.LBB4_5716:                             ;   in Loop: Header=BB4_5448 Depth=2
	s_or_b32 exec_lo, exec_lo, s26
	s_and_saveexec_b32 s25, s7
	s_cbranch_execz .LBB4_5718
.LBB4_5717:                             ;   in Loop: Header=BB4_5448 Depth=2
	v_and_b32_e32 v131, 7, v116
	v_lshrrev_b16 v134, 3, v116
	v_lshlrev_b32_e32 v135, 24, v116
	s_delay_alu instid0(VALU_DEP_3) | instskip(NEXT) | instid1(VALU_DEP_1)
	v_clz_i32_u32_e32 v132, v131
	v_min_u32_e32 v132, 32, v132
	s_delay_alu instid0(VALU_DEP_1) | instskip(SKIP_1) | instid1(VALU_DEP_2)
	v_subrev_nc_u32_e32 v133, 28, v132
	v_sub_nc_u32_e32 v132, 29, v132
	v_lshlrev_b32_e32 v133, v133, v116
	s_delay_alu instid0(VALU_DEP_1) | instskip(SKIP_1) | instid1(VALU_DEP_1)
	v_and_b32_e32 v133, 7, v133
	v_and_b32_e32 v134, 15, v134
	v_cmp_eq_u32_e32 vcc_lo, 0, v134
	s_delay_alu instid0(VALU_DEP_3) | instskip(SKIP_1) | instid1(VALU_DEP_2)
	v_dual_cndmask_b32 v131, v131, v133 :: v_dual_cndmask_b32 v132, v134, v132
	v_and_b32_e32 v133, 0x80000000, v135
	v_lshlrev_b32_e32 v131, 20, v131
	s_delay_alu instid0(VALU_DEP_3) | instskip(NEXT) | instid1(VALU_DEP_1)
	v_lshl_add_u32 v132, v132, 23, 0x3b800000
	v_or3_b32 v131, v133, v132, v131
.LBB4_5718:                             ;   in Loop: Header=BB4_5448 Depth=2
	s_or_b32 exec_lo, exec_lo, s25
	s_delay_alu instid0(VALU_DEP_1) | instskip(SKIP_1) | instid1(VALU_DEP_1)
	v_dual_max_f32 v131, v131, v131 :: v_dual_max_f32 v130, v130, v130
	s_mov_b32 s7, 0
	v_max_f32_e32 v130, v130, v131
	s_branch .LBB4_5720
.LBB4_5719:                             ;   in Loop: Header=BB4_5448 Depth=2
	s_mov_b32 s7, -1
                                        ; implicit-def: $vgpr130
.LBB4_5720:                             ;   in Loop: Header=BB4_5448 Depth=2
	s_delay_alu instid0(SALU_CYCLE_1)
	s_and_b32 vcc_lo, exec_lo, s7
	s_cbranch_vccz .LBB4_5730
; %bb.5721:                             ;   in Loop: Header=BB4_5448 Depth=2
	s_mov_b32 s7, 0
	s_mov_b32 s26, exec_lo
                                        ; implicit-def: $sgpr25
	v_cmpx_lt_i16_e64 0x7f, v128
	s_xor_b32 s26, exec_lo, s26
	s_cbranch_execnz .LBB4_6062
; %bb.5722:                             ;   in Loop: Header=BB4_5448 Depth=2
	s_or_saveexec_b32 s26, s26
	v_mov_b32_e32 v130, s25
	s_xor_b32 exec_lo, exec_lo, s26
	s_cbranch_execnz .LBB4_6065
.LBB4_5723:                             ;   in Loop: Header=BB4_5448 Depth=2
	s_or_b32 exec_lo, exec_lo, s26
	s_and_saveexec_b32 s25, s7
	s_cbranch_execz .LBB4_5725
.LBB4_5724:                             ;   in Loop: Header=BB4_5448 Depth=2
	v_and_b32_e32 v128, 7, v117
	v_lshrrev_b16 v132, 3, v117
	s_delay_alu instid0(VALU_DEP_2) | instskip(NEXT) | instid1(VALU_DEP_2)
	v_clz_i32_u32_e32 v130, v128
	v_and_b32_e32 v132, 15, v132
	s_delay_alu instid0(VALU_DEP_2) | instskip(NEXT) | instid1(VALU_DEP_2)
	v_min_u32_e32 v130, 32, v130
	v_cmp_eq_u32_e32 vcc_lo, 0, v132
	s_delay_alu instid0(VALU_DEP_2) | instskip(SKIP_1) | instid1(VALU_DEP_1)
	v_subrev_nc_u32_e32 v131, 28, v130
	v_sub_nc_u32_e32 v130, 29, v130
	v_dual_cndmask_b32 v130, v132, v130 :: v_dual_lshlrev_b32 v131, v131, v117
	s_delay_alu instid0(VALU_DEP_1) | instskip(SKIP_1) | instid1(VALU_DEP_3)
	v_and_b32_e32 v131, 7, v131
	v_lshlrev_b32_e32 v117, 24, v117
	v_lshl_add_u32 v130, v130, 23, 0x3b800000
	s_delay_alu instid0(VALU_DEP_2) | instskip(NEXT) | instid1(VALU_DEP_1)
	v_dual_cndmask_b32 v128, v128, v131 :: v_dual_and_b32 v117, 0x80000000, v117
	v_lshlrev_b32_e32 v128, 20, v128
	s_delay_alu instid0(VALU_DEP_1)
	v_or3_b32 v130, v117, v130, v128
.LBB4_5725:                             ;   in Loop: Header=BB4_5448 Depth=2
	s_or_b32 exec_lo, exec_lo, s25
	s_waitcnt vmcnt(6) lgkmcnt(6)
	v_and_b32_e32 v128, 0xff, v116
	s_mov_b32 s7, 0
	s_mov_b32 s26, exec_lo
                                        ; implicit-def: $sgpr25
	s_delay_alu instid0(VALU_DEP_1)
	v_cmpx_lt_i16_e64 0x7f, v128
	s_xor_b32 s26, exec_lo, s26
	s_cbranch_execnz .LBB4_6066
; %bb.5726:                             ;   in Loop: Header=BB4_5448 Depth=2
	s_or_saveexec_b32 s26, s26
	v_mov_b32_e32 v117, s25
	s_xor_b32 exec_lo, exec_lo, s26
	s_cbranch_execnz .LBB4_6069
.LBB4_5727:                             ;   in Loop: Header=BB4_5448 Depth=2
	s_or_b32 exec_lo, exec_lo, s26
	s_and_saveexec_b32 s25, s7
	s_cbranch_execz .LBB4_5729
.LBB4_5728:                             ;   in Loop: Header=BB4_5448 Depth=2
	v_and_b32_e32 v117, 7, v116
	v_lshrrev_b16 v132, 3, v116
	s_delay_alu instid0(VALU_DEP_2) | instskip(NEXT) | instid1(VALU_DEP_1)
	v_clz_i32_u32_e32 v128, v117
	v_min_u32_e32 v128, 32, v128
	s_delay_alu instid0(VALU_DEP_1) | instskip(SKIP_1) | instid1(VALU_DEP_2)
	v_subrev_nc_u32_e32 v131, 28, v128
	v_sub_nc_u32_e32 v128, 29, v128
	v_lshlrev_b32_e32 v131, v131, v116
	v_lshlrev_b32_e32 v116, 24, v116
	s_delay_alu instid0(VALU_DEP_2) | instskip(SKIP_1) | instid1(VALU_DEP_3)
	v_and_b32_e32 v131, 7, v131
	v_and_b32_e32 v132, 15, v132
	;; [unrolled: 1-line block ×3, first 2 shown]
	s_delay_alu instid0(VALU_DEP_2) | instskip(NEXT) | instid1(VALU_DEP_4)
	v_cmp_eq_u32_e32 vcc_lo, 0, v132
	v_dual_cndmask_b32 v117, v117, v131 :: v_dual_cndmask_b32 v128, v132, v128
	s_delay_alu instid0(VALU_DEP_1) | instskip(NEXT) | instid1(VALU_DEP_2)
	v_lshlrev_b32_e32 v117, 20, v117
	v_lshl_add_u32 v128, v128, 23, 0x3b800000
	s_delay_alu instid0(VALU_DEP_1)
	v_or3_b32 v117, v116, v128, v117
.LBB4_5729:                             ;   in Loop: Header=BB4_5448 Depth=2
	s_or_b32 exec_lo, exec_lo, s25
	s_delay_alu instid0(VALU_DEP_1) | instskip(NEXT) | instid1(VALU_DEP_1)
	v_dual_max_f32 v116, v117, v117 :: v_dual_max_f32 v117, v130, v130
	v_min_f32_e32 v130, v117, v116
.LBB4_5730:                             ;   in Loop: Header=BB4_5448 Depth=2
	s_waitcnt vmcnt(6) lgkmcnt(6)
	s_delay_alu instid0(VALU_DEP_1) | instskip(NEXT) | instid1(VALU_DEP_1)
	v_and_b32_e32 v116, 0x7f800000, v130
	v_cmp_ne_u32_e32 vcc_lo, 0x7f800000, v116
	v_mov_b32_e32 v116, 0x80
	s_and_saveexec_b32 s25, vcc_lo
	s_cbranch_execz .LBB4_5738
; %bb.5731:                             ;   in Loop: Header=BB4_5448 Depth=2
	v_mov_b32_e32 v116, 0
	s_mov_b32 s26, exec_lo
	v_cmpx_ne_u32_e32 0, v130
	s_cbranch_execz .LBB4_5737
; %bb.5732:                             ;   in Loop: Header=BB4_5448 Depth=2
	v_bfe_u32 v116, v130, 23, 8
	s_delay_alu instid0(VALU_DEP_1) | instskip(SKIP_1) | instid1(VALU_DEP_2)
	v_sub_nc_u32_e32 v128, 0x78, v116
	v_cmp_gt_u32_e32 vcc_lo, 0x79, v116
	v_dual_cndmask_b32 v128, 0, v128 :: v_dual_and_b32 v117, 0x7fffff, v130
	s_delay_alu instid0(VALU_DEP_1) | instskip(SKIP_2) | instid1(VALU_DEP_4)
	v_or_b32_e32 v131, 0x800000, v117
	v_cmp_eq_u32_e32 vcc_lo, 0, v116
	v_add_nc_u32_e32 v116, 0xffffff89, v116
	v_cndmask_b32_e64 v128, v128, 0x77, vcc_lo
	s_delay_alu instid0(VALU_DEP_4) | instskip(NEXT) | instid1(VALU_DEP_3)
	v_cndmask_b32_e32 v117, v131, v117, vcc_lo
	v_cndmask_b32_e64 v116, v116, 0xffffff8a, vcc_lo
	s_delay_alu instid0(VALU_DEP_3) | instskip(NEXT) | instid1(VALU_DEP_3)
	v_lshl_add_u32 v131, 0x100000, v128, -1
	v_lshrrev_b32_e32 v132, v128, v117
	v_lshlrev_b32_e64 v134, v128, 0x80000
	s_delay_alu instid0(VALU_DEP_4) | instskip(NEXT) | instid1(VALU_DEP_4)
	v_add_nc_u32_e32 v128, v128, v116
	v_and_b32_e32 v117, v131, v117
	s_delay_alu instid0(VALU_DEP_4) | instskip(NEXT) | instid1(VALU_DEP_2)
	v_bfe_u32 v133, v132, 20, 1
	v_cmp_eq_u32_e64 s7, v117, v134
	s_delay_alu instid0(VALU_DEP_2) | instskip(NEXT) | instid1(VALU_DEP_1)
	v_add_nc_u32_e32 v131, -1, v133
	v_cndmask_b32_e64 v117, 0, v131, s7
	v_lshrrev_b32_e32 v131, 23, v132
	s_mov_b32 s7, exec_lo
	s_delay_alu instid0(VALU_DEP_2) | instskip(NEXT) | instid1(VALU_DEP_2)
	v_add_nc_u32_e32 v117, v117, v132
	v_xor_b32_e32 v131, 1, v131
	s_delay_alu instid0(VALU_DEP_2) | instskip(NEXT) | instid1(VALU_DEP_1)
	v_and_b32_e32 v116, 0xfffff, v117
	v_add_nc_u32_e32 v117, v116, v132
                                        ; implicit-def: $vgpr116
	s_delay_alu instid0(VALU_DEP_3)
	v_cmpx_ne_u32_e64 v128, v131
	s_xor_b32 s7, exec_lo, s7
; %bb.5733:                             ;   in Loop: Header=BB4_5448 Depth=2
	s_delay_alu instid0(VALU_DEP_2) | instskip(SKIP_2) | instid1(VALU_DEP_2)
	v_cmp_lt_u32_e32 vcc_lo, 0xffffff, v117
	v_sub_nc_u32_e32 v116, v128, v131
	v_cndmask_b32_e64 v128, 0, 1, vcc_lo
	v_add_co_ci_u32_e32 v116, vcc_lo, 0, v116, vcc_lo
	s_delay_alu instid0(VALU_DEP_2)
	v_lshrrev_b32_e32 v117, v128, v117
; %bb.5734:                             ;   in Loop: Header=BB4_5448 Depth=2
	s_and_not1_saveexec_b32 s7, s7
; %bb.5735:                             ;   in Loop: Header=BB4_5448 Depth=2
	s_delay_alu instid0(VALU_DEP_1)
	v_bfe_u32 v116, v117, 23, 1
; %bb.5736:                             ;   in Loop: Header=BB4_5448 Depth=2
	s_or_b32 exec_lo, exec_lo, s7
	v_lshrrev_b32_e32 v117, 20, v117
	s_delay_alu instid0(VALU_DEP_2) | instskip(SKIP_2) | instid1(VALU_DEP_2)
	v_cmp_gt_i32_e32 vcc_lo, 16, v116
	v_lshrrev_b32_e32 v128, 24, v130
	v_min_i32_e32 v130, 15, v116
	v_dual_cndmask_b32 v117, 7, v117 :: v_dual_and_b32 v128, 0x80, v128
	s_delay_alu instid0(VALU_DEP_2) | instskip(NEXT) | instid1(VALU_DEP_2)
	v_lshlrev_b32_e32 v130, 3, v130
	v_and_b32_e32 v131, 7, v117
	v_or_b32_e32 v116, v116, v117
	s_delay_alu instid0(VALU_DEP_2) | instskip(NEXT) | instid1(VALU_DEP_2)
	v_or3_b32 v117, v130, v128, v131
	v_cmp_ne_u32_e32 vcc_lo, 0, v116
	s_delay_alu instid0(VALU_DEP_2)
	v_cndmask_b32_e32 v116, 0, v117, vcc_lo
.LBB4_5737:                             ;   in Loop: Header=BB4_5448 Depth=2
	s_or_b32 exec_lo, exec_lo, s26
.LBB4_5738:                             ;   in Loop: Header=BB4_5448 Depth=2
	s_delay_alu instid0(SALU_CYCLE_1) | instskip(SKIP_2) | instid1(VALU_DEP_1)
	s_or_b32 exec_lo, exec_lo, s25
	v_and_b32_e32 v117, 0xff, v114
	s_and_not1_b32 vcc_lo, exec_lo, s23
	v_cmp_lt_i16_e64 s7, 0x7f, v117
	s_cbranch_vccnz .LBB4_5748
; %bb.5739:                             ;   in Loop: Header=BB4_5448 Depth=2
	s_mov_b32 s25, 0
                                        ; implicit-def: $sgpr26
	s_delay_alu instid0(VALU_DEP_1) | instskip(NEXT) | instid1(SALU_CYCLE_1)
	s_and_saveexec_b32 s27, s7
	s_xor_b32 s7, exec_lo, s27
	s_cbranch_execnz .LBB4_6070
; %bb.5740:                             ;   in Loop: Header=BB4_5448 Depth=2
	s_or_saveexec_b32 s7, s7
	v_mov_b32_e32 v128, s26
	s_xor_b32 exec_lo, exec_lo, s7
	s_cbranch_execnz .LBB4_6073
.LBB4_5741:                             ;   in Loop: Header=BB4_5448 Depth=2
	s_or_b32 exec_lo, exec_lo, s7
	s_and_saveexec_b32 s7, s25
	s_cbranch_execz .LBB4_5743
.LBB4_5742:                             ;   in Loop: Header=BB4_5448 Depth=2
	v_and_b32_e32 v128, 7, v114
	v_lshrrev_b16 v132, 3, v114
	s_delay_alu instid0(VALU_DEP_2) | instskip(NEXT) | instid1(VALU_DEP_2)
	v_clz_i32_u32_e32 v130, v128
	v_and_b32_e32 v132, 15, v132
	s_delay_alu instid0(VALU_DEP_2) | instskip(NEXT) | instid1(VALU_DEP_2)
	v_min_u32_e32 v130, 32, v130
	v_cmp_eq_u32_e32 vcc_lo, 0, v132
	s_delay_alu instid0(VALU_DEP_2) | instskip(SKIP_1) | instid1(VALU_DEP_2)
	v_subrev_nc_u32_e32 v131, 28, v130
	v_sub_nc_u32_e32 v130, 29, v130
	v_lshlrev_b32_e32 v131, v131, v114
	s_delay_alu instid0(VALU_DEP_1) | instskip(SKIP_1) | instid1(VALU_DEP_2)
	v_dual_cndmask_b32 v130, v132, v130 :: v_dual_and_b32 v131, 7, v131
	v_lshlrev_b32_e32 v133, 24, v114
	v_lshl_add_u32 v130, v130, 23, 0x3b800000
	s_delay_alu instid0(VALU_DEP_2) | instskip(NEXT) | instid1(VALU_DEP_1)
	v_dual_cndmask_b32 v128, v128, v131 :: v_dual_and_b32 v131, 0x80000000, v133
	v_lshlrev_b32_e32 v128, 20, v128
	s_delay_alu instid0(VALU_DEP_1)
	v_or3_b32 v128, v131, v130, v128
.LBB4_5743:                             ;   in Loop: Header=BB4_5448 Depth=2
	s_or_b32 exec_lo, exec_lo, s7
	s_waitcnt vmcnt(5) lgkmcnt(5)
	v_and_b32_e32 v131, 0xff, v113
	s_mov_b32 s7, 0
	s_mov_b32 s26, exec_lo
                                        ; implicit-def: $sgpr25
	s_delay_alu instid0(VALU_DEP_1)
	v_cmpx_lt_i16_e64 0x7f, v131
	s_xor_b32 s26, exec_lo, s26
	s_cbranch_execnz .LBB4_6074
; %bb.5744:                             ;   in Loop: Header=BB4_5448 Depth=2
	s_or_saveexec_b32 s26, s26
	v_mov_b32_e32 v130, s25
	s_xor_b32 exec_lo, exec_lo, s26
	s_cbranch_execnz .LBB4_6077
.LBB4_5745:                             ;   in Loop: Header=BB4_5448 Depth=2
	s_or_b32 exec_lo, exec_lo, s26
	s_and_saveexec_b32 s25, s7
	s_cbranch_execz .LBB4_5747
.LBB4_5746:                             ;   in Loop: Header=BB4_5448 Depth=2
	v_lshrrev_b16 v133, 3, v113
	v_lshlrev_b32_e32 v134, 24, v113
	s_delay_alu instid0(VALU_DEP_2) | instskip(NEXT) | instid1(VALU_DEP_1)
	v_and_b32_e32 v133, 15, v133
	v_cmp_eq_u32_e32 vcc_lo, 0, v133
	v_and_b32_e32 v130, 7, v113
	s_delay_alu instid0(VALU_DEP_1) | instskip(NEXT) | instid1(VALU_DEP_1)
	v_clz_i32_u32_e32 v131, v130
	v_min_u32_e32 v131, 32, v131
	s_delay_alu instid0(VALU_DEP_1) | instskip(SKIP_1) | instid1(VALU_DEP_1)
	v_subrev_nc_u32_e32 v132, 28, v131
	v_sub_nc_u32_e32 v131, 29, v131
	v_dual_cndmask_b32 v131, v133, v131 :: v_dual_lshlrev_b32 v132, v132, v113
	s_delay_alu instid0(VALU_DEP_1) | instskip(NEXT) | instid1(VALU_DEP_2)
	v_and_b32_e32 v132, 7, v132
	v_lshl_add_u32 v131, v131, 23, 0x3b800000
	s_delay_alu instid0(VALU_DEP_2) | instskip(SKIP_1) | instid1(VALU_DEP_2)
	v_cndmask_b32_e32 v130, v130, v132, vcc_lo
	v_and_b32_e32 v132, 0x80000000, v134
	v_lshlrev_b32_e32 v130, 20, v130
	s_delay_alu instid0(VALU_DEP_1)
	v_or3_b32 v130, v132, v131, v130
.LBB4_5747:                             ;   in Loop: Header=BB4_5448 Depth=2
	s_or_b32 exec_lo, exec_lo, s25
	s_delay_alu instid0(VALU_DEP_1) | instskip(SKIP_2) | instid1(VALU_DEP_1)
	v_max_f32_e32 v130, v130, v130
	v_max_f32_e32 v128, v128, v128
	s_mov_b32 s7, 0
	v_max_f32_e32 v128, v128, v130
	s_branch .LBB4_5749
.LBB4_5748:                             ;   in Loop: Header=BB4_5448 Depth=2
	s_mov_b32 s7, -1
                                        ; implicit-def: $vgpr128
.LBB4_5749:                             ;   in Loop: Header=BB4_5448 Depth=2
	s_delay_alu instid0(SALU_CYCLE_1)
	s_and_b32 vcc_lo, exec_lo, s7
	s_cbranch_vccz .LBB4_5759
; %bb.5750:                             ;   in Loop: Header=BB4_5448 Depth=2
	s_mov_b32 s7, 0
	s_mov_b32 s26, exec_lo
                                        ; implicit-def: $sgpr25
	v_cmpx_lt_i16_e32 0x7f, v117
	s_xor_b32 s26, exec_lo, s26
	s_cbranch_execnz .LBB4_6078
; %bb.5751:                             ;   in Loop: Header=BB4_5448 Depth=2
	s_or_saveexec_b32 s26, s26
	v_mov_b32_e32 v128, s25
	s_xor_b32 exec_lo, exec_lo, s26
	s_cbranch_execnz .LBB4_6081
.LBB4_5752:                             ;   in Loop: Header=BB4_5448 Depth=2
	s_or_b32 exec_lo, exec_lo, s26
	s_and_saveexec_b32 s25, s7
	s_cbranch_execz .LBB4_5754
.LBB4_5753:                             ;   in Loop: Header=BB4_5448 Depth=2
	v_lshrrev_b16 v131, 3, v114
	s_delay_alu instid0(VALU_DEP_1) | instskip(NEXT) | instid1(VALU_DEP_1)
	v_and_b32_e32 v131, 15, v131
	v_cmp_eq_u32_e32 vcc_lo, 0, v131
	v_and_b32_e32 v117, 7, v114
	s_delay_alu instid0(VALU_DEP_1) | instskip(NEXT) | instid1(VALU_DEP_1)
	v_clz_i32_u32_e32 v128, v117
	v_min_u32_e32 v128, 32, v128
	s_delay_alu instid0(VALU_DEP_1) | instskip(SKIP_1) | instid1(VALU_DEP_2)
	v_subrev_nc_u32_e32 v130, 28, v128
	v_sub_nc_u32_e32 v128, 29, v128
	v_lshlrev_b32_e32 v130, v130, v114
	s_delay_alu instid0(VALU_DEP_2) | instskip(SKIP_1) | instid1(VALU_DEP_3)
	v_cndmask_b32_e32 v128, v131, v128, vcc_lo
	v_lshlrev_b32_e32 v114, 24, v114
	v_and_b32_e32 v130, 7, v130
	s_delay_alu instid0(VALU_DEP_3) | instskip(NEXT) | instid1(VALU_DEP_3)
	v_lshl_add_u32 v128, v128, 23, 0x3b800000
	v_and_b32_e32 v114, 0x80000000, v114
	s_delay_alu instid0(VALU_DEP_3) | instskip(NEXT) | instid1(VALU_DEP_1)
	v_cndmask_b32_e32 v117, v117, v130, vcc_lo
	v_lshlrev_b32_e32 v117, 20, v117
	s_delay_alu instid0(VALU_DEP_1)
	v_or3_b32 v128, v114, v128, v117
.LBB4_5754:                             ;   in Loop: Header=BB4_5448 Depth=2
	s_or_b32 exec_lo, exec_lo, s25
	s_waitcnt vmcnt(5) lgkmcnt(5)
	v_and_b32_e32 v117, 0xff, v113
	s_mov_b32 s7, 0
	s_mov_b32 s26, exec_lo
                                        ; implicit-def: $sgpr25
	s_delay_alu instid0(VALU_DEP_1)
	v_cmpx_lt_i16_e32 0x7f, v117
	s_xor_b32 s26, exec_lo, s26
	s_cbranch_execnz .LBB4_6082
; %bb.5755:                             ;   in Loop: Header=BB4_5448 Depth=2
	s_or_saveexec_b32 s26, s26
	v_mov_b32_e32 v114, s25
	s_xor_b32 exec_lo, exec_lo, s26
	s_cbranch_execnz .LBB4_6085
.LBB4_5756:                             ;   in Loop: Header=BB4_5448 Depth=2
	s_or_b32 exec_lo, exec_lo, s26
	s_and_saveexec_b32 s25, s7
	s_cbranch_execz .LBB4_5758
.LBB4_5757:                             ;   in Loop: Header=BB4_5448 Depth=2
	v_and_b32_e32 v114, 7, v113
	v_lshrrev_b16 v131, 3, v113
	s_delay_alu instid0(VALU_DEP_2) | instskip(NEXT) | instid1(VALU_DEP_1)
	v_clz_i32_u32_e32 v117, v114
	v_min_u32_e32 v117, 32, v117
	s_delay_alu instid0(VALU_DEP_1) | instskip(SKIP_1) | instid1(VALU_DEP_2)
	v_subrev_nc_u32_e32 v130, 28, v117
	v_sub_nc_u32_e32 v117, 29, v117
	v_lshlrev_b32_e32 v130, v130, v113
	v_lshlrev_b32_e32 v113, 24, v113
	s_delay_alu instid0(VALU_DEP_2) | instskip(SKIP_1) | instid1(VALU_DEP_3)
	v_and_b32_e32 v130, 7, v130
	v_and_b32_e32 v131, 15, v131
	;; [unrolled: 1-line block ×3, first 2 shown]
	s_delay_alu instid0(VALU_DEP_2) | instskip(NEXT) | instid1(VALU_DEP_4)
	v_cmp_eq_u32_e32 vcc_lo, 0, v131
	v_dual_cndmask_b32 v114, v114, v130 :: v_dual_cndmask_b32 v117, v131, v117
	s_delay_alu instid0(VALU_DEP_1) | instskip(NEXT) | instid1(VALU_DEP_2)
	v_lshlrev_b32_e32 v114, 20, v114
	v_lshl_add_u32 v117, v117, 23, 0x3b800000
	s_delay_alu instid0(VALU_DEP_1)
	v_or3_b32 v114, v113, v117, v114
.LBB4_5758:                             ;   in Loop: Header=BB4_5448 Depth=2
	s_or_b32 exec_lo, exec_lo, s25
	s_delay_alu instid0(VALU_DEP_1) | instskip(NEXT) | instid1(VALU_DEP_1)
	v_dual_max_f32 v113, v114, v114 :: v_dual_max_f32 v114, v128, v128
	v_min_f32_e32 v128, v114, v113
.LBB4_5759:                             ;   in Loop: Header=BB4_5448 Depth=2
	s_waitcnt vmcnt(5) lgkmcnt(5)
	s_delay_alu instid0(VALU_DEP_1) | instskip(NEXT) | instid1(VALU_DEP_1)
	v_and_b32_e32 v113, 0x7f800000, v128
	v_cmp_ne_u32_e32 vcc_lo, 0x7f800000, v113
	v_mov_b32_e32 v113, 0x80
	s_and_saveexec_b32 s25, vcc_lo
	s_cbranch_execz .LBB4_5767
; %bb.5760:                             ;   in Loop: Header=BB4_5448 Depth=2
	v_mov_b32_e32 v113, 0
	s_mov_b32 s26, exec_lo
	v_cmpx_ne_u32_e32 0, v128
	s_cbranch_execz .LBB4_5766
; %bb.5761:                             ;   in Loop: Header=BB4_5448 Depth=2
	v_bfe_u32 v113, v128, 23, 8
	s_delay_alu instid0(VALU_DEP_1) | instskip(SKIP_1) | instid1(VALU_DEP_2)
	v_sub_nc_u32_e32 v117, 0x78, v113
	v_cmp_gt_u32_e32 vcc_lo, 0x79, v113
	v_dual_cndmask_b32 v117, 0, v117 :: v_dual_and_b32 v114, 0x7fffff, v128
	s_delay_alu instid0(VALU_DEP_1) | instskip(SKIP_2) | instid1(VALU_DEP_4)
	v_or_b32_e32 v130, 0x800000, v114
	v_cmp_eq_u32_e32 vcc_lo, 0, v113
	v_add_nc_u32_e32 v113, 0xffffff89, v113
	v_cndmask_b32_e64 v117, v117, 0x77, vcc_lo
	s_delay_alu instid0(VALU_DEP_4) | instskip(NEXT) | instid1(VALU_DEP_3)
	v_cndmask_b32_e32 v114, v130, v114, vcc_lo
	v_cndmask_b32_e64 v113, v113, 0xffffff8a, vcc_lo
	s_delay_alu instid0(VALU_DEP_3) | instskip(NEXT) | instid1(VALU_DEP_3)
	v_lshl_add_u32 v130, 0x100000, v117, -1
	v_lshrrev_b32_e32 v131, v117, v114
	v_lshlrev_b32_e64 v133, v117, 0x80000
	s_delay_alu instid0(VALU_DEP_4) | instskip(NEXT) | instid1(VALU_DEP_4)
	v_add_nc_u32_e32 v117, v117, v113
	v_and_b32_e32 v114, v130, v114
	s_delay_alu instid0(VALU_DEP_4) | instskip(NEXT) | instid1(VALU_DEP_2)
	v_bfe_u32 v132, v131, 20, 1
	v_cmp_eq_u32_e64 s7, v114, v133
	s_delay_alu instid0(VALU_DEP_2) | instskip(NEXT) | instid1(VALU_DEP_1)
	v_add_nc_u32_e32 v130, -1, v132
	v_cndmask_b32_e64 v114, 0, v130, s7
	v_lshrrev_b32_e32 v130, 23, v131
	s_mov_b32 s7, exec_lo
	s_delay_alu instid0(VALU_DEP_2) | instskip(NEXT) | instid1(VALU_DEP_2)
	v_add_nc_u32_e32 v114, v114, v131
	v_xor_b32_e32 v130, 1, v130
	s_delay_alu instid0(VALU_DEP_2) | instskip(NEXT) | instid1(VALU_DEP_1)
	v_and_b32_e32 v113, 0xfffff, v114
	v_add_nc_u32_e32 v114, v113, v131
                                        ; implicit-def: $vgpr113
	s_delay_alu instid0(VALU_DEP_3)
	v_cmpx_ne_u32_e64 v117, v130
	s_xor_b32 s7, exec_lo, s7
; %bb.5762:                             ;   in Loop: Header=BB4_5448 Depth=2
	s_delay_alu instid0(VALU_DEP_2) | instskip(SKIP_2) | instid1(VALU_DEP_2)
	v_cmp_lt_u32_e32 vcc_lo, 0xffffff, v114
	v_sub_nc_u32_e32 v113, v117, v130
	v_cndmask_b32_e64 v117, 0, 1, vcc_lo
	v_add_co_ci_u32_e32 v113, vcc_lo, 0, v113, vcc_lo
	s_delay_alu instid0(VALU_DEP_2)
	v_lshrrev_b32_e32 v114, v117, v114
; %bb.5763:                             ;   in Loop: Header=BB4_5448 Depth=2
	s_and_not1_saveexec_b32 s7, s7
; %bb.5764:                             ;   in Loop: Header=BB4_5448 Depth=2
	s_delay_alu instid0(VALU_DEP_1)
	v_bfe_u32 v113, v114, 23, 1
; %bb.5765:                             ;   in Loop: Header=BB4_5448 Depth=2
	s_or_b32 exec_lo, exec_lo, s7
	v_lshrrev_b32_e32 v114, 20, v114
	s_delay_alu instid0(VALU_DEP_2) | instskip(SKIP_2) | instid1(VALU_DEP_2)
	v_cmp_gt_i32_e32 vcc_lo, 16, v113
	v_lshrrev_b32_e32 v117, 24, v128
	v_min_i32_e32 v128, 15, v113
	v_dual_cndmask_b32 v114, 7, v114 :: v_dual_and_b32 v117, 0x80, v117
	s_delay_alu instid0(VALU_DEP_1) | instskip(SKIP_1) | instid1(VALU_DEP_2)
	v_or_b32_e32 v113, v113, v114
	v_and_b32_e32 v130, 7, v114
	v_cmp_ne_u32_e32 vcc_lo, 0, v113
	v_lshlrev_b32_e32 v128, 3, v128
	s_delay_alu instid0(VALU_DEP_1) | instskip(NEXT) | instid1(VALU_DEP_1)
	v_or3_b32 v114, v128, v117, v130
	v_cndmask_b32_e32 v113, 0, v114, vcc_lo
.LBB4_5766:                             ;   in Loop: Header=BB4_5448 Depth=2
	s_or_b32 exec_lo, exec_lo, s26
.LBB4_5767:                             ;   in Loop: Header=BB4_5448 Depth=2
	s_delay_alu instid0(SALU_CYCLE_1) | instskip(SKIP_2) | instid1(VALU_DEP_1)
	s_or_b32 exec_lo, exec_lo, s25
	v_and_b32_e32 v114, 0xff, v103
	s_and_not1_b32 vcc_lo, exec_lo, s23
	v_cmp_lt_i16_e64 s7, 0x7f, v114
	s_cbranch_vccnz .LBB4_5777
; %bb.5768:                             ;   in Loop: Header=BB4_5448 Depth=2
	s_mov_b32 s25, 0
                                        ; implicit-def: $sgpr26
	s_delay_alu instid0(VALU_DEP_1) | instskip(NEXT) | instid1(SALU_CYCLE_1)
	s_and_saveexec_b32 s27, s7
	s_xor_b32 s7, exec_lo, s27
	s_cbranch_execnz .LBB4_6086
; %bb.5769:                             ;   in Loop: Header=BB4_5448 Depth=2
	s_or_saveexec_b32 s7, s7
	v_mov_b32_e32 v117, s26
	s_xor_b32 exec_lo, exec_lo, s7
	s_cbranch_execnz .LBB4_6089
.LBB4_5770:                             ;   in Loop: Header=BB4_5448 Depth=2
	s_or_b32 exec_lo, exec_lo, s7
	s_and_saveexec_b32 s7, s25
	s_cbranch_execz .LBB4_5772
.LBB4_5771:                             ;   in Loop: Header=BB4_5448 Depth=2
	v_lshrrev_b16 v131, 3, v103
	s_delay_alu instid0(VALU_DEP_1) | instskip(NEXT) | instid1(VALU_DEP_1)
	v_and_b32_e32 v131, 15, v131
	v_cmp_eq_u32_e32 vcc_lo, 0, v131
	v_and_b32_e32 v117, 7, v103
	s_delay_alu instid0(VALU_DEP_1) | instskip(NEXT) | instid1(VALU_DEP_1)
	v_clz_i32_u32_e32 v128, v117
	v_min_u32_e32 v128, 32, v128
	s_delay_alu instid0(VALU_DEP_1) | instskip(SKIP_1) | instid1(VALU_DEP_2)
	v_subrev_nc_u32_e32 v130, 28, v128
	v_sub_nc_u32_e32 v128, 29, v128
	v_lshlrev_b32_e32 v130, v130, v103
	s_delay_alu instid0(VALU_DEP_2) | instskip(NEXT) | instid1(VALU_DEP_2)
	v_cndmask_b32_e32 v128, v131, v128, vcc_lo
	v_and_b32_e32 v130, 7, v130
	v_lshlrev_b32_e32 v132, 24, v103
	s_delay_alu instid0(VALU_DEP_3) | instskip(NEXT) | instid1(VALU_DEP_2)
	v_lshl_add_u32 v128, v128, 23, 0x3b800000
	v_dual_cndmask_b32 v117, v117, v130 :: v_dual_and_b32 v130, 0x80000000, v132
	s_delay_alu instid0(VALU_DEP_1) | instskip(NEXT) | instid1(VALU_DEP_1)
	v_lshlrev_b32_e32 v117, 20, v117
	v_or3_b32 v117, v130, v128, v117
.LBB4_5772:                             ;   in Loop: Header=BB4_5448 Depth=2
	s_or_b32 exec_lo, exec_lo, s7
	s_waitcnt vmcnt(4) lgkmcnt(4)
	v_and_b32_e32 v130, 0xff, v102
	s_mov_b32 s7, 0
	s_mov_b32 s26, exec_lo
                                        ; implicit-def: $sgpr25
	s_delay_alu instid0(VALU_DEP_1)
	v_cmpx_lt_i16_e64 0x7f, v130
	s_xor_b32 s26, exec_lo, s26
	s_cbranch_execnz .LBB4_6090
; %bb.5773:                             ;   in Loop: Header=BB4_5448 Depth=2
	s_or_saveexec_b32 s26, s26
	v_mov_b32_e32 v128, s25
	s_xor_b32 exec_lo, exec_lo, s26
	s_cbranch_execnz .LBB4_6093
.LBB4_5774:                             ;   in Loop: Header=BB4_5448 Depth=2
	s_or_b32 exec_lo, exec_lo, s26
	s_and_saveexec_b32 s25, s7
	s_cbranch_execz .LBB4_5776
.LBB4_5775:                             ;   in Loop: Header=BB4_5448 Depth=2
	v_and_b32_e32 v128, 7, v102
	v_lshrrev_b16 v132, 3, v102
	s_delay_alu instid0(VALU_DEP_2) | instskip(NEXT) | instid1(VALU_DEP_2)
	v_clz_i32_u32_e32 v130, v128
	v_and_b32_e32 v132, 15, v132
	s_delay_alu instid0(VALU_DEP_2) | instskip(NEXT) | instid1(VALU_DEP_2)
	v_min_u32_e32 v130, 32, v130
	v_cmp_eq_u32_e32 vcc_lo, 0, v132
	s_delay_alu instid0(VALU_DEP_2) | instskip(SKIP_1) | instid1(VALU_DEP_2)
	v_subrev_nc_u32_e32 v131, 28, v130
	v_sub_nc_u32_e32 v130, 29, v130
	v_lshlrev_b32_e32 v131, v131, v102
	s_delay_alu instid0(VALU_DEP_1) | instskip(SKIP_1) | instid1(VALU_DEP_2)
	v_dual_cndmask_b32 v130, v132, v130 :: v_dual_and_b32 v131, 7, v131
	v_lshlrev_b32_e32 v133, 24, v102
	v_lshl_add_u32 v130, v130, 23, 0x3b800000
	s_delay_alu instid0(VALU_DEP_2) | instskip(NEXT) | instid1(VALU_DEP_1)
	v_dual_cndmask_b32 v128, v128, v131 :: v_dual_and_b32 v131, 0x80000000, v133
	v_lshlrev_b32_e32 v128, 20, v128
	s_delay_alu instid0(VALU_DEP_1)
	v_or3_b32 v128, v131, v130, v128
.LBB4_5776:                             ;   in Loop: Header=BB4_5448 Depth=2
	s_or_b32 exec_lo, exec_lo, s25
	s_delay_alu instid0(VALU_DEP_1) | instskip(SKIP_1) | instid1(VALU_DEP_1)
	v_dual_max_f32 v128, v128, v128 :: v_dual_max_f32 v117, v117, v117
	s_mov_b32 s7, 0
	v_max_f32_e32 v117, v117, v128
	s_branch .LBB4_5778
.LBB4_5777:                             ;   in Loop: Header=BB4_5448 Depth=2
	s_mov_b32 s7, -1
                                        ; implicit-def: $vgpr117
.LBB4_5778:                             ;   in Loop: Header=BB4_5448 Depth=2
	s_delay_alu instid0(SALU_CYCLE_1)
	s_and_b32 vcc_lo, exec_lo, s7
	s_cbranch_vccz .LBB4_5788
; %bb.5779:                             ;   in Loop: Header=BB4_5448 Depth=2
	s_mov_b32 s7, 0
	s_mov_b32 s26, exec_lo
                                        ; implicit-def: $sgpr25
	v_cmpx_lt_i16_e32 0x7f, v114
	s_xor_b32 s26, exec_lo, s26
	s_cbranch_execnz .LBB4_6094
; %bb.5780:                             ;   in Loop: Header=BB4_5448 Depth=2
	s_or_saveexec_b32 s26, s26
	v_mov_b32_e32 v117, s25
	s_xor_b32 exec_lo, exec_lo, s26
	s_cbranch_execnz .LBB4_6097
.LBB4_5781:                             ;   in Loop: Header=BB4_5448 Depth=2
	s_or_b32 exec_lo, exec_lo, s26
	s_and_saveexec_b32 s25, s7
	s_cbranch_execz .LBB4_5783
.LBB4_5782:                             ;   in Loop: Header=BB4_5448 Depth=2
	v_lshrrev_b16 v130, 3, v103
	s_delay_alu instid0(VALU_DEP_1) | instskip(NEXT) | instid1(VALU_DEP_1)
	v_and_b32_e32 v130, 15, v130
	v_cmp_eq_u32_e32 vcc_lo, 0, v130
	v_and_b32_e32 v114, 7, v103
	s_delay_alu instid0(VALU_DEP_1) | instskip(NEXT) | instid1(VALU_DEP_1)
	v_clz_i32_u32_e32 v117, v114
	v_min_u32_e32 v117, 32, v117
	s_delay_alu instid0(VALU_DEP_1) | instskip(SKIP_1) | instid1(VALU_DEP_1)
	v_subrev_nc_u32_e32 v128, 28, v117
	v_sub_nc_u32_e32 v117, 29, v117
	v_dual_cndmask_b32 v117, v130, v117 :: v_dual_lshlrev_b32 v128, v128, v103
	s_delay_alu instid0(VALU_DEP_1) | instskip(SKIP_1) | instid1(VALU_DEP_3)
	v_and_b32_e32 v128, 7, v128
	v_lshlrev_b32_e32 v103, 24, v103
	v_lshl_add_u32 v117, v117, 23, 0x3b800000
	s_delay_alu instid0(VALU_DEP_2) | instskip(NEXT) | instid1(VALU_DEP_1)
	v_dual_cndmask_b32 v114, v114, v128 :: v_dual_and_b32 v103, 0x80000000, v103
	v_lshlrev_b32_e32 v114, 20, v114
	s_delay_alu instid0(VALU_DEP_1)
	v_or3_b32 v117, v103, v117, v114
.LBB4_5783:                             ;   in Loop: Header=BB4_5448 Depth=2
	s_or_b32 exec_lo, exec_lo, s25
	s_waitcnt vmcnt(4) lgkmcnt(4)
	v_and_b32_e32 v114, 0xff, v102
	s_mov_b32 s7, 0
	s_mov_b32 s26, exec_lo
                                        ; implicit-def: $sgpr25
	s_delay_alu instid0(VALU_DEP_1)
	v_cmpx_lt_i16_e32 0x7f, v114
	s_xor_b32 s26, exec_lo, s26
	s_cbranch_execnz .LBB4_6098
; %bb.5784:                             ;   in Loop: Header=BB4_5448 Depth=2
	s_or_saveexec_b32 s26, s26
	v_mov_b32_e32 v103, s25
	s_xor_b32 exec_lo, exec_lo, s26
	s_cbranch_execnz .LBB4_6101
.LBB4_5785:                             ;   in Loop: Header=BB4_5448 Depth=2
	s_or_b32 exec_lo, exec_lo, s26
	s_and_saveexec_b32 s25, s7
	s_cbranch_execz .LBB4_5787
.LBB4_5786:                             ;   in Loop: Header=BB4_5448 Depth=2
	v_and_b32_e32 v103, 7, v102
	v_lshrrev_b16 v130, 3, v102
	s_delay_alu instid0(VALU_DEP_2) | instskip(NEXT) | instid1(VALU_DEP_1)
	v_clz_i32_u32_e32 v114, v103
	v_min_u32_e32 v114, 32, v114
	s_delay_alu instid0(VALU_DEP_1) | instskip(SKIP_1) | instid1(VALU_DEP_2)
	v_subrev_nc_u32_e32 v128, 28, v114
	v_sub_nc_u32_e32 v114, 29, v114
	v_lshlrev_b32_e32 v128, v128, v102
	v_lshlrev_b32_e32 v102, 24, v102
	s_delay_alu instid0(VALU_DEP_2) | instskip(SKIP_1) | instid1(VALU_DEP_3)
	v_and_b32_e32 v128, 7, v128
	v_and_b32_e32 v130, 15, v130
	;; [unrolled: 1-line block ×3, first 2 shown]
	s_delay_alu instid0(VALU_DEP_2) | instskip(NEXT) | instid1(VALU_DEP_4)
	v_cmp_eq_u32_e32 vcc_lo, 0, v130
	v_dual_cndmask_b32 v103, v103, v128 :: v_dual_cndmask_b32 v114, v130, v114
	s_delay_alu instid0(VALU_DEP_1) | instskip(NEXT) | instid1(VALU_DEP_2)
	v_lshlrev_b32_e32 v103, 20, v103
	v_lshl_add_u32 v114, v114, 23, 0x3b800000
	s_delay_alu instid0(VALU_DEP_1)
	v_or3_b32 v103, v102, v114, v103
.LBB4_5787:                             ;   in Loop: Header=BB4_5448 Depth=2
	s_or_b32 exec_lo, exec_lo, s25
	s_delay_alu instid0(VALU_DEP_1) | instskip(NEXT) | instid1(VALU_DEP_1)
	v_dual_max_f32 v102, v103, v103 :: v_dual_max_f32 v103, v117, v117
	v_min_f32_e32 v117, v103, v102
.LBB4_5788:                             ;   in Loop: Header=BB4_5448 Depth=2
	s_waitcnt vmcnt(4) lgkmcnt(4)
	s_delay_alu instid0(VALU_DEP_1) | instskip(NEXT) | instid1(VALU_DEP_1)
	v_and_b32_e32 v102, 0x7f800000, v117
	v_cmp_ne_u32_e32 vcc_lo, 0x7f800000, v102
	v_mov_b32_e32 v102, 0x80
	s_and_saveexec_b32 s25, vcc_lo
	s_cbranch_execz .LBB4_5796
; %bb.5789:                             ;   in Loop: Header=BB4_5448 Depth=2
	v_mov_b32_e32 v102, 0
	s_mov_b32 s26, exec_lo
	v_cmpx_ne_u32_e32 0, v117
	s_cbranch_execz .LBB4_5795
; %bb.5790:                             ;   in Loop: Header=BB4_5448 Depth=2
	v_bfe_u32 v102, v117, 23, 8
	s_delay_alu instid0(VALU_DEP_1) | instskip(SKIP_1) | instid1(VALU_DEP_2)
	v_sub_nc_u32_e32 v114, 0x78, v102
	v_cmp_gt_u32_e32 vcc_lo, 0x79, v102
	v_dual_cndmask_b32 v114, 0, v114 :: v_dual_and_b32 v103, 0x7fffff, v117
	s_delay_alu instid0(VALU_DEP_1) | instskip(SKIP_2) | instid1(VALU_DEP_4)
	v_or_b32_e32 v128, 0x800000, v103
	v_cmp_eq_u32_e32 vcc_lo, 0, v102
	v_add_nc_u32_e32 v102, 0xffffff89, v102
	v_cndmask_b32_e64 v114, v114, 0x77, vcc_lo
	s_delay_alu instid0(VALU_DEP_4) | instskip(NEXT) | instid1(VALU_DEP_3)
	v_cndmask_b32_e32 v103, v128, v103, vcc_lo
	v_cndmask_b32_e64 v102, v102, 0xffffff8a, vcc_lo
	s_delay_alu instid0(VALU_DEP_3) | instskip(NEXT) | instid1(VALU_DEP_3)
	v_lshl_add_u32 v128, 0x100000, v114, -1
	v_lshrrev_b32_e32 v130, v114, v103
	v_lshlrev_b32_e64 v132, v114, 0x80000
	s_delay_alu instid0(VALU_DEP_4) | instskip(NEXT) | instid1(VALU_DEP_4)
	v_add_nc_u32_e32 v114, v114, v102
	v_and_b32_e32 v103, v128, v103
	s_delay_alu instid0(VALU_DEP_4) | instskip(NEXT) | instid1(VALU_DEP_2)
	v_bfe_u32 v131, v130, 20, 1
	v_cmp_eq_u32_e64 s7, v103, v132
	s_delay_alu instid0(VALU_DEP_2) | instskip(NEXT) | instid1(VALU_DEP_1)
	v_add_nc_u32_e32 v128, -1, v131
	v_cndmask_b32_e64 v103, 0, v128, s7
	v_lshrrev_b32_e32 v128, 23, v130
	s_mov_b32 s7, exec_lo
	s_delay_alu instid0(VALU_DEP_2) | instskip(NEXT) | instid1(VALU_DEP_2)
	v_add_nc_u32_e32 v103, v103, v130
	v_xor_b32_e32 v128, 1, v128
	s_delay_alu instid0(VALU_DEP_2) | instskip(NEXT) | instid1(VALU_DEP_1)
	v_and_b32_e32 v102, 0xfffff, v103
	v_add_nc_u32_e32 v103, v102, v130
                                        ; implicit-def: $vgpr102
	s_delay_alu instid0(VALU_DEP_3)
	v_cmpx_ne_u32_e64 v114, v128
	s_xor_b32 s7, exec_lo, s7
; %bb.5791:                             ;   in Loop: Header=BB4_5448 Depth=2
	s_delay_alu instid0(VALU_DEP_2) | instskip(SKIP_2) | instid1(VALU_DEP_2)
	v_cmp_lt_u32_e32 vcc_lo, 0xffffff, v103
	v_sub_nc_u32_e32 v102, v114, v128
	v_cndmask_b32_e64 v114, 0, 1, vcc_lo
	v_add_co_ci_u32_e32 v102, vcc_lo, 0, v102, vcc_lo
	s_delay_alu instid0(VALU_DEP_2)
	v_lshrrev_b32_e32 v103, v114, v103
; %bb.5792:                             ;   in Loop: Header=BB4_5448 Depth=2
	s_and_not1_saveexec_b32 s7, s7
; %bb.5793:                             ;   in Loop: Header=BB4_5448 Depth=2
	s_delay_alu instid0(VALU_DEP_1)
	v_bfe_u32 v102, v103, 23, 1
; %bb.5794:                             ;   in Loop: Header=BB4_5448 Depth=2
	s_or_b32 exec_lo, exec_lo, s7
	v_lshrrev_b32_e32 v103, 20, v103
	s_delay_alu instid0(VALU_DEP_2) | instskip(SKIP_2) | instid1(VALU_DEP_2)
	v_cmp_gt_i32_e32 vcc_lo, 16, v102
	v_lshrrev_b32_e32 v114, 24, v117
	v_min_i32_e32 v117, 15, v102
	v_dual_cndmask_b32 v103, 7, v103 :: v_dual_and_b32 v114, 0x80, v114
	s_delay_alu instid0(VALU_DEP_1) | instskip(SKIP_1) | instid1(VALU_DEP_2)
	v_or_b32_e32 v102, v102, v103
	v_and_b32_e32 v128, 7, v103
	v_cmp_ne_u32_e32 vcc_lo, 0, v102
	v_lshlrev_b32_e32 v117, 3, v117
	s_delay_alu instid0(VALU_DEP_1) | instskip(NEXT) | instid1(VALU_DEP_1)
	v_or3_b32 v103, v117, v114, v128
	v_cndmask_b32_e32 v102, 0, v103, vcc_lo
.LBB4_5795:                             ;   in Loop: Header=BB4_5448 Depth=2
	s_or_b32 exec_lo, exec_lo, s26
.LBB4_5796:                             ;   in Loop: Header=BB4_5448 Depth=2
	s_delay_alu instid0(SALU_CYCLE_1) | instskip(SKIP_2) | instid1(VALU_DEP_1)
	s_or_b32 exec_lo, exec_lo, s25
	v_and_b32_e32 v103, 0xff, v69
	s_and_not1_b32 vcc_lo, exec_lo, s23
	v_cmp_lt_i16_e64 s7, 0x7f, v103
	s_cbranch_vccnz .LBB4_5806
; %bb.5797:                             ;   in Loop: Header=BB4_5448 Depth=2
	s_mov_b32 s25, 0
                                        ; implicit-def: $sgpr26
	s_delay_alu instid0(VALU_DEP_1) | instskip(NEXT) | instid1(SALU_CYCLE_1)
	s_and_saveexec_b32 s27, s7
	s_xor_b32 s7, exec_lo, s27
	s_cbranch_execnz .LBB4_6102
; %bb.5798:                             ;   in Loop: Header=BB4_5448 Depth=2
	s_or_saveexec_b32 s7, s7
	v_mov_b32_e32 v114, s26
	s_xor_b32 exec_lo, exec_lo, s7
	s_cbranch_execnz .LBB4_6105
.LBB4_5799:                             ;   in Loop: Header=BB4_5448 Depth=2
	s_or_b32 exec_lo, exec_lo, s7
	s_and_saveexec_b32 s7, s25
	s_cbranch_execz .LBB4_5801
.LBB4_5800:                             ;   in Loop: Header=BB4_5448 Depth=2
	v_and_b32_e32 v114, 7, v69
	v_lshrrev_b16 v130, 3, v69
	s_delay_alu instid0(VALU_DEP_2) | instskip(NEXT) | instid1(VALU_DEP_2)
	v_clz_i32_u32_e32 v117, v114
	v_and_b32_e32 v130, 15, v130
	s_delay_alu instid0(VALU_DEP_2) | instskip(NEXT) | instid1(VALU_DEP_2)
	v_min_u32_e32 v117, 32, v117
	v_cmp_eq_u32_e32 vcc_lo, 0, v130
	s_delay_alu instid0(VALU_DEP_2) | instskip(SKIP_1) | instid1(VALU_DEP_2)
	v_subrev_nc_u32_e32 v128, 28, v117
	v_sub_nc_u32_e32 v117, 29, v117
	v_lshlrev_b32_e32 v128, v128, v69
	s_delay_alu instid0(VALU_DEP_1) | instskip(SKIP_1) | instid1(VALU_DEP_2)
	v_dual_cndmask_b32 v117, v130, v117 :: v_dual_and_b32 v128, 7, v128
	v_lshlrev_b32_e32 v131, 24, v69
	v_lshl_add_u32 v117, v117, 23, 0x3b800000
	s_delay_alu instid0(VALU_DEP_3) | instskip(NEXT) | instid1(VALU_DEP_3)
	v_cndmask_b32_e32 v114, v114, v128, vcc_lo
	v_and_b32_e32 v128, 0x80000000, v131
	s_delay_alu instid0(VALU_DEP_2) | instskip(NEXT) | instid1(VALU_DEP_1)
	v_lshlrev_b32_e32 v114, 20, v114
	v_or3_b32 v114, v128, v117, v114
.LBB4_5801:                             ;   in Loop: Header=BB4_5448 Depth=2
	s_or_b32 exec_lo, exec_lo, s7
	s_waitcnt vmcnt(3) lgkmcnt(3)
	v_and_b32_e32 v128, 0xff, v68
	s_mov_b32 s7, 0
	s_mov_b32 s26, exec_lo
                                        ; implicit-def: $sgpr25
	s_delay_alu instid0(VALU_DEP_1)
	v_cmpx_lt_i16_e64 0x7f, v128
	s_xor_b32 s26, exec_lo, s26
	s_cbranch_execnz .LBB4_6106
; %bb.5802:                             ;   in Loop: Header=BB4_5448 Depth=2
	s_or_saveexec_b32 s26, s26
	v_mov_b32_e32 v117, s25
	s_xor_b32 exec_lo, exec_lo, s26
	s_cbranch_execnz .LBB4_6109
.LBB4_5803:                             ;   in Loop: Header=BB4_5448 Depth=2
	s_or_b32 exec_lo, exec_lo, s26
	s_and_saveexec_b32 s25, s7
	s_cbranch_execz .LBB4_5805
.LBB4_5804:                             ;   in Loop: Header=BB4_5448 Depth=2
	v_and_b32_e32 v117, 7, v68
	v_lshrrev_b16 v131, 3, v68
	s_delay_alu instid0(VALU_DEP_2) | instskip(NEXT) | instid1(VALU_DEP_2)
	v_clz_i32_u32_e32 v128, v117
	v_and_b32_e32 v131, 15, v131
	s_delay_alu instid0(VALU_DEP_2) | instskip(NEXT) | instid1(VALU_DEP_2)
	v_min_u32_e32 v128, 32, v128
	v_cmp_eq_u32_e32 vcc_lo, 0, v131
	s_delay_alu instid0(VALU_DEP_2) | instskip(SKIP_1) | instid1(VALU_DEP_2)
	v_subrev_nc_u32_e32 v130, 28, v128
	v_sub_nc_u32_e32 v128, 29, v128
	v_lshlrev_b32_e32 v130, v130, v68
	s_delay_alu instid0(VALU_DEP_1) | instskip(NEXT) | instid1(VALU_DEP_1)
	v_and_b32_e32 v130, 7, v130
	v_dual_cndmask_b32 v117, v117, v130 :: v_dual_lshlrev_b32 v132, 24, v68
	s_delay_alu instid0(VALU_DEP_4) | instskip(NEXT) | instid1(VALU_DEP_2)
	v_cndmask_b32_e32 v128, v131, v128, vcc_lo
	v_and_b32_e32 v130, 0x80000000, v132
	s_delay_alu instid0(VALU_DEP_3) | instskip(NEXT) | instid1(VALU_DEP_3)
	v_lshlrev_b32_e32 v117, 20, v117
	v_lshl_add_u32 v128, v128, 23, 0x3b800000
	s_delay_alu instid0(VALU_DEP_1)
	v_or3_b32 v117, v130, v128, v117
.LBB4_5805:                             ;   in Loop: Header=BB4_5448 Depth=2
	s_or_b32 exec_lo, exec_lo, s25
	s_delay_alu instid0(VALU_DEP_1) | instskip(SKIP_1) | instid1(VALU_DEP_1)
	v_dual_max_f32 v117, v117, v117 :: v_dual_max_f32 v114, v114, v114
	s_mov_b32 s7, 0
	v_max_f32_e32 v114, v114, v117
	s_branch .LBB4_5807
.LBB4_5806:                             ;   in Loop: Header=BB4_5448 Depth=2
	s_mov_b32 s7, -1
                                        ; implicit-def: $vgpr114
.LBB4_5807:                             ;   in Loop: Header=BB4_5448 Depth=2
	s_delay_alu instid0(SALU_CYCLE_1)
	s_and_b32 vcc_lo, exec_lo, s7
	s_cbranch_vccz .LBB4_5817
; %bb.5808:                             ;   in Loop: Header=BB4_5448 Depth=2
	s_mov_b32 s7, 0
	s_mov_b32 s26, exec_lo
                                        ; implicit-def: $sgpr25
	v_cmpx_lt_i16_e32 0x7f, v103
	s_xor_b32 s26, exec_lo, s26
	s_cbranch_execnz .LBB4_6110
; %bb.5809:                             ;   in Loop: Header=BB4_5448 Depth=2
	s_or_saveexec_b32 s26, s26
	v_mov_b32_e32 v114, s25
	s_xor_b32 exec_lo, exec_lo, s26
	s_cbranch_execnz .LBB4_6113
.LBB4_5810:                             ;   in Loop: Header=BB4_5448 Depth=2
	s_or_b32 exec_lo, exec_lo, s26
	s_and_saveexec_b32 s25, s7
	s_cbranch_execz .LBB4_5812
.LBB4_5811:                             ;   in Loop: Header=BB4_5448 Depth=2
	v_lshrrev_b16 v128, 3, v69
	s_delay_alu instid0(VALU_DEP_1) | instskip(NEXT) | instid1(VALU_DEP_1)
	v_and_b32_e32 v128, 15, v128
	v_cmp_eq_u32_e32 vcc_lo, 0, v128
	v_and_b32_e32 v103, 7, v69
	s_delay_alu instid0(VALU_DEP_1) | instskip(NEXT) | instid1(VALU_DEP_1)
	v_clz_i32_u32_e32 v114, v103
	v_min_u32_e32 v114, 32, v114
	s_delay_alu instid0(VALU_DEP_1) | instskip(SKIP_1) | instid1(VALU_DEP_1)
	v_subrev_nc_u32_e32 v117, 28, v114
	v_sub_nc_u32_e32 v114, 29, v114
	v_dual_cndmask_b32 v114, v128, v114 :: v_dual_lshlrev_b32 v117, v117, v69
	v_lshlrev_b32_e32 v69, 24, v69
	s_delay_alu instid0(VALU_DEP_2) | instskip(NEXT) | instid1(VALU_DEP_3)
	v_and_b32_e32 v117, 7, v117
	v_lshl_add_u32 v114, v114, 23, 0x3b800000
	s_delay_alu instid0(VALU_DEP_3) | instskip(NEXT) | instid1(VALU_DEP_3)
	v_and_b32_e32 v69, 0x80000000, v69
	v_cndmask_b32_e32 v103, v103, v117, vcc_lo
	s_delay_alu instid0(VALU_DEP_1) | instskip(NEXT) | instid1(VALU_DEP_1)
	v_lshlrev_b32_e32 v103, 20, v103
	v_or3_b32 v114, v69, v114, v103
.LBB4_5812:                             ;   in Loop: Header=BB4_5448 Depth=2
	s_or_b32 exec_lo, exec_lo, s25
	s_waitcnt vmcnt(3) lgkmcnt(3)
	v_and_b32_e32 v103, 0xff, v68
	s_mov_b32 s7, 0
	s_mov_b32 s26, exec_lo
                                        ; implicit-def: $sgpr25
	s_delay_alu instid0(VALU_DEP_1)
	v_cmpx_lt_i16_e32 0x7f, v103
	s_xor_b32 s26, exec_lo, s26
	s_cbranch_execnz .LBB4_6114
; %bb.5813:                             ;   in Loop: Header=BB4_5448 Depth=2
	s_or_saveexec_b32 s26, s26
	v_mov_b32_e32 v69, s25
	s_xor_b32 exec_lo, exec_lo, s26
	s_cbranch_execnz .LBB4_6117
.LBB4_5814:                             ;   in Loop: Header=BB4_5448 Depth=2
	s_or_b32 exec_lo, exec_lo, s26
	s_and_saveexec_b32 s25, s7
	s_cbranch_execz .LBB4_5816
.LBB4_5815:                             ;   in Loop: Header=BB4_5448 Depth=2
	v_and_b32_e32 v69, 7, v68
	v_lshrrev_b16 v128, 3, v68
	s_delay_alu instid0(VALU_DEP_2) | instskip(NEXT) | instid1(VALU_DEP_1)
	v_clz_i32_u32_e32 v103, v69
	v_min_u32_e32 v103, 32, v103
	s_delay_alu instid0(VALU_DEP_1) | instskip(SKIP_1) | instid1(VALU_DEP_2)
	v_subrev_nc_u32_e32 v117, 28, v103
	v_sub_nc_u32_e32 v103, 29, v103
	v_lshlrev_b32_e32 v117, v117, v68
	s_delay_alu instid0(VALU_DEP_1) | instskip(SKIP_1) | instid1(VALU_DEP_1)
	v_and_b32_e32 v117, 7, v117
	v_and_b32_e32 v128, 15, v128
	v_cmp_eq_u32_e32 vcc_lo, 0, v128
	s_delay_alu instid0(VALU_DEP_3) | instskip(SKIP_1) | instid1(VALU_DEP_2)
	v_dual_cndmask_b32 v69, v69, v117 :: v_dual_lshlrev_b32 v68, 24, v68
	v_cndmask_b32_e32 v103, v128, v103, vcc_lo
	v_lshlrev_b32_e32 v69, 20, v69
	s_delay_alu instid0(VALU_DEP_3) | instskip(NEXT) | instid1(VALU_DEP_3)
	v_and_b32_e32 v68, 0x80000000, v68
	v_lshl_add_u32 v103, v103, 23, 0x3b800000
	s_delay_alu instid0(VALU_DEP_1)
	v_or3_b32 v69, v68, v103, v69
.LBB4_5816:                             ;   in Loop: Header=BB4_5448 Depth=2
	s_or_b32 exec_lo, exec_lo, s25
	s_delay_alu instid0(VALU_DEP_1) | instskip(NEXT) | instid1(VALU_DEP_1)
	v_dual_max_f32 v68, v69, v69 :: v_dual_max_f32 v69, v114, v114
	v_min_f32_e32 v114, v69, v68
.LBB4_5817:                             ;   in Loop: Header=BB4_5448 Depth=2
	s_waitcnt vmcnt(3) lgkmcnt(3)
	s_delay_alu instid0(VALU_DEP_1) | instskip(NEXT) | instid1(VALU_DEP_1)
	v_and_b32_e32 v68, 0x7f800000, v114
	v_cmp_ne_u32_e32 vcc_lo, 0x7f800000, v68
	v_mov_b32_e32 v68, 0x80
	s_and_saveexec_b32 s25, vcc_lo
	s_cbranch_execz .LBB4_5825
; %bb.5818:                             ;   in Loop: Header=BB4_5448 Depth=2
	v_mov_b32_e32 v68, 0
	s_mov_b32 s26, exec_lo
	v_cmpx_ne_u32_e32 0, v114
	s_cbranch_execz .LBB4_5824
; %bb.5819:                             ;   in Loop: Header=BB4_5448 Depth=2
	v_bfe_u32 v68, v114, 23, 8
	v_and_b32_e32 v69, 0x7fffff, v114
	s_delay_alu instid0(VALU_DEP_2) | instskip(SKIP_1) | instid1(VALU_DEP_3)
	v_sub_nc_u32_e32 v103, 0x78, v68
	v_cmp_gt_u32_e32 vcc_lo, 0x79, v68
	v_or_b32_e32 v117, 0x800000, v69
	s_delay_alu instid0(VALU_DEP_3) | instskip(SKIP_2) | instid1(VALU_DEP_3)
	v_cndmask_b32_e32 v103, 0, v103, vcc_lo
	v_cmp_eq_u32_e32 vcc_lo, 0, v68
	v_add_nc_u32_e32 v68, 0xffffff89, v68
	v_cndmask_b32_e64 v103, v103, 0x77, vcc_lo
	v_cndmask_b32_e32 v69, v117, v69, vcc_lo
	s_delay_alu instid0(VALU_DEP_3) | instskip(NEXT) | instid1(VALU_DEP_3)
	v_cndmask_b32_e64 v68, v68, 0xffffff8a, vcc_lo
	v_lshl_add_u32 v117, 0x100000, v103, -1
	s_delay_alu instid0(VALU_DEP_3) | instskip(SKIP_1) | instid1(VALU_DEP_4)
	v_lshrrev_b32_e32 v128, v103, v69
	v_lshlrev_b32_e64 v131, v103, 0x80000
	v_add_nc_u32_e32 v103, v103, v68
	s_delay_alu instid0(VALU_DEP_4) | instskip(NEXT) | instid1(VALU_DEP_4)
	v_and_b32_e32 v69, v117, v69
	v_bfe_u32 v130, v128, 20, 1
	s_delay_alu instid0(VALU_DEP_2) | instskip(NEXT) | instid1(VALU_DEP_2)
	v_cmp_eq_u32_e64 s7, v69, v131
	v_add_nc_u32_e32 v117, -1, v130
	s_delay_alu instid0(VALU_DEP_1) | instskip(SKIP_2) | instid1(VALU_DEP_2)
	v_cndmask_b32_e64 v69, 0, v117, s7
	v_lshrrev_b32_e32 v117, 23, v128
	s_mov_b32 s7, exec_lo
	v_add_nc_u32_e32 v69, v69, v128
	s_delay_alu instid0(VALU_DEP_2) | instskip(NEXT) | instid1(VALU_DEP_2)
	v_xor_b32_e32 v117, 1, v117
	v_and_b32_e32 v68, 0xfffff, v69
	s_delay_alu instid0(VALU_DEP_1) | instskip(NEXT) | instid1(VALU_DEP_3)
	v_add_nc_u32_e32 v69, v68, v128
                                        ; implicit-def: $vgpr68
	v_cmpx_ne_u32_e64 v103, v117
	s_xor_b32 s7, exec_lo, s7
; %bb.5820:                             ;   in Loop: Header=BB4_5448 Depth=2
	s_delay_alu instid0(VALU_DEP_2) | instskip(SKIP_2) | instid1(VALU_DEP_2)
	v_cmp_lt_u32_e32 vcc_lo, 0xffffff, v69
	v_sub_nc_u32_e32 v68, v103, v117
	v_cndmask_b32_e64 v103, 0, 1, vcc_lo
	v_add_co_ci_u32_e32 v68, vcc_lo, 0, v68, vcc_lo
	s_delay_alu instid0(VALU_DEP_2)
	v_lshrrev_b32_e32 v69, v103, v69
; %bb.5821:                             ;   in Loop: Header=BB4_5448 Depth=2
	s_and_not1_saveexec_b32 s7, s7
; %bb.5822:                             ;   in Loop: Header=BB4_5448 Depth=2
	s_delay_alu instid0(VALU_DEP_1)
	v_bfe_u32 v68, v69, 23, 1
; %bb.5823:                             ;   in Loop: Header=BB4_5448 Depth=2
	s_or_b32 exec_lo, exec_lo, s7
	v_lshrrev_b32_e32 v69, 20, v69
	s_delay_alu instid0(VALU_DEP_2) | instskip(SKIP_2) | instid1(VALU_DEP_1)
	v_cmp_gt_i32_e32 vcc_lo, 16, v68
	v_lshrrev_b32_e32 v103, 24, v114
	v_min_i32_e32 v114, 15, v68
	v_dual_cndmask_b32 v69, 7, v69 :: v_dual_lshlrev_b32 v114, 3, v114
	s_delay_alu instid0(VALU_DEP_1) | instskip(SKIP_1) | instid1(VALU_DEP_2)
	v_or_b32_e32 v68, v68, v69
	v_and_b32_e32 v117, 7, v69
	v_cmp_ne_u32_e32 vcc_lo, 0, v68
	v_and_b32_e32 v103, 0x80, v103
	s_delay_alu instid0(VALU_DEP_1) | instskip(NEXT) | instid1(VALU_DEP_1)
	v_or3_b32 v69, v114, v103, v117
	v_cndmask_b32_e32 v68, 0, v69, vcc_lo
.LBB4_5824:                             ;   in Loop: Header=BB4_5448 Depth=2
	s_or_b32 exec_lo, exec_lo, s26
.LBB4_5825:                             ;   in Loop: Header=BB4_5448 Depth=2
	s_delay_alu instid0(SALU_CYCLE_1) | instskip(SKIP_2) | instid1(VALU_DEP_1)
	s_or_b32 exec_lo, exec_lo, s25
	v_and_b32_e32 v69, 0xff, v66
	s_and_not1_b32 vcc_lo, exec_lo, s23
	v_cmp_lt_i16_e64 s7, 0x7f, v69
	s_cbranch_vccnz .LBB4_5835
; %bb.5826:                             ;   in Loop: Header=BB4_5448 Depth=2
	s_mov_b32 s25, 0
                                        ; implicit-def: $sgpr26
	s_delay_alu instid0(VALU_DEP_1) | instskip(NEXT) | instid1(SALU_CYCLE_1)
	s_and_saveexec_b32 s27, s7
	s_xor_b32 s7, exec_lo, s27
	s_cbranch_execnz .LBB4_6118
; %bb.5827:                             ;   in Loop: Header=BB4_5448 Depth=2
	s_or_saveexec_b32 s7, s7
	v_mov_b32_e32 v103, s26
	s_xor_b32 exec_lo, exec_lo, s7
	s_cbranch_execnz .LBB4_6121
.LBB4_5828:                             ;   in Loop: Header=BB4_5448 Depth=2
	s_or_b32 exec_lo, exec_lo, s7
	s_and_saveexec_b32 s7, s25
	s_cbranch_execz .LBB4_5830
.LBB4_5829:                             ;   in Loop: Header=BB4_5448 Depth=2
	v_and_b32_e32 v103, 7, v66
	v_lshrrev_b16 v128, 3, v66
	v_lshlrev_b32_e32 v130, 24, v66
	s_delay_alu instid0(VALU_DEP_3) | instskip(NEXT) | instid1(VALU_DEP_1)
	v_clz_i32_u32_e32 v114, v103
	v_min_u32_e32 v114, 32, v114
	s_delay_alu instid0(VALU_DEP_1) | instskip(SKIP_1) | instid1(VALU_DEP_2)
	v_subrev_nc_u32_e32 v117, 28, v114
	v_sub_nc_u32_e32 v114, 29, v114
	v_lshlrev_b32_e32 v117, v117, v66
	s_delay_alu instid0(VALU_DEP_1) | instskip(SKIP_1) | instid1(VALU_DEP_1)
	v_and_b32_e32 v117, 7, v117
	v_and_b32_e32 v128, 15, v128
	v_cmp_eq_u32_e32 vcc_lo, 0, v128
	s_delay_alu instid0(VALU_DEP_3) | instskip(SKIP_1) | instid1(VALU_DEP_2)
	v_dual_cndmask_b32 v103, v103, v117 :: v_dual_cndmask_b32 v114, v128, v114
	v_and_b32_e32 v117, 0x80000000, v130
	v_lshlrev_b32_e32 v103, 20, v103
	s_delay_alu instid0(VALU_DEP_3) | instskip(NEXT) | instid1(VALU_DEP_1)
	v_lshl_add_u32 v114, v114, 23, 0x3b800000
	v_or3_b32 v103, v117, v114, v103
.LBB4_5830:                             ;   in Loop: Header=BB4_5448 Depth=2
	s_or_b32 exec_lo, exec_lo, s7
	s_waitcnt vmcnt(2) lgkmcnt(2)
	v_and_b32_e32 v117, 0xff, v65
	s_mov_b32 s7, 0
	s_mov_b32 s26, exec_lo
                                        ; implicit-def: $sgpr25
	s_delay_alu instid0(VALU_DEP_1)
	v_cmpx_lt_i16_e32 0x7f, v117
	s_xor_b32 s26, exec_lo, s26
	s_cbranch_execnz .LBB4_6122
; %bb.5831:                             ;   in Loop: Header=BB4_5448 Depth=2
	s_or_saveexec_b32 s26, s26
	v_mov_b32_e32 v114, s25
	s_xor_b32 exec_lo, exec_lo, s26
	s_cbranch_execnz .LBB4_6125
.LBB4_5832:                             ;   in Loop: Header=BB4_5448 Depth=2
	s_or_b32 exec_lo, exec_lo, s26
	s_and_saveexec_b32 s25, s7
	s_cbranch_execz .LBB4_5834
.LBB4_5833:                             ;   in Loop: Header=BB4_5448 Depth=2
	v_and_b32_e32 v114, 7, v65
	v_lshrrev_b16 v130, 3, v65
	s_delay_alu instid0(VALU_DEP_2) | instskip(NEXT) | instid1(VALU_DEP_2)
	v_clz_i32_u32_e32 v117, v114
	v_and_b32_e32 v130, 15, v130
	s_delay_alu instid0(VALU_DEP_2) | instskip(NEXT) | instid1(VALU_DEP_2)
	v_min_u32_e32 v117, 32, v117
	v_cmp_eq_u32_e32 vcc_lo, 0, v130
	s_delay_alu instid0(VALU_DEP_2) | instskip(SKIP_1) | instid1(VALU_DEP_2)
	v_subrev_nc_u32_e32 v128, 28, v117
	v_sub_nc_u32_e32 v117, 29, v117
	v_lshlrev_b32_e32 v128, v128, v65
	s_delay_alu instid0(VALU_DEP_1) | instskip(SKIP_1) | instid1(VALU_DEP_2)
	v_dual_cndmask_b32 v117, v130, v117 :: v_dual_and_b32 v128, 7, v128
	v_lshlrev_b32_e32 v131, 24, v65
	v_lshl_add_u32 v117, v117, 23, 0x3b800000
	s_delay_alu instid0(VALU_DEP_3) | instskip(NEXT) | instid1(VALU_DEP_3)
	v_cndmask_b32_e32 v114, v114, v128, vcc_lo
	v_and_b32_e32 v128, 0x80000000, v131
	s_delay_alu instid0(VALU_DEP_2) | instskip(NEXT) | instid1(VALU_DEP_1)
	v_lshlrev_b32_e32 v114, 20, v114
	v_or3_b32 v114, v128, v117, v114
.LBB4_5834:                             ;   in Loop: Header=BB4_5448 Depth=2
	s_or_b32 exec_lo, exec_lo, s25
	s_delay_alu instid0(VALU_DEP_1) | instskip(SKIP_1) | instid1(VALU_DEP_1)
	v_dual_max_f32 v114, v114, v114 :: v_dual_max_f32 v103, v103, v103
	s_mov_b32 s7, 0
	v_max_f32_e32 v103, v103, v114
	s_branch .LBB4_5836
.LBB4_5835:                             ;   in Loop: Header=BB4_5448 Depth=2
	s_mov_b32 s7, -1
                                        ; implicit-def: $vgpr103
.LBB4_5836:                             ;   in Loop: Header=BB4_5448 Depth=2
	s_delay_alu instid0(SALU_CYCLE_1)
	s_and_b32 vcc_lo, exec_lo, s7
	s_cbranch_vccz .LBB4_5846
; %bb.5837:                             ;   in Loop: Header=BB4_5448 Depth=2
	s_mov_b32 s7, 0
	s_mov_b32 s26, exec_lo
                                        ; implicit-def: $sgpr25
	v_cmpx_lt_i16_e32 0x7f, v69
	s_xor_b32 s26, exec_lo, s26
	s_cbranch_execnz .LBB4_6126
; %bb.5838:                             ;   in Loop: Header=BB4_5448 Depth=2
	s_or_saveexec_b32 s26, s26
	v_mov_b32_e32 v103, s25
	s_xor_b32 exec_lo, exec_lo, s26
	s_cbranch_execnz .LBB4_6129
.LBB4_5839:                             ;   in Loop: Header=BB4_5448 Depth=2
	s_or_b32 exec_lo, exec_lo, s26
	s_and_saveexec_b32 s25, s7
	s_cbranch_execz .LBB4_5841
.LBB4_5840:                             ;   in Loop: Header=BB4_5448 Depth=2
	v_and_b32_e32 v69, 7, v66
	v_lshrrev_b16 v117, 3, v66
	s_delay_alu instid0(VALU_DEP_2) | instskip(NEXT) | instid1(VALU_DEP_2)
	v_clz_i32_u32_e32 v103, v69
	v_and_b32_e32 v117, 15, v117
	s_delay_alu instid0(VALU_DEP_2) | instskip(NEXT) | instid1(VALU_DEP_2)
	v_min_u32_e32 v103, 32, v103
	v_cmp_eq_u32_e32 vcc_lo, 0, v117
	s_delay_alu instid0(VALU_DEP_2) | instskip(SKIP_1) | instid1(VALU_DEP_1)
	v_subrev_nc_u32_e32 v114, 28, v103
	v_sub_nc_u32_e32 v103, 29, v103
	v_dual_cndmask_b32 v103, v117, v103 :: v_dual_lshlrev_b32 v114, v114, v66
	v_lshlrev_b32_e32 v66, 24, v66
	s_delay_alu instid0(VALU_DEP_2) | instskip(NEXT) | instid1(VALU_DEP_3)
	v_and_b32_e32 v114, 7, v114
	v_lshl_add_u32 v103, v103, 23, 0x3b800000
	s_delay_alu instid0(VALU_DEP_3) | instskip(NEXT) | instid1(VALU_DEP_3)
	v_and_b32_e32 v66, 0x80000000, v66
	v_cndmask_b32_e32 v69, v69, v114, vcc_lo
	s_delay_alu instid0(VALU_DEP_1) | instskip(NEXT) | instid1(VALU_DEP_1)
	v_lshlrev_b32_e32 v69, 20, v69
	v_or3_b32 v103, v66, v103, v69
.LBB4_5841:                             ;   in Loop: Header=BB4_5448 Depth=2
	s_or_b32 exec_lo, exec_lo, s25
	s_waitcnt vmcnt(2) lgkmcnt(2)
	v_and_b32_e32 v69, 0xff, v65
	s_mov_b32 s7, 0
	s_mov_b32 s26, exec_lo
                                        ; implicit-def: $sgpr25
	s_delay_alu instid0(VALU_DEP_1)
	v_cmpx_lt_i16_e32 0x7f, v69
	s_xor_b32 s26, exec_lo, s26
	s_cbranch_execnz .LBB4_6130
; %bb.5842:                             ;   in Loop: Header=BB4_5448 Depth=2
	s_or_saveexec_b32 s26, s26
	v_mov_b32_e32 v66, s25
	s_xor_b32 exec_lo, exec_lo, s26
	s_cbranch_execnz .LBB4_6133
.LBB4_5843:                             ;   in Loop: Header=BB4_5448 Depth=2
	s_or_b32 exec_lo, exec_lo, s26
	s_and_saveexec_b32 s25, s7
	s_cbranch_execz .LBB4_5845
.LBB4_5844:                             ;   in Loop: Header=BB4_5448 Depth=2
	v_and_b32_e32 v66, 7, v65
	v_lshrrev_b16 v117, 3, v65
	s_delay_alu instid0(VALU_DEP_2) | instskip(NEXT) | instid1(VALU_DEP_1)
	v_clz_i32_u32_e32 v69, v66
	v_min_u32_e32 v69, 32, v69
	s_delay_alu instid0(VALU_DEP_1) | instskip(SKIP_1) | instid1(VALU_DEP_2)
	v_subrev_nc_u32_e32 v114, 28, v69
	v_sub_nc_u32_e32 v69, 29, v69
	v_lshlrev_b32_e32 v114, v114, v65
	v_lshlrev_b32_e32 v65, 24, v65
	s_delay_alu instid0(VALU_DEP_2) | instskip(SKIP_1) | instid1(VALU_DEP_3)
	v_and_b32_e32 v114, 7, v114
	v_and_b32_e32 v117, 15, v117
	;; [unrolled: 1-line block ×3, first 2 shown]
	s_delay_alu instid0(VALU_DEP_2) | instskip(NEXT) | instid1(VALU_DEP_4)
	v_cmp_eq_u32_e32 vcc_lo, 0, v117
	v_dual_cndmask_b32 v66, v66, v114 :: v_dual_cndmask_b32 v69, v117, v69
	s_delay_alu instid0(VALU_DEP_1) | instskip(NEXT) | instid1(VALU_DEP_2)
	v_lshlrev_b32_e32 v66, 20, v66
	v_lshl_add_u32 v69, v69, 23, 0x3b800000
	s_delay_alu instid0(VALU_DEP_1)
	v_or3_b32 v66, v65, v69, v66
.LBB4_5845:                             ;   in Loop: Header=BB4_5448 Depth=2
	s_or_b32 exec_lo, exec_lo, s25
	s_delay_alu instid0(VALU_DEP_1) | instskip(NEXT) | instid1(VALU_DEP_1)
	v_dual_max_f32 v65, v66, v66 :: v_dual_max_f32 v66, v103, v103
	v_min_f32_e32 v103, v66, v65
.LBB4_5846:                             ;   in Loop: Header=BB4_5448 Depth=2
	s_waitcnt vmcnt(2) lgkmcnt(2)
	s_delay_alu instid0(VALU_DEP_1) | instskip(NEXT) | instid1(VALU_DEP_1)
	v_and_b32_e32 v65, 0x7f800000, v103
	v_cmp_ne_u32_e32 vcc_lo, 0x7f800000, v65
	v_mov_b32_e32 v65, 0x80
	s_and_saveexec_b32 s25, vcc_lo
	s_cbranch_execz .LBB4_5854
; %bb.5847:                             ;   in Loop: Header=BB4_5448 Depth=2
	v_mov_b32_e32 v65, 0
	s_mov_b32 s26, exec_lo
	v_cmpx_ne_u32_e32 0, v103
	s_cbranch_execz .LBB4_5853
; %bb.5848:                             ;   in Loop: Header=BB4_5448 Depth=2
	v_bfe_u32 v65, v103, 23, 8
	s_delay_alu instid0(VALU_DEP_1) | instskip(SKIP_1) | instid1(VALU_DEP_2)
	v_sub_nc_u32_e32 v69, 0x78, v65
	v_cmp_gt_u32_e32 vcc_lo, 0x79, v65
	v_dual_cndmask_b32 v69, 0, v69 :: v_dual_and_b32 v66, 0x7fffff, v103
	s_delay_alu instid0(VALU_DEP_1) | instskip(SKIP_2) | instid1(VALU_DEP_4)
	v_or_b32_e32 v114, 0x800000, v66
	v_cmp_eq_u32_e32 vcc_lo, 0, v65
	v_add_nc_u32_e32 v65, 0xffffff89, v65
	v_cndmask_b32_e64 v69, v69, 0x77, vcc_lo
	s_delay_alu instid0(VALU_DEP_4) | instskip(NEXT) | instid1(VALU_DEP_3)
	v_cndmask_b32_e32 v66, v114, v66, vcc_lo
	v_cndmask_b32_e64 v65, v65, 0xffffff8a, vcc_lo
	s_delay_alu instid0(VALU_DEP_3) | instskip(NEXT) | instid1(VALU_DEP_3)
	v_lshl_add_u32 v114, 0x100000, v69, -1
	v_lshrrev_b32_e32 v117, v69, v66
	v_lshlrev_b32_e64 v130, v69, 0x80000
	s_delay_alu instid0(VALU_DEP_4) | instskip(NEXT) | instid1(VALU_DEP_4)
	v_add_nc_u32_e32 v69, v69, v65
	v_and_b32_e32 v66, v114, v66
	s_delay_alu instid0(VALU_DEP_4) | instskip(NEXT) | instid1(VALU_DEP_2)
	v_bfe_u32 v128, v117, 20, 1
	v_cmp_eq_u32_e64 s7, v66, v130
	s_delay_alu instid0(VALU_DEP_2) | instskip(NEXT) | instid1(VALU_DEP_1)
	v_add_nc_u32_e32 v114, -1, v128
	v_cndmask_b32_e64 v66, 0, v114, s7
	v_lshrrev_b32_e32 v114, 23, v117
	s_mov_b32 s7, exec_lo
	s_delay_alu instid0(VALU_DEP_2) | instskip(NEXT) | instid1(VALU_DEP_2)
	v_add_nc_u32_e32 v66, v66, v117
	v_xor_b32_e32 v114, 1, v114
	s_delay_alu instid0(VALU_DEP_2) | instskip(NEXT) | instid1(VALU_DEP_1)
	v_and_b32_e32 v65, 0xfffff, v66
	v_add_nc_u32_e32 v66, v65, v117
                                        ; implicit-def: $vgpr65
	s_delay_alu instid0(VALU_DEP_3)
	v_cmpx_ne_u32_e64 v69, v114
	s_xor_b32 s7, exec_lo, s7
; %bb.5849:                             ;   in Loop: Header=BB4_5448 Depth=2
	s_delay_alu instid0(VALU_DEP_2) | instskip(SKIP_2) | instid1(VALU_DEP_2)
	v_cmp_lt_u32_e32 vcc_lo, 0xffffff, v66
	v_sub_nc_u32_e32 v65, v69, v114
	v_cndmask_b32_e64 v69, 0, 1, vcc_lo
	v_add_co_ci_u32_e32 v65, vcc_lo, 0, v65, vcc_lo
	s_delay_alu instid0(VALU_DEP_2)
	v_lshrrev_b32_e32 v66, v69, v66
; %bb.5850:                             ;   in Loop: Header=BB4_5448 Depth=2
	s_and_not1_saveexec_b32 s7, s7
; %bb.5851:                             ;   in Loop: Header=BB4_5448 Depth=2
	s_delay_alu instid0(VALU_DEP_1)
	v_bfe_u32 v65, v66, 23, 1
; %bb.5852:                             ;   in Loop: Header=BB4_5448 Depth=2
	s_or_b32 exec_lo, exec_lo, s7
	v_lshrrev_b32_e32 v66, 20, v66
	s_delay_alu instid0(VALU_DEP_2) | instskip(SKIP_2) | instid1(VALU_DEP_2)
	v_cmp_gt_i32_e32 vcc_lo, 16, v65
	v_lshrrev_b32_e32 v69, 24, v103
	v_min_i32_e32 v103, 15, v65
	v_dual_cndmask_b32 v66, 7, v66 :: v_dual_and_b32 v69, 0x80, v69
	s_delay_alu instid0(VALU_DEP_2) | instskip(NEXT) | instid1(VALU_DEP_2)
	v_lshlrev_b32_e32 v103, 3, v103
	v_and_b32_e32 v114, 7, v66
	v_or_b32_e32 v65, v65, v66
	s_delay_alu instid0(VALU_DEP_2) | instskip(NEXT) | instid1(VALU_DEP_2)
	v_or3_b32 v66, v103, v69, v114
	v_cmp_ne_u32_e32 vcc_lo, 0, v65
	s_delay_alu instid0(VALU_DEP_2)
	v_cndmask_b32_e32 v65, 0, v66, vcc_lo
.LBB4_5853:                             ;   in Loop: Header=BB4_5448 Depth=2
	s_or_b32 exec_lo, exec_lo, s26
.LBB4_5854:                             ;   in Loop: Header=BB4_5448 Depth=2
	s_delay_alu instid0(SALU_CYCLE_1) | instskip(SKIP_2) | instid1(VALU_DEP_1)
	s_or_b32 exec_lo, exec_lo, s25
	v_and_b32_e32 v66, 0xff, v25
	s_and_not1_b32 vcc_lo, exec_lo, s23
	v_cmp_lt_i16_e64 s7, 0x7f, v66
	s_cbranch_vccnz .LBB4_5864
; %bb.5855:                             ;   in Loop: Header=BB4_5448 Depth=2
	s_mov_b32 s25, 0
                                        ; implicit-def: $sgpr26
	s_delay_alu instid0(VALU_DEP_1) | instskip(NEXT) | instid1(SALU_CYCLE_1)
	s_and_saveexec_b32 s27, s7
	s_xor_b32 s7, exec_lo, s27
	s_cbranch_execnz .LBB4_6134
; %bb.5856:                             ;   in Loop: Header=BB4_5448 Depth=2
	s_or_saveexec_b32 s7, s7
	v_mov_b32_e32 v69, s26
	s_xor_b32 exec_lo, exec_lo, s7
	s_cbranch_execnz .LBB4_6137
.LBB4_5857:                             ;   in Loop: Header=BB4_5448 Depth=2
	s_or_b32 exec_lo, exec_lo, s7
	s_and_saveexec_b32 s7, s25
	s_cbranch_execz .LBB4_5859
.LBB4_5858:                             ;   in Loop: Header=BB4_5448 Depth=2
	v_and_b32_e32 v69, 7, v25
	v_lshrrev_b16 v117, 3, v25
	s_delay_alu instid0(VALU_DEP_2) | instskip(NEXT) | instid1(VALU_DEP_2)
	v_clz_i32_u32_e32 v103, v69
	v_and_b32_e32 v117, 15, v117
	s_delay_alu instid0(VALU_DEP_2) | instskip(NEXT) | instid1(VALU_DEP_2)
	v_min_u32_e32 v103, 32, v103
	v_cmp_eq_u32_e32 vcc_lo, 0, v117
	s_delay_alu instid0(VALU_DEP_2) | instskip(SKIP_1) | instid1(VALU_DEP_1)
	v_subrev_nc_u32_e32 v114, 28, v103
	v_sub_nc_u32_e32 v103, 29, v103
	v_dual_cndmask_b32 v103, v117, v103 :: v_dual_lshlrev_b32 v114, v114, v25
	s_delay_alu instid0(VALU_DEP_1) | instskip(SKIP_1) | instid1(VALU_DEP_3)
	v_and_b32_e32 v114, 7, v114
	v_lshlrev_b32_e32 v128, 24, v25
	v_lshl_add_u32 v103, v103, 23, 0x3b800000
	s_delay_alu instid0(VALU_DEP_2) | instskip(NEXT) | instid1(VALU_DEP_1)
	v_dual_cndmask_b32 v69, v69, v114 :: v_dual_and_b32 v114, 0x80000000, v128
	v_lshlrev_b32_e32 v69, 20, v69
	s_delay_alu instid0(VALU_DEP_1)
	v_or3_b32 v69, v114, v103, v69
.LBB4_5859:                             ;   in Loop: Header=BB4_5448 Depth=2
	s_or_b32 exec_lo, exec_lo, s7
	s_waitcnt vmcnt(1) lgkmcnt(1)
	v_and_b32_e32 v114, 0xff, v24
	s_mov_b32 s7, 0
	s_mov_b32 s26, exec_lo
                                        ; implicit-def: $sgpr25
	s_delay_alu instid0(VALU_DEP_1)
	v_cmpx_lt_i16_e32 0x7f, v114
	s_xor_b32 s26, exec_lo, s26
	s_cbranch_execnz .LBB4_6138
; %bb.5860:                             ;   in Loop: Header=BB4_5448 Depth=2
	s_or_saveexec_b32 s26, s26
	v_mov_b32_e32 v103, s25
	s_xor_b32 exec_lo, exec_lo, s26
	s_cbranch_execnz .LBB4_6141
.LBB4_5861:                             ;   in Loop: Header=BB4_5448 Depth=2
	s_or_b32 exec_lo, exec_lo, s26
	s_and_saveexec_b32 s25, s7
	s_cbranch_execz .LBB4_5863
.LBB4_5862:                             ;   in Loop: Header=BB4_5448 Depth=2
	v_lshrrev_b16 v128, 3, v24
	v_lshlrev_b32_e32 v130, 24, v24
	s_delay_alu instid0(VALU_DEP_2) | instskip(NEXT) | instid1(VALU_DEP_1)
	v_and_b32_e32 v128, 15, v128
	v_cmp_eq_u32_e32 vcc_lo, 0, v128
	v_and_b32_e32 v103, 7, v24
	s_delay_alu instid0(VALU_DEP_1) | instskip(NEXT) | instid1(VALU_DEP_1)
	v_clz_i32_u32_e32 v114, v103
	v_min_u32_e32 v114, 32, v114
	s_delay_alu instid0(VALU_DEP_1) | instskip(SKIP_1) | instid1(VALU_DEP_1)
	v_subrev_nc_u32_e32 v117, 28, v114
	v_sub_nc_u32_e32 v114, 29, v114
	v_dual_cndmask_b32 v114, v128, v114 :: v_dual_lshlrev_b32 v117, v117, v24
	s_delay_alu instid0(VALU_DEP_1) | instskip(NEXT) | instid1(VALU_DEP_2)
	v_and_b32_e32 v117, 7, v117
	v_lshl_add_u32 v114, v114, 23, 0x3b800000
	s_delay_alu instid0(VALU_DEP_2) | instskip(SKIP_1) | instid1(VALU_DEP_2)
	v_cndmask_b32_e32 v103, v103, v117, vcc_lo
	v_and_b32_e32 v117, 0x80000000, v130
	v_lshlrev_b32_e32 v103, 20, v103
	s_delay_alu instid0(VALU_DEP_1)
	v_or3_b32 v103, v117, v114, v103
.LBB4_5863:                             ;   in Loop: Header=BB4_5448 Depth=2
	s_or_b32 exec_lo, exec_lo, s25
	s_delay_alu instid0(VALU_DEP_1) | instskip(SKIP_2) | instid1(VALU_DEP_1)
	v_max_f32_e32 v103, v103, v103
	v_max_f32_e32 v69, v69, v69
	s_mov_b32 s7, 0
	v_max_f32_e32 v69, v69, v103
	s_branch .LBB4_5865
.LBB4_5864:                             ;   in Loop: Header=BB4_5448 Depth=2
	s_mov_b32 s7, -1
                                        ; implicit-def: $vgpr69
.LBB4_5865:                             ;   in Loop: Header=BB4_5448 Depth=2
	s_delay_alu instid0(SALU_CYCLE_1)
	s_and_b32 vcc_lo, exec_lo, s7
	s_cbranch_vccz .LBB4_5875
; %bb.5866:                             ;   in Loop: Header=BB4_5448 Depth=2
	s_mov_b32 s7, 0
	s_mov_b32 s26, exec_lo
                                        ; implicit-def: $sgpr25
	v_cmpx_lt_i16_e32 0x7f, v66
	s_xor_b32 s26, exec_lo, s26
	s_cbranch_execnz .LBB4_6142
; %bb.5867:                             ;   in Loop: Header=BB4_5448 Depth=2
	s_or_saveexec_b32 s26, s26
	v_mov_b32_e32 v69, s25
	s_xor_b32 exec_lo, exec_lo, s26
	s_cbranch_execnz .LBB4_6145
.LBB4_5868:                             ;   in Loop: Header=BB4_5448 Depth=2
	s_or_b32 exec_lo, exec_lo, s26
	s_and_saveexec_b32 s25, s7
	s_cbranch_execz .LBB4_5870
.LBB4_5869:                             ;   in Loop: Header=BB4_5448 Depth=2
	v_and_b32_e32 v66, 7, v25
	v_lshrrev_b16 v114, 3, v25
	s_delay_alu instid0(VALU_DEP_2) | instskip(NEXT) | instid1(VALU_DEP_2)
	v_clz_i32_u32_e32 v69, v66
	v_and_b32_e32 v114, 15, v114
	s_delay_alu instid0(VALU_DEP_2) | instskip(NEXT) | instid1(VALU_DEP_2)
	v_min_u32_e32 v69, 32, v69
	v_cmp_eq_u32_e32 vcc_lo, 0, v114
	s_delay_alu instid0(VALU_DEP_2) | instskip(SKIP_1) | instid1(VALU_DEP_2)
	v_subrev_nc_u32_e32 v103, 28, v69
	v_sub_nc_u32_e32 v69, 29, v69
	v_lshlrev_b32_e32 v103, v103, v25
	s_delay_alu instid0(VALU_DEP_1) | instskip(NEXT) | instid1(VALU_DEP_1)
	v_and_b32_e32 v103, 7, v103
	v_dual_cndmask_b32 v66, v66, v103 :: v_dual_lshlrev_b32 v25, 24, v25
	s_delay_alu instid0(VALU_DEP_4) | instskip(NEXT) | instid1(VALU_DEP_2)
	v_cndmask_b32_e32 v69, v114, v69, vcc_lo
	v_and_b32_e32 v25, 0x80000000, v25
	s_delay_alu instid0(VALU_DEP_3) | instskip(NEXT) | instid1(VALU_DEP_3)
	v_lshlrev_b32_e32 v66, 20, v66
	v_lshl_add_u32 v69, v69, 23, 0x3b800000
	s_delay_alu instid0(VALU_DEP_1)
	v_or3_b32 v69, v25, v69, v66
.LBB4_5870:                             ;   in Loop: Header=BB4_5448 Depth=2
	s_or_b32 exec_lo, exec_lo, s25
	s_waitcnt vmcnt(1) lgkmcnt(1)
	v_and_b32_e32 v66, 0xff, v24
	s_mov_b32 s7, 0
	s_mov_b32 s26, exec_lo
                                        ; implicit-def: $sgpr25
	s_delay_alu instid0(VALU_DEP_1)
	v_cmpx_lt_i16_e32 0x7f, v66
	s_xor_b32 s26, exec_lo, s26
	s_cbranch_execnz .LBB4_6146
; %bb.5871:                             ;   in Loop: Header=BB4_5448 Depth=2
	s_or_saveexec_b32 s26, s26
	v_mov_b32_e32 v25, s25
	s_xor_b32 exec_lo, exec_lo, s26
	s_cbranch_execnz .LBB4_6149
.LBB4_5872:                             ;   in Loop: Header=BB4_5448 Depth=2
	s_or_b32 exec_lo, exec_lo, s26
	s_and_saveexec_b32 s25, s7
	s_cbranch_execz .LBB4_5874
.LBB4_5873:                             ;   in Loop: Header=BB4_5448 Depth=2
	v_lshrrev_b16 v114, 3, v24
	s_delay_alu instid0(VALU_DEP_1) | instskip(NEXT) | instid1(VALU_DEP_1)
	v_and_b32_e32 v114, 15, v114
	v_cmp_eq_u32_e32 vcc_lo, 0, v114
	v_and_b32_e32 v25, 7, v24
	s_delay_alu instid0(VALU_DEP_1) | instskip(NEXT) | instid1(VALU_DEP_1)
	v_clz_i32_u32_e32 v66, v25
	v_min_u32_e32 v66, 32, v66
	s_delay_alu instid0(VALU_DEP_1) | instskip(SKIP_1) | instid1(VALU_DEP_1)
	v_subrev_nc_u32_e32 v103, 28, v66
	v_sub_nc_u32_e32 v66, 29, v66
	v_dual_cndmask_b32 v66, v114, v66 :: v_dual_lshlrev_b32 v103, v103, v24
	v_lshlrev_b32_e32 v24, 24, v24
	s_delay_alu instid0(VALU_DEP_2) | instskip(NEXT) | instid1(VALU_DEP_3)
	v_and_b32_e32 v103, 7, v103
	v_lshl_add_u32 v66, v66, 23, 0x3b800000
	s_delay_alu instid0(VALU_DEP_2) | instskip(NEXT) | instid1(VALU_DEP_1)
	v_dual_cndmask_b32 v25, v25, v103 :: v_dual_and_b32 v24, 0x80000000, v24
	v_lshlrev_b32_e32 v25, 20, v25
	s_delay_alu instid0(VALU_DEP_1)
	v_or3_b32 v25, v24, v66, v25
.LBB4_5874:                             ;   in Loop: Header=BB4_5448 Depth=2
	s_or_b32 exec_lo, exec_lo, s25
	s_delay_alu instid0(VALU_DEP_1) | instskip(SKIP_1) | instid1(VALU_DEP_1)
	v_max_f32_e32 v24, v25, v25
	v_max_f32_e32 v25, v69, v69
	v_min_f32_e32 v69, v25, v24
.LBB4_5875:                             ;   in Loop: Header=BB4_5448 Depth=2
	s_waitcnt vmcnt(1) lgkmcnt(1)
	s_delay_alu instid0(VALU_DEP_1) | instskip(NEXT) | instid1(VALU_DEP_1)
	v_and_b32_e32 v24, 0x7f800000, v69
	v_cmp_ne_u32_e32 vcc_lo, 0x7f800000, v24
	v_mov_b32_e32 v24, 0x80
	s_and_saveexec_b32 s25, vcc_lo
	s_cbranch_execz .LBB4_5883
; %bb.5876:                             ;   in Loop: Header=BB4_5448 Depth=2
	v_mov_b32_e32 v24, 0
	s_mov_b32 s26, exec_lo
	v_cmpx_ne_u32_e32 0, v69
	s_cbranch_execz .LBB4_5882
; %bb.5877:                             ;   in Loop: Header=BB4_5448 Depth=2
	v_bfe_u32 v24, v69, 23, 8
	s_delay_alu instid0(VALU_DEP_1) | instskip(SKIP_1) | instid1(VALU_DEP_2)
	v_sub_nc_u32_e32 v66, 0x78, v24
	v_cmp_gt_u32_e32 vcc_lo, 0x79, v24
	v_dual_cndmask_b32 v66, 0, v66 :: v_dual_and_b32 v25, 0x7fffff, v69
	s_delay_alu instid0(VALU_DEP_1) | instskip(SKIP_2) | instid1(VALU_DEP_4)
	v_or_b32_e32 v103, 0x800000, v25
	v_cmp_eq_u32_e32 vcc_lo, 0, v24
	v_add_nc_u32_e32 v24, 0xffffff89, v24
	v_cndmask_b32_e64 v66, v66, 0x77, vcc_lo
	s_delay_alu instid0(VALU_DEP_4) | instskip(NEXT) | instid1(VALU_DEP_3)
	v_cndmask_b32_e32 v25, v103, v25, vcc_lo
	v_cndmask_b32_e64 v24, v24, 0xffffff8a, vcc_lo
	s_delay_alu instid0(VALU_DEP_3) | instskip(NEXT) | instid1(VALU_DEP_3)
	v_lshl_add_u32 v103, 0x100000, v66, -1
	v_lshrrev_b32_e32 v114, v66, v25
	v_lshlrev_b32_e64 v128, v66, 0x80000
	s_delay_alu instid0(VALU_DEP_4) | instskip(NEXT) | instid1(VALU_DEP_4)
	v_add_nc_u32_e32 v66, v66, v24
	v_and_b32_e32 v25, v103, v25
	s_delay_alu instid0(VALU_DEP_4) | instskip(NEXT) | instid1(VALU_DEP_2)
	v_bfe_u32 v117, v114, 20, 1
	v_cmp_eq_u32_e64 s7, v25, v128
	s_delay_alu instid0(VALU_DEP_2) | instskip(NEXT) | instid1(VALU_DEP_1)
	v_add_nc_u32_e32 v103, -1, v117
	v_cndmask_b32_e64 v25, 0, v103, s7
	v_lshrrev_b32_e32 v103, 23, v114
	s_mov_b32 s7, exec_lo
	s_delay_alu instid0(VALU_DEP_2) | instskip(NEXT) | instid1(VALU_DEP_2)
	v_add_nc_u32_e32 v25, v25, v114
	v_xor_b32_e32 v103, 1, v103
	s_delay_alu instid0(VALU_DEP_2) | instskip(NEXT) | instid1(VALU_DEP_1)
	v_and_b32_e32 v24, 0xfffff, v25
	v_add_nc_u32_e32 v25, v24, v114
                                        ; implicit-def: $vgpr24
	s_delay_alu instid0(VALU_DEP_3)
	v_cmpx_ne_u32_e64 v66, v103
	s_xor_b32 s7, exec_lo, s7
; %bb.5878:                             ;   in Loop: Header=BB4_5448 Depth=2
	s_delay_alu instid0(VALU_DEP_2) | instskip(SKIP_2) | instid1(VALU_DEP_2)
	v_cmp_lt_u32_e32 vcc_lo, 0xffffff, v25
	v_sub_nc_u32_e32 v24, v66, v103
	v_cndmask_b32_e64 v66, 0, 1, vcc_lo
	v_add_co_ci_u32_e32 v24, vcc_lo, 0, v24, vcc_lo
	s_delay_alu instid0(VALU_DEP_2)
	v_lshrrev_b32_e32 v25, v66, v25
; %bb.5879:                             ;   in Loop: Header=BB4_5448 Depth=2
	s_and_not1_saveexec_b32 s7, s7
; %bb.5880:                             ;   in Loop: Header=BB4_5448 Depth=2
	s_delay_alu instid0(VALU_DEP_1)
	v_bfe_u32 v24, v25, 23, 1
; %bb.5881:                             ;   in Loop: Header=BB4_5448 Depth=2
	s_or_b32 exec_lo, exec_lo, s7
	v_lshrrev_b32_e32 v25, 20, v25
	s_delay_alu instid0(VALU_DEP_2) | instskip(SKIP_2) | instid1(VALU_DEP_2)
	v_cmp_gt_i32_e32 vcc_lo, 16, v24
	v_lshrrev_b32_e32 v66, 24, v69
	v_min_i32_e32 v69, 15, v24
	v_dual_cndmask_b32 v25, 7, v25 :: v_dual_and_b32 v66, 0x80, v66
	s_delay_alu instid0(VALU_DEP_2) | instskip(NEXT) | instid1(VALU_DEP_2)
	v_lshlrev_b32_e32 v69, 3, v69
	v_and_b32_e32 v103, 7, v25
	v_or_b32_e32 v24, v24, v25
	s_delay_alu instid0(VALU_DEP_2) | instskip(NEXT) | instid1(VALU_DEP_2)
	v_or3_b32 v25, v69, v66, v103
	v_cmp_ne_u32_e32 vcc_lo, 0, v24
	s_delay_alu instid0(VALU_DEP_2)
	v_cndmask_b32_e32 v24, 0, v25, vcc_lo
.LBB4_5882:                             ;   in Loop: Header=BB4_5448 Depth=2
	s_or_b32 exec_lo, exec_lo, s26
.LBB4_5883:                             ;   in Loop: Header=BB4_5448 Depth=2
	s_delay_alu instid0(SALU_CYCLE_1) | instskip(SKIP_2) | instid1(VALU_DEP_1)
	s_or_b32 exec_lo, exec_lo, s25
	v_and_b32_e32 v25, 0xff, v22
	s_and_not1_b32 vcc_lo, exec_lo, s23
	v_cmp_lt_i16_e64 s7, 0x7f, v25
	s_cbranch_vccnz .LBB4_5893
; %bb.5884:                             ;   in Loop: Header=BB4_5448 Depth=2
	s_mov_b32 s25, 0
                                        ; implicit-def: $sgpr26
	s_delay_alu instid0(VALU_DEP_1) | instskip(NEXT) | instid1(SALU_CYCLE_1)
	s_and_saveexec_b32 s27, s7
	s_xor_b32 s7, exec_lo, s27
	s_cbranch_execnz .LBB4_6150
; %bb.5885:                             ;   in Loop: Header=BB4_5448 Depth=2
	s_or_saveexec_b32 s7, s7
	v_mov_b32_e32 v66, s26
	s_xor_b32 exec_lo, exec_lo, s7
	s_cbranch_execnz .LBB4_6153
.LBB4_5886:                             ;   in Loop: Header=BB4_5448 Depth=2
	s_or_b32 exec_lo, exec_lo, s7
	s_and_saveexec_b32 s7, s25
	s_cbranch_execz .LBB4_5888
.LBB4_5887:                             ;   in Loop: Header=BB4_5448 Depth=2
	v_lshrrev_b16 v114, 3, v22
	s_delay_alu instid0(VALU_DEP_1) | instskip(NEXT) | instid1(VALU_DEP_1)
	v_and_b32_e32 v114, 15, v114
	v_cmp_eq_u32_e32 vcc_lo, 0, v114
	v_and_b32_e32 v66, 7, v22
	s_delay_alu instid0(VALU_DEP_1) | instskip(NEXT) | instid1(VALU_DEP_1)
	v_clz_i32_u32_e32 v69, v66
	v_min_u32_e32 v69, 32, v69
	s_delay_alu instid0(VALU_DEP_1) | instskip(SKIP_1) | instid1(VALU_DEP_2)
	v_subrev_nc_u32_e32 v103, 28, v69
	v_sub_nc_u32_e32 v69, 29, v69
	v_lshlrev_b32_e32 v103, v103, v22
	s_delay_alu instid0(VALU_DEP_2) | instskip(NEXT) | instid1(VALU_DEP_2)
	v_cndmask_b32_e32 v69, v114, v69, vcc_lo
	v_and_b32_e32 v103, 7, v103
	v_lshlrev_b32_e32 v117, 24, v22
	s_delay_alu instid0(VALU_DEP_3) | instskip(NEXT) | instid1(VALU_DEP_2)
	v_lshl_add_u32 v69, v69, 23, 0x3b800000
	v_dual_cndmask_b32 v66, v66, v103 :: v_dual_and_b32 v103, 0x80000000, v117
	s_delay_alu instid0(VALU_DEP_1) | instskip(NEXT) | instid1(VALU_DEP_1)
	v_lshlrev_b32_e32 v66, 20, v66
	v_or3_b32 v66, v103, v69, v66
.LBB4_5888:                             ;   in Loop: Header=BB4_5448 Depth=2
	s_or_b32 exec_lo, exec_lo, s7
	s_waitcnt vmcnt(0) lgkmcnt(0)
	v_and_b32_e32 v103, 0xff, v21
	s_mov_b32 s7, 0
	s_mov_b32 s26, exec_lo
                                        ; implicit-def: $sgpr25
	s_delay_alu instid0(VALU_DEP_1)
	v_cmpx_lt_i16_e32 0x7f, v103
	s_xor_b32 s26, exec_lo, s26
	s_cbranch_execnz .LBB4_6154
; %bb.5889:                             ;   in Loop: Header=BB4_5448 Depth=2
	s_or_saveexec_b32 s26, s26
	v_mov_b32_e32 v69, s25
	s_xor_b32 exec_lo, exec_lo, s26
	s_cbranch_execnz .LBB4_6157
.LBB4_5890:                             ;   in Loop: Header=BB4_5448 Depth=2
	s_or_b32 exec_lo, exec_lo, s26
	s_and_saveexec_b32 s25, s7
	s_cbranch_execz .LBB4_5892
.LBB4_5891:                             ;   in Loop: Header=BB4_5448 Depth=2
	v_and_b32_e32 v69, 7, v21
	v_lshrrev_b16 v117, 3, v21
	s_delay_alu instid0(VALU_DEP_2) | instskip(NEXT) | instid1(VALU_DEP_2)
	v_clz_i32_u32_e32 v103, v69
	v_and_b32_e32 v117, 15, v117
	s_delay_alu instid0(VALU_DEP_2) | instskip(NEXT) | instid1(VALU_DEP_2)
	v_min_u32_e32 v103, 32, v103
	v_cmp_eq_u32_e32 vcc_lo, 0, v117
	s_delay_alu instid0(VALU_DEP_2) | instskip(SKIP_1) | instid1(VALU_DEP_1)
	v_subrev_nc_u32_e32 v114, 28, v103
	v_sub_nc_u32_e32 v103, 29, v103
	v_dual_cndmask_b32 v103, v117, v103 :: v_dual_lshlrev_b32 v114, v114, v21
	s_delay_alu instid0(VALU_DEP_1) | instskip(SKIP_1) | instid1(VALU_DEP_3)
	v_and_b32_e32 v114, 7, v114
	v_lshlrev_b32_e32 v128, 24, v21
	v_lshl_add_u32 v103, v103, 23, 0x3b800000
	s_delay_alu instid0(VALU_DEP_2) | instskip(NEXT) | instid1(VALU_DEP_1)
	v_dual_cndmask_b32 v69, v69, v114 :: v_dual_and_b32 v114, 0x80000000, v128
	v_lshlrev_b32_e32 v69, 20, v69
	s_delay_alu instid0(VALU_DEP_1)
	v_or3_b32 v69, v114, v103, v69
.LBB4_5892:                             ;   in Loop: Header=BB4_5448 Depth=2
	s_or_b32 exec_lo, exec_lo, s25
	s_delay_alu instid0(VALU_DEP_1) | instskip(SKIP_1) | instid1(VALU_DEP_1)
	v_dual_max_f32 v69, v69, v69 :: v_dual_max_f32 v66, v66, v66
	s_mov_b32 s7, 0
	v_max_f32_e32 v66, v66, v69
	s_branch .LBB4_5894
.LBB4_5893:                             ;   in Loop: Header=BB4_5448 Depth=2
	s_mov_b32 s7, -1
                                        ; implicit-def: $vgpr66
.LBB4_5894:                             ;   in Loop: Header=BB4_5448 Depth=2
	s_delay_alu instid0(SALU_CYCLE_1)
	s_and_b32 vcc_lo, exec_lo, s7
	s_cbranch_vccz .LBB4_5904
; %bb.5895:                             ;   in Loop: Header=BB4_5448 Depth=2
	s_mov_b32 s7, 0
	s_mov_b32 s26, exec_lo
                                        ; implicit-def: $sgpr25
	v_cmpx_lt_i16_e32 0x7f, v25
	s_xor_b32 s26, exec_lo, s26
	s_cbranch_execnz .LBB4_6158
; %bb.5896:                             ;   in Loop: Header=BB4_5448 Depth=2
	s_or_saveexec_b32 s26, s26
	v_mov_b32_e32 v66, s25
	s_xor_b32 exec_lo, exec_lo, s26
	s_cbranch_execnz .LBB4_6161
.LBB4_5897:                             ;   in Loop: Header=BB4_5448 Depth=2
	s_or_b32 exec_lo, exec_lo, s26
	s_and_saveexec_b32 s25, s7
	s_cbranch_execz .LBB4_5899
.LBB4_5898:                             ;   in Loop: Header=BB4_5448 Depth=2
	v_and_b32_e32 v25, 7, v22
	v_lshrrev_b16 v103, 3, v22
	s_delay_alu instid0(VALU_DEP_2) | instskip(NEXT) | instid1(VALU_DEP_2)
	v_clz_i32_u32_e32 v66, v25
	v_and_b32_e32 v103, 15, v103
	s_delay_alu instid0(VALU_DEP_2) | instskip(NEXT) | instid1(VALU_DEP_2)
	v_min_u32_e32 v66, 32, v66
	v_cmp_eq_u32_e32 vcc_lo, 0, v103
	s_delay_alu instid0(VALU_DEP_2) | instskip(SKIP_1) | instid1(VALU_DEP_2)
	v_subrev_nc_u32_e32 v69, 28, v66
	v_sub_nc_u32_e32 v66, 29, v66
	v_lshlrev_b32_e32 v69, v69, v22
	s_delay_alu instid0(VALU_DEP_1) | instskip(SKIP_1) | instid1(VALU_DEP_2)
	v_dual_cndmask_b32 v66, v103, v66 :: v_dual_and_b32 v69, 7, v69
	v_lshlrev_b32_e32 v22, 24, v22
	v_lshl_add_u32 v66, v66, 23, 0x3b800000
	s_delay_alu instid0(VALU_DEP_2) | instskip(NEXT) | instid1(VALU_DEP_1)
	v_dual_cndmask_b32 v25, v25, v69 :: v_dual_and_b32 v22, 0x80000000, v22
	v_lshlrev_b32_e32 v25, 20, v25
	s_delay_alu instid0(VALU_DEP_1)
	v_or3_b32 v66, v22, v66, v25
.LBB4_5899:                             ;   in Loop: Header=BB4_5448 Depth=2
	s_or_b32 exec_lo, exec_lo, s25
	s_waitcnt vmcnt(0) lgkmcnt(0)
	v_and_b32_e32 v25, 0xff, v21
	s_mov_b32 s7, 0
	s_mov_b32 s26, exec_lo
                                        ; implicit-def: $sgpr25
	s_delay_alu instid0(VALU_DEP_1)
	v_cmpx_lt_i16_e32 0x7f, v25
	s_xor_b32 s26, exec_lo, s26
	s_cbranch_execnz .LBB4_6162
; %bb.5900:                             ;   in Loop: Header=BB4_5448 Depth=2
	s_or_saveexec_b32 s26, s26
	v_mov_b32_e32 v22, s25
	s_xor_b32 exec_lo, exec_lo, s26
	s_cbranch_execnz .LBB4_6165
.LBB4_5901:                             ;   in Loop: Header=BB4_5448 Depth=2
	s_or_b32 exec_lo, exec_lo, s26
	s_and_saveexec_b32 s25, s7
	s_cbranch_execz .LBB4_5903
.LBB4_5902:                             ;   in Loop: Header=BB4_5448 Depth=2
	v_and_b32_e32 v22, 7, v21
	v_lshrrev_b16 v103, 3, v21
	s_delay_alu instid0(VALU_DEP_2) | instskip(NEXT) | instid1(VALU_DEP_1)
	v_clz_i32_u32_e32 v25, v22
	v_min_u32_e32 v25, 32, v25
	s_delay_alu instid0(VALU_DEP_1) | instskip(SKIP_1) | instid1(VALU_DEP_2)
	v_subrev_nc_u32_e32 v69, 28, v25
	v_sub_nc_u32_e32 v25, 29, v25
	v_lshlrev_b32_e32 v69, v69, v21
	v_lshlrev_b32_e32 v21, 24, v21
	s_delay_alu instid0(VALU_DEP_2) | instskip(SKIP_1) | instid1(VALU_DEP_3)
	v_and_b32_e32 v69, 7, v69
	v_and_b32_e32 v103, 15, v103
	;; [unrolled: 1-line block ×3, first 2 shown]
	s_delay_alu instid0(VALU_DEP_2) | instskip(NEXT) | instid1(VALU_DEP_4)
	v_cmp_eq_u32_e32 vcc_lo, 0, v103
	v_cndmask_b32_e32 v22, v22, v69, vcc_lo
	s_delay_alu instid0(VALU_DEP_1) | instskip(NEXT) | instid1(VALU_DEP_1)
	v_dual_cndmask_b32 v25, v103, v25 :: v_dual_lshlrev_b32 v22, 20, v22
	v_lshl_add_u32 v25, v25, 23, 0x3b800000
	s_delay_alu instid0(VALU_DEP_1)
	v_or3_b32 v22, v21, v25, v22
.LBB4_5903:                             ;   in Loop: Header=BB4_5448 Depth=2
	s_or_b32 exec_lo, exec_lo, s25
	s_delay_alu instid0(VALU_DEP_1) | instskip(SKIP_1) | instid1(VALU_DEP_1)
	v_max_f32_e32 v21, v22, v22
	v_max_f32_e32 v22, v66, v66
	v_min_f32_e32 v66, v22, v21
.LBB4_5904:                             ;   in Loop: Header=BB4_5448 Depth=2
	s_waitcnt vmcnt(0) lgkmcnt(0)
	s_delay_alu instid0(VALU_DEP_1) | instskip(NEXT) | instid1(VALU_DEP_1)
	v_and_b32_e32 v21, 0x7f800000, v66
	v_cmp_ne_u32_e32 vcc_lo, 0x7f800000, v21
	v_mov_b32_e32 v21, 0x80
	s_and_saveexec_b32 s25, vcc_lo
	s_cbranch_execz .LBB4_5447
; %bb.5905:                             ;   in Loop: Header=BB4_5448 Depth=2
	v_mov_b32_e32 v21, 0
	s_mov_b32 s26, exec_lo
	v_cmpx_ne_u32_e32 0, v66
	s_cbranch_execz .LBB4_5446
; %bb.5906:                             ;   in Loop: Header=BB4_5448 Depth=2
	v_bfe_u32 v21, v66, 23, 8
	s_delay_alu instid0(VALU_DEP_1) | instskip(SKIP_1) | instid1(VALU_DEP_2)
	v_sub_nc_u32_e32 v25, 0x78, v21
	v_cmp_gt_u32_e32 vcc_lo, 0x79, v21
	v_dual_cndmask_b32 v25, 0, v25 :: v_dual_and_b32 v22, 0x7fffff, v66
	s_delay_alu instid0(VALU_DEP_1) | instskip(SKIP_2) | instid1(VALU_DEP_4)
	v_or_b32_e32 v69, 0x800000, v22
	v_cmp_eq_u32_e32 vcc_lo, 0, v21
	v_add_nc_u32_e32 v21, 0xffffff89, v21
	v_cndmask_b32_e64 v25, v25, 0x77, vcc_lo
	s_delay_alu instid0(VALU_DEP_4) | instskip(NEXT) | instid1(VALU_DEP_3)
	v_cndmask_b32_e32 v22, v69, v22, vcc_lo
	v_cndmask_b32_e64 v21, v21, 0xffffff8a, vcc_lo
	s_delay_alu instid0(VALU_DEP_3) | instskip(NEXT) | instid1(VALU_DEP_3)
	v_lshl_add_u32 v69, 0x100000, v25, -1
	v_lshrrev_b32_e32 v103, v25, v22
	v_lshlrev_b32_e64 v117, v25, 0x80000
	s_delay_alu instid0(VALU_DEP_4) | instskip(NEXT) | instid1(VALU_DEP_4)
	v_add_nc_u32_e32 v25, v25, v21
	v_and_b32_e32 v22, v69, v22
	s_delay_alu instid0(VALU_DEP_4) | instskip(NEXT) | instid1(VALU_DEP_2)
	v_bfe_u32 v114, v103, 20, 1
	v_cmp_eq_u32_e64 s7, v22, v117
	s_delay_alu instid0(VALU_DEP_2) | instskip(NEXT) | instid1(VALU_DEP_1)
	v_add_nc_u32_e32 v69, -1, v114
	v_cndmask_b32_e64 v22, 0, v69, s7
	v_lshrrev_b32_e32 v69, 23, v103
	s_mov_b32 s7, exec_lo
	s_delay_alu instid0(VALU_DEP_2) | instskip(NEXT) | instid1(VALU_DEP_2)
	v_add_nc_u32_e32 v22, v22, v103
	v_xor_b32_e32 v69, 1, v69
	s_delay_alu instid0(VALU_DEP_2) | instskip(NEXT) | instid1(VALU_DEP_1)
	v_and_b32_e32 v21, 0xfffff, v22
	v_add_nc_u32_e32 v22, v21, v103
                                        ; implicit-def: $vgpr21
	s_delay_alu instid0(VALU_DEP_3)
	v_cmpx_ne_u32_e64 v25, v69
	s_xor_b32 s7, exec_lo, s7
; %bb.5907:                             ;   in Loop: Header=BB4_5448 Depth=2
	s_delay_alu instid0(VALU_DEP_2) | instskip(SKIP_2) | instid1(VALU_DEP_2)
	v_cmp_lt_u32_e32 vcc_lo, 0xffffff, v22
	v_sub_nc_u32_e32 v21, v25, v69
	v_cndmask_b32_e64 v25, 0, 1, vcc_lo
	v_add_co_ci_u32_e32 v21, vcc_lo, 0, v21, vcc_lo
	s_delay_alu instid0(VALU_DEP_2)
	v_lshrrev_b32_e32 v22, v25, v22
; %bb.5908:                             ;   in Loop: Header=BB4_5448 Depth=2
	s_and_not1_saveexec_b32 s7, s7
	s_cbranch_execz .LBB4_5445
; %bb.5909:                             ;   in Loop: Header=BB4_5448 Depth=2
	s_delay_alu instid0(VALU_DEP_1)
	v_bfe_u32 v21, v22, 23, 1
	s_branch .LBB4_5445
.LBB4_5910:                             ;   in Loop: Header=BB4_5448 Depth=2
	s_mov_b32 s25, -1
	s_mov_b32 s27, exec_lo
                                        ; implicit-def: $sgpr26
	v_cmpx_eq_u16_e64 0x80, v146
; %bb.5911:                             ;   in Loop: Header=BB4_5448 Depth=2
	s_mov_b32 s26, 0x7f800001
	s_xor_b32 s25, exec_lo, -1
; %bb.5912:                             ;   in Loop: Header=BB4_5448 Depth=2
	s_or_b32 exec_lo, exec_lo, s27
	s_delay_alu instid0(SALU_CYCLE_1)
	s_and_b32 s25, s25, exec_lo
	s_or_saveexec_b32 s7, s7
	v_mov_b32_e32 v147, s26
	s_xor_b32 exec_lo, exec_lo, s7
	s_cbranch_execz .LBB4_5451
.LBB4_5913:                             ;   in Loop: Header=BB4_5448 Depth=2
	v_cmp_ne_u16_e64 vcc_lo, 0, v146
	v_mov_b32_e32 v147, 0
	s_and_not1_b32 s25, s25, exec_lo
	s_delay_alu instid0(VALU_DEP_2) | instskip(NEXT) | instid1(SALU_CYCLE_1)
	s_and_b32 s26, vcc_lo, exec_lo
	s_or_b32 s25, s25, s26
	s_or_b32 exec_lo, exec_lo, s7
	s_and_saveexec_b32 s7, s25
	s_cbranch_execnz .LBB4_5452
	s_branch .LBB4_5453
.LBB4_5914:                             ;   in Loop: Header=BB4_5448 Depth=2
	s_mov_b32 s7, -1
	s_mov_b32 s27, exec_lo
                                        ; implicit-def: $sgpr25
	v_cmpx_eq_u16_e64 0x80, v149
; %bb.5915:                             ;   in Loop: Header=BB4_5448 Depth=2
	s_mov_b32 s25, 0x7f800001
	s_xor_b32 s7, exec_lo, -1
; %bb.5916:                             ;   in Loop: Header=BB4_5448 Depth=2
	s_or_b32 exec_lo, exec_lo, s27
	s_delay_alu instid0(SALU_CYCLE_1)
	s_and_b32 s7, s7, exec_lo
                                        ; implicit-def: $vgpr149
	s_or_saveexec_b32 s26, s26
	v_mov_b32_e32 v148, s25
	s_xor_b32 exec_lo, exec_lo, s26
	s_cbranch_execz .LBB4_5455
.LBB4_5917:                             ;   in Loop: Header=BB4_5448 Depth=2
	v_cmp_ne_u16_e64 vcc_lo, 0, v149
	v_mov_b32_e32 v148, 0
	s_and_not1_b32 s7, s7, exec_lo
	s_delay_alu instid0(VALU_DEP_2) | instskip(NEXT) | instid1(SALU_CYCLE_1)
	s_and_b32 s25, vcc_lo, exec_lo
	s_or_b32 s7, s7, s25
	s_or_b32 exec_lo, exec_lo, s26
	s_and_saveexec_b32 s25, s7
	s_cbranch_execnz .LBB4_5456
	s_branch .LBB4_5457
.LBB4_5918:                             ;   in Loop: Header=BB4_5448 Depth=2
	s_mov_b32 s7, -1
	s_mov_b32 s27, exec_lo
                                        ; implicit-def: $sgpr25
	v_cmpx_eq_u16_e64 0x80, v146
; %bb.5919:                             ;   in Loop: Header=BB4_5448 Depth=2
	s_mov_b32 s25, 0x7f800001
	s_xor_b32 s7, exec_lo, -1
; %bb.5920:                             ;   in Loop: Header=BB4_5448 Depth=2
	s_or_b32 exec_lo, exec_lo, s27
	s_delay_alu instid0(SALU_CYCLE_1)
	s_and_b32 s7, s7, exec_lo
                                        ; implicit-def: $vgpr146
	s_or_saveexec_b32 s26, s26
	v_mov_b32_e32 v147, s25
	s_xor_b32 exec_lo, exec_lo, s26
	s_cbranch_execz .LBB4_5462
.LBB4_5921:                             ;   in Loop: Header=BB4_5448 Depth=2
	v_cmp_ne_u16_e64 vcc_lo, 0, v146
	v_mov_b32_e32 v147, 0
	s_and_not1_b32 s7, s7, exec_lo
	s_delay_alu instid0(VALU_DEP_2) | instskip(NEXT) | instid1(SALU_CYCLE_1)
	s_and_b32 s25, vcc_lo, exec_lo
	s_or_b32 s7, s7, s25
	s_or_b32 exec_lo, exec_lo, s26
	s_and_saveexec_b32 s25, s7
	s_cbranch_execnz .LBB4_5463
	s_branch .LBB4_5464
.LBB4_5922:                             ;   in Loop: Header=BB4_5448 Depth=2
	s_mov_b32 s7, -1
	s_mov_b32 s27, exec_lo
                                        ; implicit-def: $sgpr25
	v_cmpx_eq_u16_e64 0x80, v146
; %bb.5923:                             ;   in Loop: Header=BB4_5448 Depth=2
	s_mov_b32 s25, 0x7f800001
	s_xor_b32 s7, exec_lo, -1
; %bb.5924:                             ;   in Loop: Header=BB4_5448 Depth=2
	s_or_b32 exec_lo, exec_lo, s27
	s_delay_alu instid0(SALU_CYCLE_1)
	s_and_b32 s7, s7, exec_lo
                                        ; implicit-def: $vgpr146
	s_or_saveexec_b32 s26, s26
	v_mov_b32_e32 v145, s25
	s_xor_b32 exec_lo, exec_lo, s26
	s_cbranch_execz .LBB4_5466
.LBB4_5925:                             ;   in Loop: Header=BB4_5448 Depth=2
	v_cmp_ne_u16_e64 vcc_lo, 0, v146
	v_mov_b32_e32 v145, 0
	s_and_not1_b32 s7, s7, exec_lo
	s_delay_alu instid0(VALU_DEP_2) | instskip(NEXT) | instid1(SALU_CYCLE_1)
	s_and_b32 s25, vcc_lo, exec_lo
	s_or_b32 s7, s7, s25
	s_or_b32 exec_lo, exec_lo, s26
	s_and_saveexec_b32 s25, s7
	s_cbranch_execnz .LBB4_5467
	s_branch .LBB4_5468
.LBB4_5926:                             ;   in Loop: Header=BB4_5448 Depth=2
	s_mov_b32 s25, -1
	s_mov_b32 s27, exec_lo
                                        ; implicit-def: $sgpr26
	v_cmpx_eq_u16_e64 0x80, v145
; %bb.5927:                             ;   in Loop: Header=BB4_5448 Depth=2
	s_mov_b32 s26, 0x7f800001
	s_xor_b32 s25, exec_lo, -1
; %bb.5928:                             ;   in Loop: Header=BB4_5448 Depth=2
	s_or_b32 exec_lo, exec_lo, s27
	s_delay_alu instid0(SALU_CYCLE_1)
	s_and_b32 s25, s25, exec_lo
	s_or_saveexec_b32 s7, s7
	v_mov_b32_e32 v146, s26
	s_xor_b32 exec_lo, exec_lo, s7
	s_cbranch_execz .LBB4_5480
.LBB4_5929:                             ;   in Loop: Header=BB4_5448 Depth=2
	v_cmp_ne_u16_e64 vcc_lo, 0, v145
	v_mov_b32_e32 v146, 0
	s_and_not1_b32 s25, s25, exec_lo
	s_delay_alu instid0(VALU_DEP_2) | instskip(NEXT) | instid1(SALU_CYCLE_1)
	s_and_b32 s26, vcc_lo, exec_lo
	s_or_b32 s25, s25, s26
	s_or_b32 exec_lo, exec_lo, s7
	s_and_saveexec_b32 s7, s25
	s_cbranch_execnz .LBB4_5481
	s_branch .LBB4_5482
.LBB4_5930:                             ;   in Loop: Header=BB4_5448 Depth=2
	s_mov_b32 s7, -1
	s_mov_b32 s27, exec_lo
                                        ; implicit-def: $sgpr25
	v_cmpx_eq_u16_e64 0x80, v148
; %bb.5931:                             ;   in Loop: Header=BB4_5448 Depth=2
	s_mov_b32 s25, 0x7f800001
	s_xor_b32 s7, exec_lo, -1
; %bb.5932:                             ;   in Loop: Header=BB4_5448 Depth=2
	s_or_b32 exec_lo, exec_lo, s27
	s_delay_alu instid0(SALU_CYCLE_1)
	s_and_b32 s7, s7, exec_lo
                                        ; implicit-def: $vgpr148
	s_or_saveexec_b32 s26, s26
	v_mov_b32_e32 v147, s25
	s_xor_b32 exec_lo, exec_lo, s26
	s_cbranch_execz .LBB4_5484
.LBB4_5933:                             ;   in Loop: Header=BB4_5448 Depth=2
	v_cmp_ne_u16_e64 vcc_lo, 0, v148
	v_mov_b32_e32 v147, 0
	s_and_not1_b32 s7, s7, exec_lo
	s_delay_alu instid0(VALU_DEP_2) | instskip(NEXT) | instid1(SALU_CYCLE_1)
	s_and_b32 s25, vcc_lo, exec_lo
	s_or_b32 s7, s7, s25
	s_or_b32 exec_lo, exec_lo, s26
	s_and_saveexec_b32 s25, s7
	s_cbranch_execnz .LBB4_5485
	s_branch .LBB4_5486
.LBB4_5934:                             ;   in Loop: Header=BB4_5448 Depth=2
	s_mov_b32 s7, -1
	s_mov_b32 s27, exec_lo
                                        ; implicit-def: $sgpr25
	v_cmpx_eq_u16_e64 0x80, v145
; %bb.5935:                             ;   in Loop: Header=BB4_5448 Depth=2
	s_mov_b32 s25, 0x7f800001
	s_xor_b32 s7, exec_lo, -1
; %bb.5936:                             ;   in Loop: Header=BB4_5448 Depth=2
	s_or_b32 exec_lo, exec_lo, s27
	s_delay_alu instid0(SALU_CYCLE_1)
	s_and_b32 s7, s7, exec_lo
                                        ; implicit-def: $vgpr145
	s_or_saveexec_b32 s26, s26
	v_mov_b32_e32 v146, s25
	s_xor_b32 exec_lo, exec_lo, s26
	s_cbranch_execz .LBB4_5491
.LBB4_5937:                             ;   in Loop: Header=BB4_5448 Depth=2
	v_cmp_ne_u16_e64 vcc_lo, 0, v145
	v_mov_b32_e32 v146, 0
	s_and_not1_b32 s7, s7, exec_lo
	s_delay_alu instid0(VALU_DEP_2) | instskip(NEXT) | instid1(SALU_CYCLE_1)
	s_and_b32 s25, vcc_lo, exec_lo
	s_or_b32 s7, s7, s25
	s_or_b32 exec_lo, exec_lo, s26
	s_and_saveexec_b32 s25, s7
	s_cbranch_execnz .LBB4_5492
	s_branch .LBB4_5493
.LBB4_5938:                             ;   in Loop: Header=BB4_5448 Depth=2
	s_mov_b32 s7, -1
	s_mov_b32 s27, exec_lo
                                        ; implicit-def: $sgpr25
	v_cmpx_eq_u16_e64 0x80, v145
; %bb.5939:                             ;   in Loop: Header=BB4_5448 Depth=2
	s_mov_b32 s25, 0x7f800001
	s_xor_b32 s7, exec_lo, -1
; %bb.5940:                             ;   in Loop: Header=BB4_5448 Depth=2
	s_or_b32 exec_lo, exec_lo, s27
	s_delay_alu instid0(SALU_CYCLE_1)
	s_and_b32 s7, s7, exec_lo
                                        ; implicit-def: $vgpr145
	s_or_saveexec_b32 s26, s26
	v_mov_b32_e32 v144, s25
	s_xor_b32 exec_lo, exec_lo, s26
	s_cbranch_execz .LBB4_5495
.LBB4_5941:                             ;   in Loop: Header=BB4_5448 Depth=2
	v_cmp_ne_u16_e64 vcc_lo, 0, v145
	v_mov_b32_e32 v144, 0
	s_and_not1_b32 s7, s7, exec_lo
	s_delay_alu instid0(VALU_DEP_2) | instskip(NEXT) | instid1(SALU_CYCLE_1)
	s_and_b32 s25, vcc_lo, exec_lo
	s_or_b32 s7, s7, s25
	s_or_b32 exec_lo, exec_lo, s26
	s_and_saveexec_b32 s25, s7
	s_cbranch_execnz .LBB4_5496
	s_branch .LBB4_5497
.LBB4_5942:                             ;   in Loop: Header=BB4_5448 Depth=2
	s_mov_b32 s25, -1
	s_mov_b32 s27, exec_lo
                                        ; implicit-def: $sgpr26
	v_cmpx_eq_u16_e64 0x80, v144
; %bb.5943:                             ;   in Loop: Header=BB4_5448 Depth=2
	s_mov_b32 s26, 0x7f800001
	s_xor_b32 s25, exec_lo, -1
; %bb.5944:                             ;   in Loop: Header=BB4_5448 Depth=2
	s_or_b32 exec_lo, exec_lo, s27
	s_delay_alu instid0(SALU_CYCLE_1)
	s_and_b32 s25, s25, exec_lo
	s_or_saveexec_b32 s7, s7
	v_mov_b32_e32 v145, s26
	s_xor_b32 exec_lo, exec_lo, s7
	s_cbranch_execz .LBB4_5509
.LBB4_5945:                             ;   in Loop: Header=BB4_5448 Depth=2
	v_cmp_ne_u16_e64 vcc_lo, 0, v144
	v_mov_b32_e32 v145, 0
	s_and_not1_b32 s25, s25, exec_lo
	s_delay_alu instid0(VALU_DEP_2) | instskip(NEXT) | instid1(SALU_CYCLE_1)
	s_and_b32 s26, vcc_lo, exec_lo
	s_or_b32 s25, s25, s26
	s_or_b32 exec_lo, exec_lo, s7
	s_and_saveexec_b32 s7, s25
	s_cbranch_execnz .LBB4_5510
	s_branch .LBB4_5511
.LBB4_5946:                             ;   in Loop: Header=BB4_5448 Depth=2
	s_mov_b32 s7, -1
	s_mov_b32 s27, exec_lo
                                        ; implicit-def: $sgpr25
	v_cmpx_eq_u16_e64 0x80, v147
; %bb.5947:                             ;   in Loop: Header=BB4_5448 Depth=2
	s_mov_b32 s25, 0x7f800001
	s_xor_b32 s7, exec_lo, -1
; %bb.5948:                             ;   in Loop: Header=BB4_5448 Depth=2
	s_or_b32 exec_lo, exec_lo, s27
	s_delay_alu instid0(SALU_CYCLE_1)
	s_and_b32 s7, s7, exec_lo
                                        ; implicit-def: $vgpr147
	s_or_saveexec_b32 s26, s26
	v_mov_b32_e32 v146, s25
	s_xor_b32 exec_lo, exec_lo, s26
	s_cbranch_execz .LBB4_5513
.LBB4_5949:                             ;   in Loop: Header=BB4_5448 Depth=2
	v_cmp_ne_u16_e64 vcc_lo, 0, v147
	v_mov_b32_e32 v146, 0
	s_and_not1_b32 s7, s7, exec_lo
	s_delay_alu instid0(VALU_DEP_2) | instskip(NEXT) | instid1(SALU_CYCLE_1)
	s_and_b32 s25, vcc_lo, exec_lo
	s_or_b32 s7, s7, s25
	s_or_b32 exec_lo, exec_lo, s26
	s_and_saveexec_b32 s25, s7
	s_cbranch_execnz .LBB4_5514
	s_branch .LBB4_5515
.LBB4_5950:                             ;   in Loop: Header=BB4_5448 Depth=2
	s_mov_b32 s7, -1
	s_mov_b32 s27, exec_lo
                                        ; implicit-def: $sgpr25
	v_cmpx_eq_u16_e64 0x80, v144
; %bb.5951:                             ;   in Loop: Header=BB4_5448 Depth=2
	s_mov_b32 s25, 0x7f800001
	s_xor_b32 s7, exec_lo, -1
; %bb.5952:                             ;   in Loop: Header=BB4_5448 Depth=2
	s_or_b32 exec_lo, exec_lo, s27
	s_delay_alu instid0(SALU_CYCLE_1)
	s_and_b32 s7, s7, exec_lo
                                        ; implicit-def: $vgpr144
	s_or_saveexec_b32 s26, s26
	v_mov_b32_e32 v145, s25
	s_xor_b32 exec_lo, exec_lo, s26
	s_cbranch_execz .LBB4_5520
.LBB4_5953:                             ;   in Loop: Header=BB4_5448 Depth=2
	v_cmp_ne_u16_e64 vcc_lo, 0, v144
	v_mov_b32_e32 v145, 0
	s_and_not1_b32 s7, s7, exec_lo
	s_delay_alu instid0(VALU_DEP_2) | instskip(NEXT) | instid1(SALU_CYCLE_1)
	s_and_b32 s25, vcc_lo, exec_lo
	s_or_b32 s7, s7, s25
	s_or_b32 exec_lo, exec_lo, s26
	s_and_saveexec_b32 s25, s7
	s_cbranch_execnz .LBB4_5521
	s_branch .LBB4_5522
.LBB4_5954:                             ;   in Loop: Header=BB4_5448 Depth=2
	s_mov_b32 s7, -1
	s_mov_b32 s27, exec_lo
                                        ; implicit-def: $sgpr25
	v_cmpx_eq_u16_e64 0x80, v144
; %bb.5955:                             ;   in Loop: Header=BB4_5448 Depth=2
	s_mov_b32 s25, 0x7f800001
	s_xor_b32 s7, exec_lo, -1
; %bb.5956:                             ;   in Loop: Header=BB4_5448 Depth=2
	s_or_b32 exec_lo, exec_lo, s27
	s_delay_alu instid0(SALU_CYCLE_1)
	s_and_b32 s7, s7, exec_lo
                                        ; implicit-def: $vgpr144
	s_or_saveexec_b32 s26, s26
	v_mov_b32_e32 v135, s25
	s_xor_b32 exec_lo, exec_lo, s26
	s_cbranch_execz .LBB4_5524
.LBB4_5957:                             ;   in Loop: Header=BB4_5448 Depth=2
	v_cmp_ne_u16_e64 vcc_lo, 0, v144
	v_mov_b32_e32 v135, 0
	s_and_not1_b32 s7, s7, exec_lo
	s_delay_alu instid0(VALU_DEP_2) | instskip(NEXT) | instid1(SALU_CYCLE_1)
	s_and_b32 s25, vcc_lo, exec_lo
	s_or_b32 s7, s7, s25
	s_or_b32 exec_lo, exec_lo, s26
	s_and_saveexec_b32 s25, s7
	s_cbranch_execnz .LBB4_5525
	s_branch .LBB4_5526
.LBB4_5958:                             ;   in Loop: Header=BB4_5448 Depth=2
	s_mov_b32 s25, -1
	s_mov_b32 s27, exec_lo
                                        ; implicit-def: $sgpr26
	v_cmpx_eq_u16_e64 0x80, v135
; %bb.5959:                             ;   in Loop: Header=BB4_5448 Depth=2
	s_mov_b32 s26, 0x7f800001
	s_xor_b32 s25, exec_lo, -1
; %bb.5960:                             ;   in Loop: Header=BB4_5448 Depth=2
	s_or_b32 exec_lo, exec_lo, s27
	s_delay_alu instid0(SALU_CYCLE_1)
	s_and_b32 s25, s25, exec_lo
	s_or_saveexec_b32 s7, s7
	v_mov_b32_e32 v144, s26
	s_xor_b32 exec_lo, exec_lo, s7
	s_cbranch_execz .LBB4_5538
.LBB4_5961:                             ;   in Loop: Header=BB4_5448 Depth=2
	v_cmp_ne_u16_e64 vcc_lo, 0, v135
	v_mov_b32_e32 v144, 0
	s_and_not1_b32 s25, s25, exec_lo
	s_delay_alu instid0(VALU_DEP_2) | instskip(NEXT) | instid1(SALU_CYCLE_1)
	s_and_b32 s26, vcc_lo, exec_lo
	s_or_b32 s25, s25, s26
	s_or_b32 exec_lo, exec_lo, s7
	s_and_saveexec_b32 s7, s25
	s_cbranch_execnz .LBB4_5539
	s_branch .LBB4_5540
.LBB4_5962:                             ;   in Loop: Header=BB4_5448 Depth=2
	s_mov_b32 s7, -1
	s_mov_b32 s27, exec_lo
                                        ; implicit-def: $sgpr25
	v_cmpx_eq_u16_e64 0x80, v146
; %bb.5963:                             ;   in Loop: Header=BB4_5448 Depth=2
	s_mov_b32 s25, 0x7f800001
	s_xor_b32 s7, exec_lo, -1
; %bb.5964:                             ;   in Loop: Header=BB4_5448 Depth=2
	s_or_b32 exec_lo, exec_lo, s27
	s_delay_alu instid0(SALU_CYCLE_1)
	s_and_b32 s7, s7, exec_lo
                                        ; implicit-def: $vgpr146
	s_or_saveexec_b32 s26, s26
	v_mov_b32_e32 v145, s25
	s_xor_b32 exec_lo, exec_lo, s26
	s_cbranch_execz .LBB4_5542
.LBB4_5965:                             ;   in Loop: Header=BB4_5448 Depth=2
	v_cmp_ne_u16_e64 vcc_lo, 0, v146
	v_mov_b32_e32 v145, 0
	s_and_not1_b32 s7, s7, exec_lo
	s_delay_alu instid0(VALU_DEP_2) | instskip(NEXT) | instid1(SALU_CYCLE_1)
	s_and_b32 s25, vcc_lo, exec_lo
	s_or_b32 s7, s7, s25
	s_or_b32 exec_lo, exec_lo, s26
	s_and_saveexec_b32 s25, s7
	s_cbranch_execnz .LBB4_5543
	s_branch .LBB4_5544
.LBB4_5966:                             ;   in Loop: Header=BB4_5448 Depth=2
	s_mov_b32 s7, -1
	s_mov_b32 s27, exec_lo
                                        ; implicit-def: $sgpr25
	v_cmpx_eq_u16_e64 0x80, v135
; %bb.5967:                             ;   in Loop: Header=BB4_5448 Depth=2
	s_mov_b32 s25, 0x7f800001
	s_xor_b32 s7, exec_lo, -1
; %bb.5968:                             ;   in Loop: Header=BB4_5448 Depth=2
	s_or_b32 exec_lo, exec_lo, s27
	s_delay_alu instid0(SALU_CYCLE_1)
	s_and_b32 s7, s7, exec_lo
                                        ; implicit-def: $vgpr135
	s_or_saveexec_b32 s26, s26
	v_mov_b32_e32 v144, s25
	s_xor_b32 exec_lo, exec_lo, s26
	s_cbranch_execz .LBB4_5549
.LBB4_5969:                             ;   in Loop: Header=BB4_5448 Depth=2
	v_cmp_ne_u16_e64 vcc_lo, 0, v135
	v_mov_b32_e32 v144, 0
	s_and_not1_b32 s7, s7, exec_lo
	s_delay_alu instid0(VALU_DEP_2) | instskip(NEXT) | instid1(SALU_CYCLE_1)
	s_and_b32 s25, vcc_lo, exec_lo
	s_or_b32 s7, s7, s25
	s_or_b32 exec_lo, exec_lo, s26
	s_and_saveexec_b32 s25, s7
	s_cbranch_execnz .LBB4_5550
	s_branch .LBB4_5551
.LBB4_5970:                             ;   in Loop: Header=BB4_5448 Depth=2
	s_mov_b32 s7, -1
	s_mov_b32 s27, exec_lo
                                        ; implicit-def: $sgpr25
	v_cmpx_eq_u16_e64 0x80, v135
; %bb.5971:                             ;   in Loop: Header=BB4_5448 Depth=2
	s_mov_b32 s25, 0x7f800001
	s_xor_b32 s7, exec_lo, -1
; %bb.5972:                             ;   in Loop: Header=BB4_5448 Depth=2
	s_or_b32 exec_lo, exec_lo, s27
	s_delay_alu instid0(SALU_CYCLE_1)
	s_and_b32 s7, s7, exec_lo
                                        ; implicit-def: $vgpr135
	s_or_saveexec_b32 s26, s26
	v_mov_b32_e32 v134, s25
	s_xor_b32 exec_lo, exec_lo, s26
	s_cbranch_execz .LBB4_5553
.LBB4_5973:                             ;   in Loop: Header=BB4_5448 Depth=2
	v_cmp_ne_u16_e64 vcc_lo, 0, v135
	v_mov_b32_e32 v134, 0
	s_and_not1_b32 s7, s7, exec_lo
	s_delay_alu instid0(VALU_DEP_2) | instskip(NEXT) | instid1(SALU_CYCLE_1)
	s_and_b32 s25, vcc_lo, exec_lo
	s_or_b32 s7, s7, s25
	s_or_b32 exec_lo, exec_lo, s26
	s_and_saveexec_b32 s25, s7
	s_cbranch_execnz .LBB4_5554
	s_branch .LBB4_5555
.LBB4_5974:                             ;   in Loop: Header=BB4_5448 Depth=2
	s_mov_b32 s25, -1
	s_mov_b32 s27, exec_lo
                                        ; implicit-def: $sgpr26
	v_cmpx_eq_u16_e64 0x80, v134
; %bb.5975:                             ;   in Loop: Header=BB4_5448 Depth=2
	s_mov_b32 s26, 0x7f800001
	s_xor_b32 s25, exec_lo, -1
; %bb.5976:                             ;   in Loop: Header=BB4_5448 Depth=2
	s_or_b32 exec_lo, exec_lo, s27
	s_delay_alu instid0(SALU_CYCLE_1)
	s_and_b32 s25, s25, exec_lo
	s_or_saveexec_b32 s7, s7
	v_mov_b32_e32 v135, s26
	s_xor_b32 exec_lo, exec_lo, s7
	s_cbranch_execz .LBB4_5567
.LBB4_5977:                             ;   in Loop: Header=BB4_5448 Depth=2
	v_cmp_ne_u16_e64 vcc_lo, 0, v134
	v_mov_b32_e32 v135, 0
	s_and_not1_b32 s25, s25, exec_lo
	s_delay_alu instid0(VALU_DEP_2) | instskip(NEXT) | instid1(SALU_CYCLE_1)
	s_and_b32 s26, vcc_lo, exec_lo
	s_or_b32 s25, s25, s26
	s_or_b32 exec_lo, exec_lo, s7
	s_and_saveexec_b32 s7, s25
	s_cbranch_execnz .LBB4_5568
	s_branch .LBB4_5569
.LBB4_5978:                             ;   in Loop: Header=BB4_5448 Depth=2
	s_mov_b32 s7, -1
	s_mov_b32 s27, exec_lo
                                        ; implicit-def: $sgpr25
	v_cmpx_eq_u16_e64 0x80, v145
; %bb.5979:                             ;   in Loop: Header=BB4_5448 Depth=2
	s_mov_b32 s25, 0x7f800001
	s_xor_b32 s7, exec_lo, -1
; %bb.5980:                             ;   in Loop: Header=BB4_5448 Depth=2
	s_or_b32 exec_lo, exec_lo, s27
	s_delay_alu instid0(SALU_CYCLE_1)
	s_and_b32 s7, s7, exec_lo
                                        ; implicit-def: $vgpr145
	s_or_saveexec_b32 s26, s26
	v_mov_b32_e32 v144, s25
	s_xor_b32 exec_lo, exec_lo, s26
	s_cbranch_execz .LBB4_5571
.LBB4_5981:                             ;   in Loop: Header=BB4_5448 Depth=2
	v_cmp_ne_u16_e64 vcc_lo, 0, v145
	v_mov_b32_e32 v144, 0
	s_and_not1_b32 s7, s7, exec_lo
	s_delay_alu instid0(VALU_DEP_2) | instskip(NEXT) | instid1(SALU_CYCLE_1)
	s_and_b32 s25, vcc_lo, exec_lo
	s_or_b32 s7, s7, s25
	s_or_b32 exec_lo, exec_lo, s26
	s_and_saveexec_b32 s25, s7
	s_cbranch_execnz .LBB4_5572
	s_branch .LBB4_5573
.LBB4_5982:                             ;   in Loop: Header=BB4_5448 Depth=2
	s_mov_b32 s7, -1
	s_mov_b32 s27, exec_lo
                                        ; implicit-def: $sgpr25
	v_cmpx_eq_u16_e64 0x80, v134
; %bb.5983:                             ;   in Loop: Header=BB4_5448 Depth=2
	s_mov_b32 s25, 0x7f800001
	s_xor_b32 s7, exec_lo, -1
; %bb.5984:                             ;   in Loop: Header=BB4_5448 Depth=2
	s_or_b32 exec_lo, exec_lo, s27
	s_delay_alu instid0(SALU_CYCLE_1)
	s_and_b32 s7, s7, exec_lo
                                        ; implicit-def: $vgpr134
	s_or_saveexec_b32 s26, s26
	v_mov_b32_e32 v135, s25
	s_xor_b32 exec_lo, exec_lo, s26
	s_cbranch_execz .LBB4_5578
.LBB4_5985:                             ;   in Loop: Header=BB4_5448 Depth=2
	v_cmp_ne_u16_e64 vcc_lo, 0, v134
	v_mov_b32_e32 v135, 0
	s_and_not1_b32 s7, s7, exec_lo
	s_delay_alu instid0(VALU_DEP_2) | instskip(NEXT) | instid1(SALU_CYCLE_1)
	s_and_b32 s25, vcc_lo, exec_lo
	s_or_b32 s7, s7, s25
	s_or_b32 exec_lo, exec_lo, s26
	s_and_saveexec_b32 s25, s7
	s_cbranch_execnz .LBB4_5579
	s_branch .LBB4_5580
.LBB4_5986:                             ;   in Loop: Header=BB4_5448 Depth=2
	s_mov_b32 s7, -1
	s_mov_b32 s27, exec_lo
                                        ; implicit-def: $sgpr25
	v_cmpx_eq_u16_e64 0x80, v134
; %bb.5987:                             ;   in Loop: Header=BB4_5448 Depth=2
	s_mov_b32 s25, 0x7f800001
	s_xor_b32 s7, exec_lo, -1
; %bb.5988:                             ;   in Loop: Header=BB4_5448 Depth=2
	s_or_b32 exec_lo, exec_lo, s27
	s_delay_alu instid0(SALU_CYCLE_1)
	s_and_b32 s7, s7, exec_lo
                                        ; implicit-def: $vgpr134
	s_or_saveexec_b32 s26, s26
	v_mov_b32_e32 v133, s25
	s_xor_b32 exec_lo, exec_lo, s26
	s_cbranch_execz .LBB4_5582
.LBB4_5989:                             ;   in Loop: Header=BB4_5448 Depth=2
	v_cmp_ne_u16_e64 vcc_lo, 0, v134
	v_mov_b32_e32 v133, 0
	s_and_not1_b32 s7, s7, exec_lo
	s_delay_alu instid0(VALU_DEP_2) | instskip(NEXT) | instid1(SALU_CYCLE_1)
	s_and_b32 s25, vcc_lo, exec_lo
	s_or_b32 s7, s7, s25
	s_or_b32 exec_lo, exec_lo, s26
	s_and_saveexec_b32 s25, s7
	s_cbranch_execnz .LBB4_5583
	s_branch .LBB4_5584
.LBB4_5990:                             ;   in Loop: Header=BB4_5448 Depth=2
	s_mov_b32 s25, -1
	s_mov_b32 s27, exec_lo
                                        ; implicit-def: $sgpr26
	v_cmpx_eq_u16_e64 0x80, v133
; %bb.5991:                             ;   in Loop: Header=BB4_5448 Depth=2
	s_mov_b32 s26, 0x7f800001
	s_xor_b32 s25, exec_lo, -1
; %bb.5992:                             ;   in Loop: Header=BB4_5448 Depth=2
	s_or_b32 exec_lo, exec_lo, s27
	s_delay_alu instid0(SALU_CYCLE_1)
	s_and_b32 s25, s25, exec_lo
	s_or_saveexec_b32 s7, s7
	v_mov_b32_e32 v134, s26
	s_xor_b32 exec_lo, exec_lo, s7
	s_cbranch_execz .LBB4_5596
.LBB4_5993:                             ;   in Loop: Header=BB4_5448 Depth=2
	v_cmp_ne_u16_e64 vcc_lo, 0, v133
	v_mov_b32_e32 v134, 0
	s_and_not1_b32 s25, s25, exec_lo
	s_delay_alu instid0(VALU_DEP_2) | instskip(NEXT) | instid1(SALU_CYCLE_1)
	s_and_b32 s26, vcc_lo, exec_lo
	s_or_b32 s25, s25, s26
	s_or_b32 exec_lo, exec_lo, s7
	s_and_saveexec_b32 s7, s25
	s_cbranch_execnz .LBB4_5597
	s_branch .LBB4_5598
.LBB4_5994:                             ;   in Loop: Header=BB4_5448 Depth=2
	s_mov_b32 s7, -1
	s_mov_b32 s27, exec_lo
                                        ; implicit-def: $sgpr25
	v_cmpx_eq_u16_e64 0x80, v144
; %bb.5995:                             ;   in Loop: Header=BB4_5448 Depth=2
	s_mov_b32 s25, 0x7f800001
	s_xor_b32 s7, exec_lo, -1
; %bb.5996:                             ;   in Loop: Header=BB4_5448 Depth=2
	s_or_b32 exec_lo, exec_lo, s27
	s_delay_alu instid0(SALU_CYCLE_1)
	s_and_b32 s7, s7, exec_lo
                                        ; implicit-def: $vgpr144
	s_or_saveexec_b32 s26, s26
	v_mov_b32_e32 v135, s25
	s_xor_b32 exec_lo, exec_lo, s26
	s_cbranch_execz .LBB4_5600
.LBB4_5997:                             ;   in Loop: Header=BB4_5448 Depth=2
	v_cmp_ne_u16_e64 vcc_lo, 0, v144
	v_mov_b32_e32 v135, 0
	s_and_not1_b32 s7, s7, exec_lo
	s_delay_alu instid0(VALU_DEP_2) | instskip(NEXT) | instid1(SALU_CYCLE_1)
	s_and_b32 s25, vcc_lo, exec_lo
	s_or_b32 s7, s7, s25
	s_or_b32 exec_lo, exec_lo, s26
	s_and_saveexec_b32 s25, s7
	s_cbranch_execnz .LBB4_5601
	s_branch .LBB4_5602
.LBB4_5998:                             ;   in Loop: Header=BB4_5448 Depth=2
	s_mov_b32 s7, -1
	s_mov_b32 s27, exec_lo
                                        ; implicit-def: $sgpr25
	v_cmpx_eq_u16_e64 0x80, v133
; %bb.5999:                             ;   in Loop: Header=BB4_5448 Depth=2
	s_mov_b32 s25, 0x7f800001
	s_xor_b32 s7, exec_lo, -1
; %bb.6000:                             ;   in Loop: Header=BB4_5448 Depth=2
	s_or_b32 exec_lo, exec_lo, s27
	s_delay_alu instid0(SALU_CYCLE_1)
	s_and_b32 s7, s7, exec_lo
                                        ; implicit-def: $vgpr133
	s_or_saveexec_b32 s26, s26
	v_mov_b32_e32 v134, s25
	s_xor_b32 exec_lo, exec_lo, s26
	s_cbranch_execz .LBB4_5607
.LBB4_6001:                             ;   in Loop: Header=BB4_5448 Depth=2
	v_cmp_ne_u16_e64 vcc_lo, 0, v133
	v_mov_b32_e32 v134, 0
	s_and_not1_b32 s7, s7, exec_lo
	s_delay_alu instid0(VALU_DEP_2) | instskip(NEXT) | instid1(SALU_CYCLE_1)
	s_and_b32 s25, vcc_lo, exec_lo
	s_or_b32 s7, s7, s25
	s_or_b32 exec_lo, exec_lo, s26
	s_and_saveexec_b32 s25, s7
	s_cbranch_execnz .LBB4_5608
	s_branch .LBB4_5609
.LBB4_6002:                             ;   in Loop: Header=BB4_5448 Depth=2
	s_mov_b32 s7, -1
	s_mov_b32 s27, exec_lo
                                        ; implicit-def: $sgpr25
	v_cmpx_eq_u16_e64 0x80, v133
; %bb.6003:                             ;   in Loop: Header=BB4_5448 Depth=2
	s_mov_b32 s25, 0x7f800001
	s_xor_b32 s7, exec_lo, -1
; %bb.6004:                             ;   in Loop: Header=BB4_5448 Depth=2
	s_or_b32 exec_lo, exec_lo, s27
	s_delay_alu instid0(SALU_CYCLE_1)
	s_and_b32 s7, s7, exec_lo
                                        ; implicit-def: $vgpr133
	s_or_saveexec_b32 s26, s26
	v_mov_b32_e32 v132, s25
	s_xor_b32 exec_lo, exec_lo, s26
	s_cbranch_execz .LBB4_5611
.LBB4_6005:                             ;   in Loop: Header=BB4_5448 Depth=2
	v_cmp_ne_u16_e64 vcc_lo, 0, v133
	v_mov_b32_e32 v132, 0
	s_and_not1_b32 s7, s7, exec_lo
	s_delay_alu instid0(VALU_DEP_2) | instskip(NEXT) | instid1(SALU_CYCLE_1)
	s_and_b32 s25, vcc_lo, exec_lo
	s_or_b32 s7, s7, s25
	s_or_b32 exec_lo, exec_lo, s26
	s_and_saveexec_b32 s25, s7
	s_cbranch_execnz .LBB4_5612
	s_branch .LBB4_5613
.LBB4_6006:                             ;   in Loop: Header=BB4_5448 Depth=2
	s_mov_b32 s25, -1
	s_mov_b32 s27, exec_lo
                                        ; implicit-def: $sgpr26
	v_cmpx_eq_u16_e64 0x80, v132
; %bb.6007:                             ;   in Loop: Header=BB4_5448 Depth=2
	s_mov_b32 s26, 0x7f800001
	s_xor_b32 s25, exec_lo, -1
; %bb.6008:                             ;   in Loop: Header=BB4_5448 Depth=2
	s_or_b32 exec_lo, exec_lo, s27
	s_delay_alu instid0(SALU_CYCLE_1)
	s_and_b32 s25, s25, exec_lo
	s_or_saveexec_b32 s7, s7
	v_mov_b32_e32 v133, s26
	s_xor_b32 exec_lo, exec_lo, s7
	s_cbranch_execz .LBB4_5625
.LBB4_6009:                             ;   in Loop: Header=BB4_5448 Depth=2
	v_cmp_ne_u16_e64 vcc_lo, 0, v132
	v_mov_b32_e32 v133, 0
	s_and_not1_b32 s25, s25, exec_lo
	s_delay_alu instid0(VALU_DEP_2) | instskip(NEXT) | instid1(SALU_CYCLE_1)
	s_and_b32 s26, vcc_lo, exec_lo
	s_or_b32 s25, s25, s26
	s_or_b32 exec_lo, exec_lo, s7
	s_and_saveexec_b32 s7, s25
	s_cbranch_execnz .LBB4_5626
	s_branch .LBB4_5627
.LBB4_6010:                             ;   in Loop: Header=BB4_5448 Depth=2
	s_mov_b32 s7, -1
	s_mov_b32 s27, exec_lo
                                        ; implicit-def: $sgpr25
	v_cmpx_eq_u16_e64 0x80, v135
; %bb.6011:                             ;   in Loop: Header=BB4_5448 Depth=2
	s_mov_b32 s25, 0x7f800001
	s_xor_b32 s7, exec_lo, -1
; %bb.6012:                             ;   in Loop: Header=BB4_5448 Depth=2
	s_or_b32 exec_lo, exec_lo, s27
	s_delay_alu instid0(SALU_CYCLE_1)
	s_and_b32 s7, s7, exec_lo
                                        ; implicit-def: $vgpr135
	s_or_saveexec_b32 s26, s26
	v_mov_b32_e32 v134, s25
	s_xor_b32 exec_lo, exec_lo, s26
	s_cbranch_execz .LBB4_5629
.LBB4_6013:                             ;   in Loop: Header=BB4_5448 Depth=2
	v_cmp_ne_u16_e64 vcc_lo, 0, v135
	v_mov_b32_e32 v134, 0
	s_and_not1_b32 s7, s7, exec_lo
	s_delay_alu instid0(VALU_DEP_2) | instskip(NEXT) | instid1(SALU_CYCLE_1)
	s_and_b32 s25, vcc_lo, exec_lo
	s_or_b32 s7, s7, s25
	s_or_b32 exec_lo, exec_lo, s26
	s_and_saveexec_b32 s25, s7
	s_cbranch_execnz .LBB4_5630
	s_branch .LBB4_5631
.LBB4_6014:                             ;   in Loop: Header=BB4_5448 Depth=2
	s_mov_b32 s7, -1
	s_mov_b32 s27, exec_lo
                                        ; implicit-def: $sgpr25
	v_cmpx_eq_u16_e64 0x80, v132
; %bb.6015:                             ;   in Loop: Header=BB4_5448 Depth=2
	s_mov_b32 s25, 0x7f800001
	s_xor_b32 s7, exec_lo, -1
; %bb.6016:                             ;   in Loop: Header=BB4_5448 Depth=2
	s_or_b32 exec_lo, exec_lo, s27
	s_delay_alu instid0(SALU_CYCLE_1)
	s_and_b32 s7, s7, exec_lo
                                        ; implicit-def: $vgpr132
	s_or_saveexec_b32 s26, s26
	v_mov_b32_e32 v133, s25
	s_xor_b32 exec_lo, exec_lo, s26
	s_cbranch_execz .LBB4_5636
.LBB4_6017:                             ;   in Loop: Header=BB4_5448 Depth=2
	v_cmp_ne_u16_e64 vcc_lo, 0, v132
	v_mov_b32_e32 v133, 0
	s_and_not1_b32 s7, s7, exec_lo
	s_delay_alu instid0(VALU_DEP_2) | instskip(NEXT) | instid1(SALU_CYCLE_1)
	s_and_b32 s25, vcc_lo, exec_lo
	s_or_b32 s7, s7, s25
	s_or_b32 exec_lo, exec_lo, s26
	s_and_saveexec_b32 s25, s7
	s_cbranch_execnz .LBB4_5637
	s_branch .LBB4_5638
.LBB4_6018:                             ;   in Loop: Header=BB4_5448 Depth=2
	s_mov_b32 s7, -1
	s_mov_b32 s27, exec_lo
                                        ; implicit-def: $sgpr25
	v_cmpx_eq_u16_e64 0x80, v132
; %bb.6019:                             ;   in Loop: Header=BB4_5448 Depth=2
	s_mov_b32 s25, 0x7f800001
	s_xor_b32 s7, exec_lo, -1
; %bb.6020:                             ;   in Loop: Header=BB4_5448 Depth=2
	s_or_b32 exec_lo, exec_lo, s27
	s_delay_alu instid0(SALU_CYCLE_1)
	s_and_b32 s7, s7, exec_lo
                                        ; implicit-def: $vgpr132
	s_or_saveexec_b32 s26, s26
	v_mov_b32_e32 v131, s25
	s_xor_b32 exec_lo, exec_lo, s26
	s_cbranch_execz .LBB4_5640
.LBB4_6021:                             ;   in Loop: Header=BB4_5448 Depth=2
	v_cmp_ne_u16_e64 vcc_lo, 0, v132
	v_mov_b32_e32 v131, 0
	s_and_not1_b32 s7, s7, exec_lo
	s_delay_alu instid0(VALU_DEP_2) | instskip(NEXT) | instid1(SALU_CYCLE_1)
	s_and_b32 s25, vcc_lo, exec_lo
	s_or_b32 s7, s7, s25
	s_or_b32 exec_lo, exec_lo, s26
	s_and_saveexec_b32 s25, s7
	s_cbranch_execnz .LBB4_5641
	s_branch .LBB4_5642
.LBB4_6022:                             ;   in Loop: Header=BB4_5448 Depth=2
	s_mov_b32 s25, -1
	s_mov_b32 s27, exec_lo
                                        ; implicit-def: $sgpr26
	v_cmpx_eq_u16_e64 0x80, v131
; %bb.6023:                             ;   in Loop: Header=BB4_5448 Depth=2
	s_mov_b32 s26, 0x7f800001
	s_xor_b32 s25, exec_lo, -1
; %bb.6024:                             ;   in Loop: Header=BB4_5448 Depth=2
	s_or_b32 exec_lo, exec_lo, s27
	s_delay_alu instid0(SALU_CYCLE_1)
	s_and_b32 s25, s25, exec_lo
	s_or_saveexec_b32 s7, s7
	v_mov_b32_e32 v132, s26
	s_xor_b32 exec_lo, exec_lo, s7
	s_cbranch_execz .LBB4_5654
.LBB4_6025:                             ;   in Loop: Header=BB4_5448 Depth=2
	v_cmp_ne_u16_e64 vcc_lo, 0, v131
	v_mov_b32_e32 v132, 0
	s_and_not1_b32 s25, s25, exec_lo
	s_delay_alu instid0(VALU_DEP_2) | instskip(NEXT) | instid1(SALU_CYCLE_1)
	s_and_b32 s26, vcc_lo, exec_lo
	s_or_b32 s25, s25, s26
	s_or_b32 exec_lo, exec_lo, s7
	s_and_saveexec_b32 s7, s25
	s_cbranch_execnz .LBB4_5655
	s_branch .LBB4_5656
.LBB4_6026:                             ;   in Loop: Header=BB4_5448 Depth=2
	s_mov_b32 s7, -1
	s_mov_b32 s27, exec_lo
                                        ; implicit-def: $sgpr25
	v_cmpx_eq_u16_e64 0x80, v134
; %bb.6027:                             ;   in Loop: Header=BB4_5448 Depth=2
	s_mov_b32 s25, 0x7f800001
	s_xor_b32 s7, exec_lo, -1
; %bb.6028:                             ;   in Loop: Header=BB4_5448 Depth=2
	s_or_b32 exec_lo, exec_lo, s27
	s_delay_alu instid0(SALU_CYCLE_1)
	s_and_b32 s7, s7, exec_lo
                                        ; implicit-def: $vgpr134
	s_or_saveexec_b32 s26, s26
	v_mov_b32_e32 v133, s25
	s_xor_b32 exec_lo, exec_lo, s26
	s_cbranch_execz .LBB4_5658
.LBB4_6029:                             ;   in Loop: Header=BB4_5448 Depth=2
	v_cmp_ne_u16_e64 vcc_lo, 0, v134
	v_mov_b32_e32 v133, 0
	s_and_not1_b32 s7, s7, exec_lo
	s_delay_alu instid0(VALU_DEP_2) | instskip(NEXT) | instid1(SALU_CYCLE_1)
	s_and_b32 s25, vcc_lo, exec_lo
	s_or_b32 s7, s7, s25
	s_or_b32 exec_lo, exec_lo, s26
	s_and_saveexec_b32 s25, s7
	s_cbranch_execnz .LBB4_5659
	s_branch .LBB4_5660
.LBB4_6030:                             ;   in Loop: Header=BB4_5448 Depth=2
	s_mov_b32 s7, -1
	s_mov_b32 s27, exec_lo
                                        ; implicit-def: $sgpr25
	v_cmpx_eq_u16_e64 0x80, v131
; %bb.6031:                             ;   in Loop: Header=BB4_5448 Depth=2
	s_mov_b32 s25, 0x7f800001
	s_xor_b32 s7, exec_lo, -1
; %bb.6032:                             ;   in Loop: Header=BB4_5448 Depth=2
	s_or_b32 exec_lo, exec_lo, s27
	s_delay_alu instid0(SALU_CYCLE_1)
	s_and_b32 s7, s7, exec_lo
                                        ; implicit-def: $vgpr131
	s_or_saveexec_b32 s26, s26
	v_mov_b32_e32 v132, s25
	s_xor_b32 exec_lo, exec_lo, s26
	s_cbranch_execz .LBB4_5665
.LBB4_6033:                             ;   in Loop: Header=BB4_5448 Depth=2
	v_cmp_ne_u16_e64 vcc_lo, 0, v131
	v_mov_b32_e32 v132, 0
	s_and_not1_b32 s7, s7, exec_lo
	s_delay_alu instid0(VALU_DEP_2) | instskip(NEXT) | instid1(SALU_CYCLE_1)
	s_and_b32 s25, vcc_lo, exec_lo
	s_or_b32 s7, s7, s25
	s_or_b32 exec_lo, exec_lo, s26
	s_and_saveexec_b32 s25, s7
	s_cbranch_execnz .LBB4_5666
	s_branch .LBB4_5667
.LBB4_6034:                             ;   in Loop: Header=BB4_5448 Depth=2
	s_mov_b32 s7, -1
	s_mov_b32 s27, exec_lo
                                        ; implicit-def: $sgpr25
	v_cmpx_eq_u16_e64 0x80, v131
; %bb.6035:                             ;   in Loop: Header=BB4_5448 Depth=2
	s_mov_b32 s25, 0x7f800001
	s_xor_b32 s7, exec_lo, -1
; %bb.6036:                             ;   in Loop: Header=BB4_5448 Depth=2
	s_or_b32 exec_lo, exec_lo, s27
	s_delay_alu instid0(SALU_CYCLE_1)
	s_and_b32 s7, s7, exec_lo
                                        ; implicit-def: $vgpr131
	s_or_saveexec_b32 s26, s26
	v_mov_b32_e32 v130, s25
	s_xor_b32 exec_lo, exec_lo, s26
	s_cbranch_execz .LBB4_5669
.LBB4_6037:                             ;   in Loop: Header=BB4_5448 Depth=2
	v_cmp_ne_u16_e64 vcc_lo, 0, v131
	v_mov_b32_e32 v130, 0
	s_and_not1_b32 s7, s7, exec_lo
	s_delay_alu instid0(VALU_DEP_2) | instskip(NEXT) | instid1(SALU_CYCLE_1)
	s_and_b32 s25, vcc_lo, exec_lo
	s_or_b32 s7, s7, s25
	s_or_b32 exec_lo, exec_lo, s26
	s_and_saveexec_b32 s25, s7
	s_cbranch_execnz .LBB4_5670
	s_branch .LBB4_5671
.LBB4_6038:                             ;   in Loop: Header=BB4_5448 Depth=2
	s_mov_b32 s25, -1
	s_mov_b32 s27, exec_lo
                                        ; implicit-def: $sgpr26
	v_cmpx_eq_u16_e64 0x80, v130
; %bb.6039:                             ;   in Loop: Header=BB4_5448 Depth=2
	s_mov_b32 s26, 0x7f800001
	s_xor_b32 s25, exec_lo, -1
; %bb.6040:                             ;   in Loop: Header=BB4_5448 Depth=2
	s_or_b32 exec_lo, exec_lo, s27
	s_delay_alu instid0(SALU_CYCLE_1)
	s_and_b32 s25, s25, exec_lo
	s_or_saveexec_b32 s7, s7
	v_mov_b32_e32 v131, s26
	s_xor_b32 exec_lo, exec_lo, s7
	s_cbranch_execz .LBB4_5683
.LBB4_6041:                             ;   in Loop: Header=BB4_5448 Depth=2
	v_cmp_ne_u16_e64 vcc_lo, 0, v130
	v_mov_b32_e32 v131, 0
	s_and_not1_b32 s25, s25, exec_lo
	s_delay_alu instid0(VALU_DEP_2) | instskip(NEXT) | instid1(SALU_CYCLE_1)
	s_and_b32 s26, vcc_lo, exec_lo
	s_or_b32 s25, s25, s26
	s_or_b32 exec_lo, exec_lo, s7
	s_and_saveexec_b32 s7, s25
	s_cbranch_execnz .LBB4_5684
	s_branch .LBB4_5685
.LBB4_6042:                             ;   in Loop: Header=BB4_5448 Depth=2
	s_mov_b32 s7, -1
	s_mov_b32 s27, exec_lo
                                        ; implicit-def: $sgpr25
	v_cmpx_eq_u16_e64 0x80, v133
; %bb.6043:                             ;   in Loop: Header=BB4_5448 Depth=2
	s_mov_b32 s25, 0x7f800001
	s_xor_b32 s7, exec_lo, -1
; %bb.6044:                             ;   in Loop: Header=BB4_5448 Depth=2
	s_or_b32 exec_lo, exec_lo, s27
	s_delay_alu instid0(SALU_CYCLE_1)
	s_and_b32 s7, s7, exec_lo
                                        ; implicit-def: $vgpr133
	s_or_saveexec_b32 s26, s26
	v_mov_b32_e32 v132, s25
	s_xor_b32 exec_lo, exec_lo, s26
	s_cbranch_execz .LBB4_5687
.LBB4_6045:                             ;   in Loop: Header=BB4_5448 Depth=2
	v_cmp_ne_u16_e64 vcc_lo, 0, v133
	v_mov_b32_e32 v132, 0
	s_and_not1_b32 s7, s7, exec_lo
	s_delay_alu instid0(VALU_DEP_2) | instskip(NEXT) | instid1(SALU_CYCLE_1)
	s_and_b32 s25, vcc_lo, exec_lo
	s_or_b32 s7, s7, s25
	s_or_b32 exec_lo, exec_lo, s26
	s_and_saveexec_b32 s25, s7
	s_cbranch_execnz .LBB4_5688
	s_branch .LBB4_5689
.LBB4_6046:                             ;   in Loop: Header=BB4_5448 Depth=2
	s_mov_b32 s7, -1
	s_mov_b32 s27, exec_lo
                                        ; implicit-def: $sgpr25
	v_cmpx_eq_u16_e64 0x80, v130
; %bb.6047:                             ;   in Loop: Header=BB4_5448 Depth=2
	s_mov_b32 s25, 0x7f800001
	s_xor_b32 s7, exec_lo, -1
; %bb.6048:                             ;   in Loop: Header=BB4_5448 Depth=2
	s_or_b32 exec_lo, exec_lo, s27
	s_delay_alu instid0(SALU_CYCLE_1)
	s_and_b32 s7, s7, exec_lo
                                        ; implicit-def: $vgpr130
	s_or_saveexec_b32 s26, s26
	v_mov_b32_e32 v131, s25
	s_xor_b32 exec_lo, exec_lo, s26
	s_cbranch_execz .LBB4_5694
.LBB4_6049:                             ;   in Loop: Header=BB4_5448 Depth=2
	v_cmp_ne_u16_e64 vcc_lo, 0, v130
	v_mov_b32_e32 v131, 0
	s_and_not1_b32 s7, s7, exec_lo
	s_delay_alu instid0(VALU_DEP_2) | instskip(NEXT) | instid1(SALU_CYCLE_1)
	s_and_b32 s25, vcc_lo, exec_lo
	s_or_b32 s7, s7, s25
	s_or_b32 exec_lo, exec_lo, s26
	s_and_saveexec_b32 s25, s7
	s_cbranch_execnz .LBB4_5695
	s_branch .LBB4_5696
.LBB4_6050:                             ;   in Loop: Header=BB4_5448 Depth=2
	s_mov_b32 s7, -1
	s_mov_b32 s27, exec_lo
                                        ; implicit-def: $sgpr25
	v_cmpx_eq_u16_e64 0x80, v130
; %bb.6051:                             ;   in Loop: Header=BB4_5448 Depth=2
	s_mov_b32 s25, 0x7f800001
	s_xor_b32 s7, exec_lo, -1
; %bb.6052:                             ;   in Loop: Header=BB4_5448 Depth=2
	s_or_b32 exec_lo, exec_lo, s27
	s_delay_alu instid0(SALU_CYCLE_1)
	s_and_b32 s7, s7, exec_lo
                                        ; implicit-def: $vgpr130
	s_or_saveexec_b32 s26, s26
	v_mov_b32_e32 v128, s25
	s_xor_b32 exec_lo, exec_lo, s26
	s_cbranch_execz .LBB4_5698
.LBB4_6053:                             ;   in Loop: Header=BB4_5448 Depth=2
	v_cmp_ne_u16_e64 vcc_lo, 0, v130
	v_mov_b32_e32 v128, 0
	s_and_not1_b32 s7, s7, exec_lo
	s_delay_alu instid0(VALU_DEP_2) | instskip(NEXT) | instid1(SALU_CYCLE_1)
	s_and_b32 s25, vcc_lo, exec_lo
	s_or_b32 s7, s7, s25
	s_or_b32 exec_lo, exec_lo, s26
	s_and_saveexec_b32 s25, s7
	s_cbranch_execnz .LBB4_5699
	s_branch .LBB4_5700
.LBB4_6054:                             ;   in Loop: Header=BB4_5448 Depth=2
	s_mov_b32 s25, -1
	s_mov_b32 s27, exec_lo
                                        ; implicit-def: $sgpr26
	v_cmpx_eq_u16_e64 0x80, v128
; %bb.6055:                             ;   in Loop: Header=BB4_5448 Depth=2
	s_mov_b32 s26, 0x7f800001
	s_xor_b32 s25, exec_lo, -1
; %bb.6056:                             ;   in Loop: Header=BB4_5448 Depth=2
	s_or_b32 exec_lo, exec_lo, s27
	s_delay_alu instid0(SALU_CYCLE_1)
	s_and_b32 s25, s25, exec_lo
	s_or_saveexec_b32 s7, s7
	v_mov_b32_e32 v130, s26
	s_xor_b32 exec_lo, exec_lo, s7
	s_cbranch_execz .LBB4_5712
.LBB4_6057:                             ;   in Loop: Header=BB4_5448 Depth=2
	v_cmp_ne_u16_e64 vcc_lo, 0, v128
	v_mov_b32_e32 v130, 0
	s_and_not1_b32 s25, s25, exec_lo
	s_delay_alu instid0(VALU_DEP_2) | instskip(NEXT) | instid1(SALU_CYCLE_1)
	s_and_b32 s26, vcc_lo, exec_lo
	s_or_b32 s25, s25, s26
	s_or_b32 exec_lo, exec_lo, s7
	s_and_saveexec_b32 s7, s25
	s_cbranch_execnz .LBB4_5713
	s_branch .LBB4_5714
.LBB4_6058:                             ;   in Loop: Header=BB4_5448 Depth=2
	s_mov_b32 s7, -1
	s_mov_b32 s27, exec_lo
                                        ; implicit-def: $sgpr25
	v_cmpx_eq_u16_e64 0x80, v132
; %bb.6059:                             ;   in Loop: Header=BB4_5448 Depth=2
	s_mov_b32 s25, 0x7f800001
	s_xor_b32 s7, exec_lo, -1
; %bb.6060:                             ;   in Loop: Header=BB4_5448 Depth=2
	s_or_b32 exec_lo, exec_lo, s27
	s_delay_alu instid0(SALU_CYCLE_1)
	s_and_b32 s7, s7, exec_lo
                                        ; implicit-def: $vgpr132
	s_or_saveexec_b32 s26, s26
	v_mov_b32_e32 v131, s25
	s_xor_b32 exec_lo, exec_lo, s26
	s_cbranch_execz .LBB4_5716
.LBB4_6061:                             ;   in Loop: Header=BB4_5448 Depth=2
	v_cmp_ne_u16_e64 vcc_lo, 0, v132
	v_mov_b32_e32 v131, 0
	s_and_not1_b32 s7, s7, exec_lo
	s_delay_alu instid0(VALU_DEP_2) | instskip(NEXT) | instid1(SALU_CYCLE_1)
	s_and_b32 s25, vcc_lo, exec_lo
	s_or_b32 s7, s7, s25
	s_or_b32 exec_lo, exec_lo, s26
	s_and_saveexec_b32 s25, s7
	s_cbranch_execnz .LBB4_5717
	s_branch .LBB4_5718
.LBB4_6062:                             ;   in Loop: Header=BB4_5448 Depth=2
	s_mov_b32 s7, -1
	s_mov_b32 s27, exec_lo
                                        ; implicit-def: $sgpr25
	v_cmpx_eq_u16_e64 0x80, v128
; %bb.6063:                             ;   in Loop: Header=BB4_5448 Depth=2
	s_mov_b32 s25, 0x7f800001
	s_xor_b32 s7, exec_lo, -1
; %bb.6064:                             ;   in Loop: Header=BB4_5448 Depth=2
	s_or_b32 exec_lo, exec_lo, s27
	s_delay_alu instid0(SALU_CYCLE_1)
	s_and_b32 s7, s7, exec_lo
                                        ; implicit-def: $vgpr128
	s_or_saveexec_b32 s26, s26
	v_mov_b32_e32 v130, s25
	s_xor_b32 exec_lo, exec_lo, s26
	s_cbranch_execz .LBB4_5723
.LBB4_6065:                             ;   in Loop: Header=BB4_5448 Depth=2
	v_cmp_ne_u16_e64 vcc_lo, 0, v128
	v_mov_b32_e32 v130, 0
	s_and_not1_b32 s7, s7, exec_lo
	s_delay_alu instid0(VALU_DEP_2) | instskip(NEXT) | instid1(SALU_CYCLE_1)
	s_and_b32 s25, vcc_lo, exec_lo
	s_or_b32 s7, s7, s25
	s_or_b32 exec_lo, exec_lo, s26
	s_and_saveexec_b32 s25, s7
	s_cbranch_execnz .LBB4_5724
	s_branch .LBB4_5725
.LBB4_6066:                             ;   in Loop: Header=BB4_5448 Depth=2
	s_mov_b32 s7, -1
	s_mov_b32 s27, exec_lo
                                        ; implicit-def: $sgpr25
	v_cmpx_eq_u16_e64 0x80, v128
; %bb.6067:                             ;   in Loop: Header=BB4_5448 Depth=2
	s_mov_b32 s25, 0x7f800001
	s_xor_b32 s7, exec_lo, -1
; %bb.6068:                             ;   in Loop: Header=BB4_5448 Depth=2
	s_or_b32 exec_lo, exec_lo, s27
	s_delay_alu instid0(SALU_CYCLE_1)
	s_and_b32 s7, s7, exec_lo
                                        ; implicit-def: $vgpr128
	s_or_saveexec_b32 s26, s26
	v_mov_b32_e32 v117, s25
	s_xor_b32 exec_lo, exec_lo, s26
	s_cbranch_execz .LBB4_5727
.LBB4_6069:                             ;   in Loop: Header=BB4_5448 Depth=2
	v_cmp_ne_u16_e64 vcc_lo, 0, v128
	v_mov_b32_e32 v117, 0
	s_and_not1_b32 s7, s7, exec_lo
	s_delay_alu instid0(VALU_DEP_2) | instskip(NEXT) | instid1(SALU_CYCLE_1)
	s_and_b32 s25, vcc_lo, exec_lo
	s_or_b32 s7, s7, s25
	s_or_b32 exec_lo, exec_lo, s26
	s_and_saveexec_b32 s25, s7
	s_cbranch_execnz .LBB4_5728
	s_branch .LBB4_5729
.LBB4_6070:                             ;   in Loop: Header=BB4_5448 Depth=2
	s_mov_b32 s25, -1
	s_mov_b32 s27, exec_lo
                                        ; implicit-def: $sgpr26
	v_cmpx_eq_u16_e32 0x80, v117
; %bb.6071:                             ;   in Loop: Header=BB4_5448 Depth=2
	s_mov_b32 s26, 0x7f800001
	s_xor_b32 s25, exec_lo, -1
; %bb.6072:                             ;   in Loop: Header=BB4_5448 Depth=2
	s_or_b32 exec_lo, exec_lo, s27
	s_delay_alu instid0(SALU_CYCLE_1)
	s_and_b32 s25, s25, exec_lo
	s_or_saveexec_b32 s7, s7
	v_mov_b32_e32 v128, s26
	s_xor_b32 exec_lo, exec_lo, s7
	s_cbranch_execz .LBB4_5741
.LBB4_6073:                             ;   in Loop: Header=BB4_5448 Depth=2
	v_cmp_ne_u16_e32 vcc_lo, 0, v117
	v_mov_b32_e32 v128, 0
	s_and_not1_b32 s25, s25, exec_lo
	s_and_b32 s26, vcc_lo, exec_lo
	s_delay_alu instid0(SALU_CYCLE_1)
	s_or_b32 s25, s25, s26
	s_or_b32 exec_lo, exec_lo, s7
	s_and_saveexec_b32 s7, s25
	s_cbranch_execnz .LBB4_5742
	s_branch .LBB4_5743
.LBB4_6074:                             ;   in Loop: Header=BB4_5448 Depth=2
	s_mov_b32 s7, -1
	s_mov_b32 s27, exec_lo
                                        ; implicit-def: $sgpr25
	v_cmpx_eq_u16_e64 0x80, v131
; %bb.6075:                             ;   in Loop: Header=BB4_5448 Depth=2
	s_mov_b32 s25, 0x7f800001
	s_xor_b32 s7, exec_lo, -1
; %bb.6076:                             ;   in Loop: Header=BB4_5448 Depth=2
	s_or_b32 exec_lo, exec_lo, s27
	s_delay_alu instid0(SALU_CYCLE_1)
	s_and_b32 s7, s7, exec_lo
                                        ; implicit-def: $vgpr131
	s_or_saveexec_b32 s26, s26
	v_mov_b32_e32 v130, s25
	s_xor_b32 exec_lo, exec_lo, s26
	s_cbranch_execz .LBB4_5745
.LBB4_6077:                             ;   in Loop: Header=BB4_5448 Depth=2
	v_cmp_ne_u16_e64 vcc_lo, 0, v131
	v_mov_b32_e32 v130, 0
	s_and_not1_b32 s7, s7, exec_lo
	s_delay_alu instid0(VALU_DEP_2) | instskip(NEXT) | instid1(SALU_CYCLE_1)
	s_and_b32 s25, vcc_lo, exec_lo
	s_or_b32 s7, s7, s25
	s_or_b32 exec_lo, exec_lo, s26
	s_and_saveexec_b32 s25, s7
	s_cbranch_execnz .LBB4_5746
	s_branch .LBB4_5747
.LBB4_6078:                             ;   in Loop: Header=BB4_5448 Depth=2
	s_mov_b32 s7, -1
	s_mov_b32 s27, exec_lo
                                        ; implicit-def: $sgpr25
	v_cmpx_eq_u16_e32 0x80, v117
; %bb.6079:                             ;   in Loop: Header=BB4_5448 Depth=2
	s_mov_b32 s25, 0x7f800001
	s_xor_b32 s7, exec_lo, -1
; %bb.6080:                             ;   in Loop: Header=BB4_5448 Depth=2
	s_or_b32 exec_lo, exec_lo, s27
	s_delay_alu instid0(SALU_CYCLE_1)
	s_and_b32 s7, s7, exec_lo
                                        ; implicit-def: $vgpr117
	s_or_saveexec_b32 s26, s26
	v_mov_b32_e32 v128, s25
	s_xor_b32 exec_lo, exec_lo, s26
	s_cbranch_execz .LBB4_5752
.LBB4_6081:                             ;   in Loop: Header=BB4_5448 Depth=2
	v_cmp_ne_u16_e32 vcc_lo, 0, v117
	v_mov_b32_e32 v128, 0
	s_and_not1_b32 s7, s7, exec_lo
	s_and_b32 s25, vcc_lo, exec_lo
	s_delay_alu instid0(SALU_CYCLE_1)
	s_or_b32 s7, s7, s25
	s_or_b32 exec_lo, exec_lo, s26
	s_and_saveexec_b32 s25, s7
	s_cbranch_execnz .LBB4_5753
	s_branch .LBB4_5754
.LBB4_6082:                             ;   in Loop: Header=BB4_5448 Depth=2
	s_mov_b32 s7, -1
	s_mov_b32 s27, exec_lo
                                        ; implicit-def: $sgpr25
	v_cmpx_eq_u16_e32 0x80, v117
; %bb.6083:                             ;   in Loop: Header=BB4_5448 Depth=2
	s_mov_b32 s25, 0x7f800001
	s_xor_b32 s7, exec_lo, -1
; %bb.6084:                             ;   in Loop: Header=BB4_5448 Depth=2
	s_or_b32 exec_lo, exec_lo, s27
	s_delay_alu instid0(SALU_CYCLE_1)
	s_and_b32 s7, s7, exec_lo
                                        ; implicit-def: $vgpr117
	s_or_saveexec_b32 s26, s26
	v_mov_b32_e32 v114, s25
	s_xor_b32 exec_lo, exec_lo, s26
	s_cbranch_execz .LBB4_5756
.LBB4_6085:                             ;   in Loop: Header=BB4_5448 Depth=2
	v_cmp_ne_u16_e32 vcc_lo, 0, v117
	v_mov_b32_e32 v114, 0
	s_and_not1_b32 s7, s7, exec_lo
	s_and_b32 s25, vcc_lo, exec_lo
	s_delay_alu instid0(SALU_CYCLE_1)
	s_or_b32 s7, s7, s25
	s_or_b32 exec_lo, exec_lo, s26
	s_and_saveexec_b32 s25, s7
	s_cbranch_execnz .LBB4_5757
	s_branch .LBB4_5758
.LBB4_6086:                             ;   in Loop: Header=BB4_5448 Depth=2
	s_mov_b32 s25, -1
	s_mov_b32 s27, exec_lo
                                        ; implicit-def: $sgpr26
	v_cmpx_eq_u16_e32 0x80, v114
; %bb.6087:                             ;   in Loop: Header=BB4_5448 Depth=2
	s_mov_b32 s26, 0x7f800001
	s_xor_b32 s25, exec_lo, -1
; %bb.6088:                             ;   in Loop: Header=BB4_5448 Depth=2
	s_or_b32 exec_lo, exec_lo, s27
	s_delay_alu instid0(SALU_CYCLE_1)
	s_and_b32 s25, s25, exec_lo
	s_or_saveexec_b32 s7, s7
	v_mov_b32_e32 v117, s26
	s_xor_b32 exec_lo, exec_lo, s7
	s_cbranch_execz .LBB4_5770
.LBB4_6089:                             ;   in Loop: Header=BB4_5448 Depth=2
	v_cmp_ne_u16_e32 vcc_lo, 0, v114
	v_mov_b32_e32 v117, 0
	s_and_not1_b32 s25, s25, exec_lo
	s_and_b32 s26, vcc_lo, exec_lo
	s_delay_alu instid0(SALU_CYCLE_1)
	s_or_b32 s25, s25, s26
	s_or_b32 exec_lo, exec_lo, s7
	s_and_saveexec_b32 s7, s25
	s_cbranch_execnz .LBB4_5771
	s_branch .LBB4_5772
.LBB4_6090:                             ;   in Loop: Header=BB4_5448 Depth=2
	s_mov_b32 s7, -1
	s_mov_b32 s27, exec_lo
                                        ; implicit-def: $sgpr25
	v_cmpx_eq_u16_e64 0x80, v130
; %bb.6091:                             ;   in Loop: Header=BB4_5448 Depth=2
	s_mov_b32 s25, 0x7f800001
	s_xor_b32 s7, exec_lo, -1
; %bb.6092:                             ;   in Loop: Header=BB4_5448 Depth=2
	s_or_b32 exec_lo, exec_lo, s27
	s_delay_alu instid0(SALU_CYCLE_1)
	s_and_b32 s7, s7, exec_lo
                                        ; implicit-def: $vgpr130
	s_or_saveexec_b32 s26, s26
	v_mov_b32_e32 v128, s25
	s_xor_b32 exec_lo, exec_lo, s26
	s_cbranch_execz .LBB4_5774
.LBB4_6093:                             ;   in Loop: Header=BB4_5448 Depth=2
	v_cmp_ne_u16_e64 vcc_lo, 0, v130
	v_mov_b32_e32 v128, 0
	s_and_not1_b32 s7, s7, exec_lo
	s_delay_alu instid0(VALU_DEP_2) | instskip(NEXT) | instid1(SALU_CYCLE_1)
	s_and_b32 s25, vcc_lo, exec_lo
	s_or_b32 s7, s7, s25
	s_or_b32 exec_lo, exec_lo, s26
	s_and_saveexec_b32 s25, s7
	s_cbranch_execnz .LBB4_5775
	s_branch .LBB4_5776
.LBB4_6094:                             ;   in Loop: Header=BB4_5448 Depth=2
	s_mov_b32 s7, -1
	s_mov_b32 s27, exec_lo
                                        ; implicit-def: $sgpr25
	v_cmpx_eq_u16_e32 0x80, v114
; %bb.6095:                             ;   in Loop: Header=BB4_5448 Depth=2
	s_mov_b32 s25, 0x7f800001
	s_xor_b32 s7, exec_lo, -1
; %bb.6096:                             ;   in Loop: Header=BB4_5448 Depth=2
	s_or_b32 exec_lo, exec_lo, s27
	s_delay_alu instid0(SALU_CYCLE_1)
	s_and_b32 s7, s7, exec_lo
                                        ; implicit-def: $vgpr114
	s_or_saveexec_b32 s26, s26
	v_mov_b32_e32 v117, s25
	s_xor_b32 exec_lo, exec_lo, s26
	s_cbranch_execz .LBB4_5781
.LBB4_6097:                             ;   in Loop: Header=BB4_5448 Depth=2
	v_cmp_ne_u16_e32 vcc_lo, 0, v114
	v_mov_b32_e32 v117, 0
	s_and_not1_b32 s7, s7, exec_lo
	s_and_b32 s25, vcc_lo, exec_lo
	s_delay_alu instid0(SALU_CYCLE_1)
	s_or_b32 s7, s7, s25
	s_or_b32 exec_lo, exec_lo, s26
	s_and_saveexec_b32 s25, s7
	s_cbranch_execnz .LBB4_5782
	s_branch .LBB4_5783
.LBB4_6098:                             ;   in Loop: Header=BB4_5448 Depth=2
	s_mov_b32 s7, -1
	s_mov_b32 s27, exec_lo
                                        ; implicit-def: $sgpr25
	v_cmpx_eq_u16_e32 0x80, v114
; %bb.6099:                             ;   in Loop: Header=BB4_5448 Depth=2
	s_mov_b32 s25, 0x7f800001
	s_xor_b32 s7, exec_lo, -1
; %bb.6100:                             ;   in Loop: Header=BB4_5448 Depth=2
	s_or_b32 exec_lo, exec_lo, s27
	s_delay_alu instid0(SALU_CYCLE_1)
	s_and_b32 s7, s7, exec_lo
                                        ; implicit-def: $vgpr114
	s_or_saveexec_b32 s26, s26
	v_mov_b32_e32 v103, s25
	s_xor_b32 exec_lo, exec_lo, s26
	s_cbranch_execz .LBB4_5785
.LBB4_6101:                             ;   in Loop: Header=BB4_5448 Depth=2
	v_cmp_ne_u16_e32 vcc_lo, 0, v114
	v_mov_b32_e32 v103, 0
	s_and_not1_b32 s7, s7, exec_lo
	s_and_b32 s25, vcc_lo, exec_lo
	s_delay_alu instid0(SALU_CYCLE_1)
	s_or_b32 s7, s7, s25
	s_or_b32 exec_lo, exec_lo, s26
	s_and_saveexec_b32 s25, s7
	s_cbranch_execnz .LBB4_5786
	s_branch .LBB4_5787
.LBB4_6102:                             ;   in Loop: Header=BB4_5448 Depth=2
	s_mov_b32 s25, -1
	s_mov_b32 s27, exec_lo
                                        ; implicit-def: $sgpr26
	v_cmpx_eq_u16_e32 0x80, v103
; %bb.6103:                             ;   in Loop: Header=BB4_5448 Depth=2
	s_mov_b32 s26, 0x7f800001
	s_xor_b32 s25, exec_lo, -1
; %bb.6104:                             ;   in Loop: Header=BB4_5448 Depth=2
	s_or_b32 exec_lo, exec_lo, s27
	s_delay_alu instid0(SALU_CYCLE_1)
	s_and_b32 s25, s25, exec_lo
	s_or_saveexec_b32 s7, s7
	v_mov_b32_e32 v114, s26
	s_xor_b32 exec_lo, exec_lo, s7
	s_cbranch_execz .LBB4_5799
.LBB4_6105:                             ;   in Loop: Header=BB4_5448 Depth=2
	v_cmp_ne_u16_e32 vcc_lo, 0, v103
	v_mov_b32_e32 v114, 0
	s_and_not1_b32 s25, s25, exec_lo
	s_and_b32 s26, vcc_lo, exec_lo
	s_delay_alu instid0(SALU_CYCLE_1)
	s_or_b32 s25, s25, s26
	s_or_b32 exec_lo, exec_lo, s7
	s_and_saveexec_b32 s7, s25
	s_cbranch_execnz .LBB4_5800
	s_branch .LBB4_5801
.LBB4_6106:                             ;   in Loop: Header=BB4_5448 Depth=2
	s_mov_b32 s7, -1
	s_mov_b32 s27, exec_lo
                                        ; implicit-def: $sgpr25
	v_cmpx_eq_u16_e64 0x80, v128
; %bb.6107:                             ;   in Loop: Header=BB4_5448 Depth=2
	s_mov_b32 s25, 0x7f800001
	s_xor_b32 s7, exec_lo, -1
; %bb.6108:                             ;   in Loop: Header=BB4_5448 Depth=2
	s_or_b32 exec_lo, exec_lo, s27
	s_delay_alu instid0(SALU_CYCLE_1)
	s_and_b32 s7, s7, exec_lo
                                        ; implicit-def: $vgpr128
	s_or_saveexec_b32 s26, s26
	v_mov_b32_e32 v117, s25
	s_xor_b32 exec_lo, exec_lo, s26
	s_cbranch_execz .LBB4_5803
.LBB4_6109:                             ;   in Loop: Header=BB4_5448 Depth=2
	v_cmp_ne_u16_e64 vcc_lo, 0, v128
	v_mov_b32_e32 v117, 0
	s_and_not1_b32 s7, s7, exec_lo
	s_delay_alu instid0(VALU_DEP_2) | instskip(NEXT) | instid1(SALU_CYCLE_1)
	s_and_b32 s25, vcc_lo, exec_lo
	s_or_b32 s7, s7, s25
	s_or_b32 exec_lo, exec_lo, s26
	s_and_saveexec_b32 s25, s7
	s_cbranch_execnz .LBB4_5804
	s_branch .LBB4_5805
.LBB4_6110:                             ;   in Loop: Header=BB4_5448 Depth=2
	s_mov_b32 s7, -1
	s_mov_b32 s27, exec_lo
                                        ; implicit-def: $sgpr25
	v_cmpx_eq_u16_e32 0x80, v103
; %bb.6111:                             ;   in Loop: Header=BB4_5448 Depth=2
	s_mov_b32 s25, 0x7f800001
	s_xor_b32 s7, exec_lo, -1
; %bb.6112:                             ;   in Loop: Header=BB4_5448 Depth=2
	s_or_b32 exec_lo, exec_lo, s27
	s_delay_alu instid0(SALU_CYCLE_1)
	s_and_b32 s7, s7, exec_lo
                                        ; implicit-def: $vgpr103
	s_or_saveexec_b32 s26, s26
	v_mov_b32_e32 v114, s25
	s_xor_b32 exec_lo, exec_lo, s26
	s_cbranch_execz .LBB4_5810
.LBB4_6113:                             ;   in Loop: Header=BB4_5448 Depth=2
	v_cmp_ne_u16_e32 vcc_lo, 0, v103
	v_mov_b32_e32 v114, 0
	s_and_not1_b32 s7, s7, exec_lo
	s_and_b32 s25, vcc_lo, exec_lo
	s_delay_alu instid0(SALU_CYCLE_1)
	s_or_b32 s7, s7, s25
	s_or_b32 exec_lo, exec_lo, s26
	s_and_saveexec_b32 s25, s7
	s_cbranch_execnz .LBB4_5811
	s_branch .LBB4_5812
.LBB4_6114:                             ;   in Loop: Header=BB4_5448 Depth=2
	s_mov_b32 s7, -1
	s_mov_b32 s27, exec_lo
                                        ; implicit-def: $sgpr25
	v_cmpx_eq_u16_e32 0x80, v103
; %bb.6115:                             ;   in Loop: Header=BB4_5448 Depth=2
	s_mov_b32 s25, 0x7f800001
	s_xor_b32 s7, exec_lo, -1
; %bb.6116:                             ;   in Loop: Header=BB4_5448 Depth=2
	s_or_b32 exec_lo, exec_lo, s27
	s_delay_alu instid0(SALU_CYCLE_1)
	s_and_b32 s7, s7, exec_lo
                                        ; implicit-def: $vgpr103
	s_or_saveexec_b32 s26, s26
	v_mov_b32_e32 v69, s25
	s_xor_b32 exec_lo, exec_lo, s26
	s_cbranch_execz .LBB4_5814
.LBB4_6117:                             ;   in Loop: Header=BB4_5448 Depth=2
	v_cmp_ne_u16_e32 vcc_lo, 0, v103
	v_mov_b32_e32 v69, 0
	s_and_not1_b32 s7, s7, exec_lo
	s_and_b32 s25, vcc_lo, exec_lo
	s_delay_alu instid0(SALU_CYCLE_1)
	s_or_b32 s7, s7, s25
	s_or_b32 exec_lo, exec_lo, s26
	s_and_saveexec_b32 s25, s7
	s_cbranch_execnz .LBB4_5815
	s_branch .LBB4_5816
.LBB4_6118:                             ;   in Loop: Header=BB4_5448 Depth=2
	s_mov_b32 s25, -1
	s_mov_b32 s27, exec_lo
                                        ; implicit-def: $sgpr26
	v_cmpx_eq_u16_e32 0x80, v69
; %bb.6119:                             ;   in Loop: Header=BB4_5448 Depth=2
	s_mov_b32 s26, 0x7f800001
	s_xor_b32 s25, exec_lo, -1
; %bb.6120:                             ;   in Loop: Header=BB4_5448 Depth=2
	s_or_b32 exec_lo, exec_lo, s27
	s_delay_alu instid0(SALU_CYCLE_1)
	s_and_b32 s25, s25, exec_lo
	s_or_saveexec_b32 s7, s7
	v_mov_b32_e32 v103, s26
	s_xor_b32 exec_lo, exec_lo, s7
	s_cbranch_execz .LBB4_5828
.LBB4_6121:                             ;   in Loop: Header=BB4_5448 Depth=2
	v_cmp_ne_u16_e32 vcc_lo, 0, v69
	v_mov_b32_e32 v103, 0
	s_and_not1_b32 s25, s25, exec_lo
	s_and_b32 s26, vcc_lo, exec_lo
	s_delay_alu instid0(SALU_CYCLE_1)
	s_or_b32 s25, s25, s26
	s_or_b32 exec_lo, exec_lo, s7
	s_and_saveexec_b32 s7, s25
	s_cbranch_execnz .LBB4_5829
	s_branch .LBB4_5830
.LBB4_6122:                             ;   in Loop: Header=BB4_5448 Depth=2
	s_mov_b32 s7, -1
	s_mov_b32 s27, exec_lo
                                        ; implicit-def: $sgpr25
	v_cmpx_eq_u16_e32 0x80, v117
; %bb.6123:                             ;   in Loop: Header=BB4_5448 Depth=2
	s_mov_b32 s25, 0x7f800001
	s_xor_b32 s7, exec_lo, -1
; %bb.6124:                             ;   in Loop: Header=BB4_5448 Depth=2
	s_or_b32 exec_lo, exec_lo, s27
	s_delay_alu instid0(SALU_CYCLE_1)
	s_and_b32 s7, s7, exec_lo
                                        ; implicit-def: $vgpr117
	s_or_saveexec_b32 s26, s26
	v_mov_b32_e32 v114, s25
	s_xor_b32 exec_lo, exec_lo, s26
	s_cbranch_execz .LBB4_5832
.LBB4_6125:                             ;   in Loop: Header=BB4_5448 Depth=2
	v_cmp_ne_u16_e32 vcc_lo, 0, v117
	v_mov_b32_e32 v114, 0
	s_and_not1_b32 s7, s7, exec_lo
	s_and_b32 s25, vcc_lo, exec_lo
	s_delay_alu instid0(SALU_CYCLE_1)
	s_or_b32 s7, s7, s25
	s_or_b32 exec_lo, exec_lo, s26
	s_and_saveexec_b32 s25, s7
	s_cbranch_execnz .LBB4_5833
	s_branch .LBB4_5834
.LBB4_6126:                             ;   in Loop: Header=BB4_5448 Depth=2
	s_mov_b32 s7, -1
	s_mov_b32 s27, exec_lo
                                        ; implicit-def: $sgpr25
	v_cmpx_eq_u16_e32 0x80, v69
; %bb.6127:                             ;   in Loop: Header=BB4_5448 Depth=2
	s_mov_b32 s25, 0x7f800001
	s_xor_b32 s7, exec_lo, -1
; %bb.6128:                             ;   in Loop: Header=BB4_5448 Depth=2
	s_or_b32 exec_lo, exec_lo, s27
	s_delay_alu instid0(SALU_CYCLE_1)
	s_and_b32 s7, s7, exec_lo
                                        ; implicit-def: $vgpr69
	s_or_saveexec_b32 s26, s26
	v_mov_b32_e32 v103, s25
	s_xor_b32 exec_lo, exec_lo, s26
	s_cbranch_execz .LBB4_5839
.LBB4_6129:                             ;   in Loop: Header=BB4_5448 Depth=2
	v_cmp_ne_u16_e32 vcc_lo, 0, v69
	v_mov_b32_e32 v103, 0
	s_and_not1_b32 s7, s7, exec_lo
	s_and_b32 s25, vcc_lo, exec_lo
	s_delay_alu instid0(SALU_CYCLE_1)
	s_or_b32 s7, s7, s25
	s_or_b32 exec_lo, exec_lo, s26
	s_and_saveexec_b32 s25, s7
	s_cbranch_execnz .LBB4_5840
	s_branch .LBB4_5841
.LBB4_6130:                             ;   in Loop: Header=BB4_5448 Depth=2
	s_mov_b32 s7, -1
	s_mov_b32 s27, exec_lo
                                        ; implicit-def: $sgpr25
	v_cmpx_eq_u16_e32 0x80, v69
; %bb.6131:                             ;   in Loop: Header=BB4_5448 Depth=2
	s_mov_b32 s25, 0x7f800001
	s_xor_b32 s7, exec_lo, -1
; %bb.6132:                             ;   in Loop: Header=BB4_5448 Depth=2
	s_or_b32 exec_lo, exec_lo, s27
	s_delay_alu instid0(SALU_CYCLE_1)
	s_and_b32 s7, s7, exec_lo
                                        ; implicit-def: $vgpr69
	s_or_saveexec_b32 s26, s26
	v_mov_b32_e32 v66, s25
	s_xor_b32 exec_lo, exec_lo, s26
	s_cbranch_execz .LBB4_5843
.LBB4_6133:                             ;   in Loop: Header=BB4_5448 Depth=2
	v_cmp_ne_u16_e32 vcc_lo, 0, v69
	v_mov_b32_e32 v66, 0
	s_and_not1_b32 s7, s7, exec_lo
	s_and_b32 s25, vcc_lo, exec_lo
	s_delay_alu instid0(SALU_CYCLE_1)
	s_or_b32 s7, s7, s25
	s_or_b32 exec_lo, exec_lo, s26
	s_and_saveexec_b32 s25, s7
	s_cbranch_execnz .LBB4_5844
	s_branch .LBB4_5845
.LBB4_6134:                             ;   in Loop: Header=BB4_5448 Depth=2
	s_mov_b32 s25, -1
	s_mov_b32 s27, exec_lo
                                        ; implicit-def: $sgpr26
	v_cmpx_eq_u16_e32 0x80, v66
; %bb.6135:                             ;   in Loop: Header=BB4_5448 Depth=2
	s_mov_b32 s26, 0x7f800001
	s_xor_b32 s25, exec_lo, -1
; %bb.6136:                             ;   in Loop: Header=BB4_5448 Depth=2
	s_or_b32 exec_lo, exec_lo, s27
	s_delay_alu instid0(SALU_CYCLE_1)
	s_and_b32 s25, s25, exec_lo
	s_or_saveexec_b32 s7, s7
	v_mov_b32_e32 v69, s26
	s_xor_b32 exec_lo, exec_lo, s7
	s_cbranch_execz .LBB4_5857
.LBB4_6137:                             ;   in Loop: Header=BB4_5448 Depth=2
	v_cmp_ne_u16_e32 vcc_lo, 0, v66
	v_mov_b32_e32 v69, 0
	s_and_not1_b32 s25, s25, exec_lo
	s_and_b32 s26, vcc_lo, exec_lo
	s_delay_alu instid0(SALU_CYCLE_1)
	s_or_b32 s25, s25, s26
	s_or_b32 exec_lo, exec_lo, s7
	s_and_saveexec_b32 s7, s25
	s_cbranch_execnz .LBB4_5858
	s_branch .LBB4_5859
.LBB4_6138:                             ;   in Loop: Header=BB4_5448 Depth=2
	s_mov_b32 s7, -1
	s_mov_b32 s27, exec_lo
                                        ; implicit-def: $sgpr25
	v_cmpx_eq_u16_e32 0x80, v114
; %bb.6139:                             ;   in Loop: Header=BB4_5448 Depth=2
	s_mov_b32 s25, 0x7f800001
	s_xor_b32 s7, exec_lo, -1
; %bb.6140:                             ;   in Loop: Header=BB4_5448 Depth=2
	s_or_b32 exec_lo, exec_lo, s27
	s_delay_alu instid0(SALU_CYCLE_1)
	s_and_b32 s7, s7, exec_lo
                                        ; implicit-def: $vgpr114
	s_or_saveexec_b32 s26, s26
	v_mov_b32_e32 v103, s25
	s_xor_b32 exec_lo, exec_lo, s26
	s_cbranch_execz .LBB4_5861
.LBB4_6141:                             ;   in Loop: Header=BB4_5448 Depth=2
	v_cmp_ne_u16_e32 vcc_lo, 0, v114
	v_mov_b32_e32 v103, 0
	s_and_not1_b32 s7, s7, exec_lo
	s_and_b32 s25, vcc_lo, exec_lo
	s_delay_alu instid0(SALU_CYCLE_1)
	s_or_b32 s7, s7, s25
	s_or_b32 exec_lo, exec_lo, s26
	s_and_saveexec_b32 s25, s7
	s_cbranch_execnz .LBB4_5862
	s_branch .LBB4_5863
.LBB4_6142:                             ;   in Loop: Header=BB4_5448 Depth=2
	s_mov_b32 s7, -1
	s_mov_b32 s27, exec_lo
                                        ; implicit-def: $sgpr25
	v_cmpx_eq_u16_e32 0x80, v66
; %bb.6143:                             ;   in Loop: Header=BB4_5448 Depth=2
	s_mov_b32 s25, 0x7f800001
	s_xor_b32 s7, exec_lo, -1
; %bb.6144:                             ;   in Loop: Header=BB4_5448 Depth=2
	s_or_b32 exec_lo, exec_lo, s27
	s_delay_alu instid0(SALU_CYCLE_1)
	s_and_b32 s7, s7, exec_lo
                                        ; implicit-def: $vgpr66
	s_or_saveexec_b32 s26, s26
	v_mov_b32_e32 v69, s25
	s_xor_b32 exec_lo, exec_lo, s26
	s_cbranch_execz .LBB4_5868
.LBB4_6145:                             ;   in Loop: Header=BB4_5448 Depth=2
	v_cmp_ne_u16_e32 vcc_lo, 0, v66
	v_mov_b32_e32 v69, 0
	s_and_not1_b32 s7, s7, exec_lo
	s_and_b32 s25, vcc_lo, exec_lo
	s_delay_alu instid0(SALU_CYCLE_1)
	s_or_b32 s7, s7, s25
	s_or_b32 exec_lo, exec_lo, s26
	s_and_saveexec_b32 s25, s7
	s_cbranch_execnz .LBB4_5869
	s_branch .LBB4_5870
.LBB4_6146:                             ;   in Loop: Header=BB4_5448 Depth=2
	s_mov_b32 s7, -1
	s_mov_b32 s27, exec_lo
                                        ; implicit-def: $sgpr25
	v_cmpx_eq_u16_e32 0x80, v66
; %bb.6147:                             ;   in Loop: Header=BB4_5448 Depth=2
	s_mov_b32 s25, 0x7f800001
	s_xor_b32 s7, exec_lo, -1
; %bb.6148:                             ;   in Loop: Header=BB4_5448 Depth=2
	s_or_b32 exec_lo, exec_lo, s27
	s_delay_alu instid0(SALU_CYCLE_1)
	s_and_b32 s7, s7, exec_lo
                                        ; implicit-def: $vgpr66
	s_or_saveexec_b32 s26, s26
	v_mov_b32_e32 v25, s25
	s_xor_b32 exec_lo, exec_lo, s26
	s_cbranch_execz .LBB4_5872
.LBB4_6149:                             ;   in Loop: Header=BB4_5448 Depth=2
	v_cmp_ne_u16_e32 vcc_lo, 0, v66
	v_mov_b32_e32 v25, 0
	s_and_not1_b32 s7, s7, exec_lo
	s_and_b32 s25, vcc_lo, exec_lo
	s_delay_alu instid0(SALU_CYCLE_1)
	s_or_b32 s7, s7, s25
	s_or_b32 exec_lo, exec_lo, s26
	s_and_saveexec_b32 s25, s7
	s_cbranch_execnz .LBB4_5873
	s_branch .LBB4_5874
.LBB4_6150:                             ;   in Loop: Header=BB4_5448 Depth=2
	s_mov_b32 s25, -1
	s_mov_b32 s27, exec_lo
                                        ; implicit-def: $sgpr26
	v_cmpx_eq_u16_e32 0x80, v25
; %bb.6151:                             ;   in Loop: Header=BB4_5448 Depth=2
	s_mov_b32 s26, 0x7f800001
	s_xor_b32 s25, exec_lo, -1
; %bb.6152:                             ;   in Loop: Header=BB4_5448 Depth=2
	s_or_b32 exec_lo, exec_lo, s27
	s_delay_alu instid0(SALU_CYCLE_1)
	s_and_b32 s25, s25, exec_lo
	s_or_saveexec_b32 s7, s7
	v_mov_b32_e32 v66, s26
	s_xor_b32 exec_lo, exec_lo, s7
	s_cbranch_execz .LBB4_5886
.LBB4_6153:                             ;   in Loop: Header=BB4_5448 Depth=2
	v_cmp_ne_u16_e32 vcc_lo, 0, v25
	v_mov_b32_e32 v66, 0
	s_and_not1_b32 s25, s25, exec_lo
	s_and_b32 s26, vcc_lo, exec_lo
	s_delay_alu instid0(SALU_CYCLE_1)
	s_or_b32 s25, s25, s26
	s_or_b32 exec_lo, exec_lo, s7
	s_and_saveexec_b32 s7, s25
	s_cbranch_execnz .LBB4_5887
	s_branch .LBB4_5888
.LBB4_6154:                             ;   in Loop: Header=BB4_5448 Depth=2
	s_mov_b32 s7, -1
	s_mov_b32 s27, exec_lo
                                        ; implicit-def: $sgpr25
	v_cmpx_eq_u16_e32 0x80, v103
; %bb.6155:                             ;   in Loop: Header=BB4_5448 Depth=2
	s_mov_b32 s25, 0x7f800001
	s_xor_b32 s7, exec_lo, -1
; %bb.6156:                             ;   in Loop: Header=BB4_5448 Depth=2
	s_or_b32 exec_lo, exec_lo, s27
	s_delay_alu instid0(SALU_CYCLE_1)
	s_and_b32 s7, s7, exec_lo
                                        ; implicit-def: $vgpr103
	s_or_saveexec_b32 s26, s26
	v_mov_b32_e32 v69, s25
	s_xor_b32 exec_lo, exec_lo, s26
	s_cbranch_execz .LBB4_5890
.LBB4_6157:                             ;   in Loop: Header=BB4_5448 Depth=2
	v_cmp_ne_u16_e32 vcc_lo, 0, v103
	v_mov_b32_e32 v69, 0
	s_and_not1_b32 s7, s7, exec_lo
	s_and_b32 s25, vcc_lo, exec_lo
	s_delay_alu instid0(SALU_CYCLE_1)
	s_or_b32 s7, s7, s25
	s_or_b32 exec_lo, exec_lo, s26
	s_and_saveexec_b32 s25, s7
	s_cbranch_execnz .LBB4_5891
	s_branch .LBB4_5892
.LBB4_6158:                             ;   in Loop: Header=BB4_5448 Depth=2
	s_mov_b32 s7, -1
	s_mov_b32 s27, exec_lo
                                        ; implicit-def: $sgpr25
	v_cmpx_eq_u16_e32 0x80, v25
; %bb.6159:                             ;   in Loop: Header=BB4_5448 Depth=2
	s_mov_b32 s25, 0x7f800001
	s_xor_b32 s7, exec_lo, -1
; %bb.6160:                             ;   in Loop: Header=BB4_5448 Depth=2
	s_or_b32 exec_lo, exec_lo, s27
	s_delay_alu instid0(SALU_CYCLE_1)
	s_and_b32 s7, s7, exec_lo
                                        ; implicit-def: $vgpr25
	s_or_saveexec_b32 s26, s26
	v_mov_b32_e32 v66, s25
	s_xor_b32 exec_lo, exec_lo, s26
	s_cbranch_execz .LBB4_5897
.LBB4_6161:                             ;   in Loop: Header=BB4_5448 Depth=2
	v_cmp_ne_u16_e32 vcc_lo, 0, v25
	v_mov_b32_e32 v66, 0
	s_and_not1_b32 s7, s7, exec_lo
	s_and_b32 s25, vcc_lo, exec_lo
	s_delay_alu instid0(SALU_CYCLE_1)
	s_or_b32 s7, s7, s25
	s_or_b32 exec_lo, exec_lo, s26
	s_and_saveexec_b32 s25, s7
	s_cbranch_execnz .LBB4_5898
	s_branch .LBB4_5899
.LBB4_6162:                             ;   in Loop: Header=BB4_5448 Depth=2
	s_mov_b32 s7, -1
	s_mov_b32 s27, exec_lo
                                        ; implicit-def: $sgpr25
	v_cmpx_eq_u16_e32 0x80, v25
; %bb.6163:                             ;   in Loop: Header=BB4_5448 Depth=2
	s_mov_b32 s25, 0x7f800001
	s_xor_b32 s7, exec_lo, -1
; %bb.6164:                             ;   in Loop: Header=BB4_5448 Depth=2
	s_or_b32 exec_lo, exec_lo, s27
	s_delay_alu instid0(SALU_CYCLE_1)
	s_and_b32 s7, s7, exec_lo
                                        ; implicit-def: $vgpr25
	s_or_saveexec_b32 s26, s26
	v_mov_b32_e32 v22, s25
	s_xor_b32 exec_lo, exec_lo, s26
	s_cbranch_execz .LBB4_5901
.LBB4_6165:                             ;   in Loop: Header=BB4_5448 Depth=2
	v_cmp_ne_u16_e32 vcc_lo, 0, v25
	v_mov_b32_e32 v22, 0
	s_and_not1_b32 s7, s7, exec_lo
	s_and_b32 s25, vcc_lo, exec_lo
	s_delay_alu instid0(SALU_CYCLE_1)
	s_or_b32 s7, s7, s25
	s_or_b32 exec_lo, exec_lo, s26
	s_and_saveexec_b32 s25, s7
	s_cbranch_execnz .LBB4_5902
	s_branch .LBB4_5903
.LBB4_6166:                             ;   in Loop: Header=BB4_3185 Depth=1
	s_or_b32 exec_lo, exec_lo, s24
.LBB4_6167:                             ;   in Loop: Header=BB4_3185 Depth=1
	s_delay_alu instid0(SALU_CYCLE_1) | instskip(SKIP_1) | instid1(VALU_DEP_1)
	s_or_b32 exec_lo, exec_lo, s22
	v_lshlrev_b32_e32 v10, 9, v20
	v_cmp_ne_u32_e32 vcc_lo, v17, v10
	s_and_b32 exec_lo, exec_lo, vcc_lo
	s_cbranch_execz .LBB4_6217
; %bb.6168:                             ;   in Loop: Header=BB4_3185 Depth=1
	v_ashrrev_i32_e32 v11, 31, v18
	v_lshlrev_b32_e32 v12, 5, v19
	s_delay_alu instid0(VALU_DEP_2) | instskip(NEXT) | instid1(VALU_DEP_1)
	v_lshrrev_b32_e32 v11, 27, v11
	v_add_nc_u32_e32 v11, v18, v11
	s_delay_alu instid0(VALU_DEP_1) | instskip(NEXT) | instid1(VALU_DEP_1)
	v_and_b32_e32 v11, 0xffffffe0, v11
	v_sub_nc_u32_e32 v11, v18, v11
	s_delay_alu instid0(VALU_DEP_1) | instskip(NEXT) | instid1(VALU_DEP_1)
	v_sub_nc_u32_e32 v11, v11, v12
	v_add_nc_u32_e32 v10, v10, v11
	s_delay_alu instid0(VALU_DEP_1) | instskip(NEXT) | instid1(VALU_DEP_1)
	v_sub_nc_u32_e32 v17, v17, v10
	v_cmp_lt_i32_e32 vcc_lo, 0, v17
	s_and_b32 exec_lo, exec_lo, vcc_lo
	s_cbranch_execz .LBB4_6217
; %bb.6169:                             ;   in Loop: Header=BB4_3185 Depth=1
	s_cbranch_execnz .LBB4_6753
; %bb.6170:                             ;   in Loop: Header=BB4_3185 Depth=1
	ds_load_b128 v[11:14], v0
	ds_load_b64 v[18:19], v0
	v_add_nc_u32_e32 v15, v10, v16
	s_bitcmp1_b32 s21, 0
	s_mov_b32 s21, 0
	s_cselect_b32 s22, -1, 0
	s_delay_alu instid0(VALU_DEP_1) | instskip(SKIP_2) | instid1(VALU_DEP_2)
	v_ashrrev_i32_e32 v16, 31, v15
	s_waitcnt lgkmcnt(1)
	v_add_co_u32 v10, vcc_lo, v11, v15
	v_add_co_ci_u32_e32 v11, vcc_lo, v12, v16, vcc_lo
	v_add_co_u32 v12, vcc_lo, v13, v15
	v_add_co_ci_u32_e32 v13, vcc_lo, v14, v16, vcc_lo
	s_waitcnt lgkmcnt(0)
	v_add_co_u32 v14, vcc_lo, v18, v15
	v_add_co_ci_u32_e32 v15, vcc_lo, v19, v16, vcc_lo
	s_branch .LBB4_6174
.LBB4_6171:                             ;   in Loop: Header=BB4_6174 Depth=2
	s_or_b32 exec_lo, exec_lo, s7
	s_delay_alu instid0(VALU_DEP_1) | instskip(NEXT) | instid1(VALU_DEP_2)
	v_lshrrev_b32_e32 v18, 20, v18
	v_cmp_gt_i32_e32 vcc_lo, 16, v16
	v_lshrrev_b32_e32 v19, 24, v20
	v_min_i32_e32 v20, 15, v16
	s_delay_alu instid0(VALU_DEP_2) | instskip(NEXT) | instid1(VALU_DEP_2)
	v_dual_cndmask_b32 v18, 7, v18 :: v_dual_and_b32 v19, 0x80, v19
	v_lshlrev_b32_e32 v20, 3, v20
	s_delay_alu instid0(VALU_DEP_2) | instskip(SKIP_1) | instid1(VALU_DEP_2)
	v_and_b32_e32 v21, 7, v18
	v_or_b32_e32 v16, v16, v18
	v_or3_b32 v18, v20, v19, v21
	s_delay_alu instid0(VALU_DEP_2) | instskip(NEXT) | instid1(VALU_DEP_2)
	v_cmp_ne_u32_e32 vcc_lo, 0, v16
	v_cndmask_b32_e32 v16, 0, v18, vcc_lo
.LBB4_6172:                             ;   in Loop: Header=BB4_6174 Depth=2
	s_or_b32 exec_lo, exec_lo, s24
.LBB4_6173:                             ;   in Loop: Header=BB4_6174 Depth=2
	s_delay_alu instid0(SALU_CYCLE_1)
	s_or_b32 exec_lo, exec_lo, s23
	v_add_co_u32 v10, vcc_lo, v10, v71
	v_sub_nc_u32_e32 v17, v17, v71
	v_add_co_ci_u32_e32 v11, vcc_lo, v11, v99, vcc_lo
	v_add_co_u32 v12, vcc_lo, v12, v71
	v_add_co_ci_u32_e32 v13, vcc_lo, v13, v99, vcc_lo
	flat_store_b8 v[14:15], v16 glc slc dlc
	v_cmp_gt_i32_e32 vcc_lo, 1, v17
	v_add_co_u32 v14, s7, v14, v71
	s_delay_alu instid0(VALU_DEP_1) | instskip(SKIP_1) | instid1(SALU_CYCLE_1)
	v_add_co_ci_u32_e64 v15, s7, v15, v99, s7
	s_or_b32 s21, vcc_lo, s21
	s_and_not1_b32 exec_lo, exec_lo, s21
	s_cbranch_execz .LBB4_6217
.LBB4_6174:                             ;   Parent Loop BB4_3185 Depth=1
                                        ; =>  This Inner Loop Header: Depth=2
	flat_load_u8 v18, v[12:13] slc dlc
	s_waitcnt vmcnt(1) lgkmcnt(2)
	flat_load_u8 v19, v[10:11] slc dlc
	s_waitcnt vmcnt(1) lgkmcnt(1)
	v_and_b32_e32 v16, 7, v18
	v_bfe_u32 v22, v18, 3, 4
	s_delay_alu instid0(VALU_DEP_2) | instskip(NEXT) | instid1(VALU_DEP_2)
	v_clz_i32_u32_e32 v20, v16
	v_cmp_eq_u32_e32 vcc_lo, 0, v22
	s_delay_alu instid0(VALU_DEP_2) | instskip(NEXT) | instid1(VALU_DEP_1)
	v_min_u32_e32 v20, 32, v20
	v_subrev_nc_u32_e32 v21, 28, v20
	v_sub_nc_u32_e32 v20, 29, v20
	s_delay_alu instid0(VALU_DEP_1) | instskip(NEXT) | instid1(VALU_DEP_1)
	v_dual_cndmask_b32 v20, v22, v20 :: v_dual_lshlrev_b32 v21, v21, v18
	v_and_b32_e32 v21, 7, v21
	v_lshlrev_b32_e32 v23, 24, v18
	s_delay_alu instid0(VALU_DEP_3) | instskip(NEXT) | instid1(VALU_DEP_2)
	v_lshl_add_u32 v20, v20, 23, 0x3b800000
	v_dual_cndmask_b32 v16, v16, v21 :: v_dual_and_b32 v21, 0x80000000, v23
	s_and_b32 vcc_lo, exec_lo, s22
	s_delay_alu instid0(VALU_DEP_1) | instskip(NEXT) | instid1(VALU_DEP_1)
	v_lshlrev_b32_e32 v16, 20, v16
	v_or3_b32 v16, v21, v20, v16
	s_cbranch_vccz .LBB4_6184
; %bb.6175:                             ;   in Loop: Header=BB4_6174 Depth=2
	s_waitcnt vmcnt(0) lgkmcnt(0)
	v_and_b32_e32 v21, 0xff, v19
	s_mov_b32 s7, 0
	s_mov_b32 s24, exec_lo
                                        ; implicit-def: $sgpr23
	s_delay_alu instid0(VALU_DEP_1)
	v_cmpx_lt_i16_e32 0x7f, v21
	s_xor_b32 s24, exec_lo, s24
	s_cbranch_execnz .LBB4_6201
; %bb.6176:                             ;   in Loop: Header=BB4_6174 Depth=2
	s_or_saveexec_b32 s24, s24
	v_mov_b32_e32 v20, s23
	s_xor_b32 exec_lo, exec_lo, s24
	s_cbranch_execnz .LBB4_6204
.LBB4_6177:                             ;   in Loop: Header=BB4_6174 Depth=2
	s_or_b32 exec_lo, exec_lo, s24
	s_and_saveexec_b32 s23, s7
	s_cbranch_execz .LBB4_6179
.LBB4_6178:                             ;   in Loop: Header=BB4_6174 Depth=2
	v_lshrrev_b16 v23, 3, v19
	v_lshlrev_b32_e32 v24, 24, v19
	s_delay_alu instid0(VALU_DEP_2) | instskip(NEXT) | instid1(VALU_DEP_1)
	v_and_b32_e32 v23, 15, v23
	v_cmp_eq_u32_e32 vcc_lo, 0, v23
	v_and_b32_e32 v20, 7, v19
	s_delay_alu instid0(VALU_DEP_1) | instskip(NEXT) | instid1(VALU_DEP_1)
	v_clz_i32_u32_e32 v21, v20
	v_min_u32_e32 v21, 32, v21
	s_delay_alu instid0(VALU_DEP_1) | instskip(SKIP_1) | instid1(VALU_DEP_1)
	v_subrev_nc_u32_e32 v22, 28, v21
	v_sub_nc_u32_e32 v21, 29, v21
	v_dual_cndmask_b32 v21, v23, v21 :: v_dual_lshlrev_b32 v22, v22, v19
	s_delay_alu instid0(VALU_DEP_1) | instskip(NEXT) | instid1(VALU_DEP_2)
	v_and_b32_e32 v22, 7, v22
	v_lshl_add_u32 v21, v21, 23, 0x3b800000
	s_delay_alu instid0(VALU_DEP_2) | instskip(SKIP_1) | instid1(VALU_DEP_2)
	v_cndmask_b32_e32 v20, v20, v22, vcc_lo
	v_and_b32_e32 v22, 0x80000000, v24
	v_lshlrev_b32_e32 v20, 20, v20
	s_delay_alu instid0(VALU_DEP_1)
	v_or3_b32 v20, v22, v21, v20
.LBB4_6179:                             ;   in Loop: Header=BB4_6174 Depth=2
	s_or_b32 exec_lo, exec_lo, s23
	v_and_b32_e32 v21, 0xff, v18
	s_mov_b32 s7, 0
	s_mov_b32 s24, exec_lo
                                        ; implicit-def: $sgpr23
	s_delay_alu instid0(VALU_DEP_1)
	v_cmpx_lt_i16_e32 0x7f, v21
	s_xor_b32 s24, exec_lo, s24
	s_cbranch_execnz .LBB4_6205
; %bb.6180:                             ;   in Loop: Header=BB4_6174 Depth=2
	s_or_saveexec_b32 s24, s24
	v_mov_b32_e32 v22, s23
	s_xor_b32 exec_lo, exec_lo, s24
	s_cbranch_execnz .LBB4_6208
.LBB4_6181:                             ;   in Loop: Header=BB4_6174 Depth=2
	s_or_b32 exec_lo, exec_lo, s24
	s_and_saveexec_b32 s23, s7
.LBB4_6182:                             ;   in Loop: Header=BB4_6174 Depth=2
	v_mov_b32_e32 v22, v16
.LBB4_6183:                             ;   in Loop: Header=BB4_6174 Depth=2
	s_or_b32 exec_lo, exec_lo, s23
	s_delay_alu instid0(VALU_DEP_1) | instskip(SKIP_1) | instid1(VALU_DEP_1)
	v_dual_max_f32 v21, v22, v22 :: v_dual_max_f32 v20, v20, v20
	s_mov_b32 s7, 0
	v_max_f32_e32 v20, v20, v21
	s_branch .LBB4_6185
.LBB4_6184:                             ;   in Loop: Header=BB4_6174 Depth=2
	s_mov_b32 s7, -1
                                        ; implicit-def: $vgpr20
.LBB4_6185:                             ;   in Loop: Header=BB4_6174 Depth=2
	s_delay_alu instid0(SALU_CYCLE_1)
	s_and_b32 vcc_lo, exec_lo, s7
	s_cbranch_vccz .LBB4_6195
; %bb.6186:                             ;   in Loop: Header=BB4_6174 Depth=2
	s_waitcnt vmcnt(0) lgkmcnt(0)
	v_and_b32_e32 v21, 0xff, v19
	s_mov_b32 s7, 0
	s_mov_b32 s24, exec_lo
                                        ; implicit-def: $sgpr23
	s_delay_alu instid0(VALU_DEP_1)
	v_cmpx_lt_i16_e32 0x7f, v21
	s_xor_b32 s24, exec_lo, s24
	s_cbranch_execnz .LBB4_6209
; %bb.6187:                             ;   in Loop: Header=BB4_6174 Depth=2
	s_or_saveexec_b32 s24, s24
	v_mov_b32_e32 v20, s23
	s_xor_b32 exec_lo, exec_lo, s24
	s_cbranch_execnz .LBB4_6212
.LBB4_6188:                             ;   in Loop: Header=BB4_6174 Depth=2
	s_or_b32 exec_lo, exec_lo, s24
	s_and_saveexec_b32 s23, s7
	s_cbranch_execz .LBB4_6190
.LBB4_6189:                             ;   in Loop: Header=BB4_6174 Depth=2
	v_lshrrev_b16 v23, 3, v19
	s_delay_alu instid0(VALU_DEP_1) | instskip(NEXT) | instid1(VALU_DEP_1)
	v_and_b32_e32 v23, 15, v23
	v_cmp_eq_u32_e32 vcc_lo, 0, v23
	v_and_b32_e32 v20, 7, v19
	s_delay_alu instid0(VALU_DEP_1) | instskip(NEXT) | instid1(VALU_DEP_1)
	v_clz_i32_u32_e32 v21, v20
	v_min_u32_e32 v21, 32, v21
	s_delay_alu instid0(VALU_DEP_1) | instskip(SKIP_1) | instid1(VALU_DEP_1)
	v_subrev_nc_u32_e32 v22, 28, v21
	v_sub_nc_u32_e32 v21, 29, v21
	v_dual_cndmask_b32 v21, v23, v21 :: v_dual_lshlrev_b32 v22, v22, v19
	v_lshlrev_b32_e32 v19, 24, v19
	s_delay_alu instid0(VALU_DEP_2) | instskip(NEXT) | instid1(VALU_DEP_3)
	v_and_b32_e32 v22, 7, v22
	v_lshl_add_u32 v21, v21, 23, 0x3b800000
	s_delay_alu instid0(VALU_DEP_2) | instskip(NEXT) | instid1(VALU_DEP_1)
	v_dual_cndmask_b32 v20, v20, v22 :: v_dual_and_b32 v19, 0x80000000, v19
	v_lshlrev_b32_e32 v20, 20, v20
	s_delay_alu instid0(VALU_DEP_1)
	v_or3_b32 v20, v19, v21, v20
.LBB4_6190:                             ;   in Loop: Header=BB4_6174 Depth=2
	s_or_b32 exec_lo, exec_lo, s23
	v_and_b32_e32 v18, 0xff, v18
	s_mov_b32 s7, 0
	s_mov_b32 s24, exec_lo
                                        ; implicit-def: $sgpr23
	s_delay_alu instid0(VALU_DEP_1)
	v_cmpx_lt_i16_e32 0x7f, v18
	s_xor_b32 s24, exec_lo, s24
	s_cbranch_execnz .LBB4_6213
; %bb.6191:                             ;   in Loop: Header=BB4_6174 Depth=2
	s_or_saveexec_b32 s24, s24
	v_mov_b32_e32 v19, s23
	s_xor_b32 exec_lo, exec_lo, s24
	s_cbranch_execnz .LBB4_6216
.LBB4_6192:                             ;   in Loop: Header=BB4_6174 Depth=2
	s_or_b32 exec_lo, exec_lo, s24
	s_and_saveexec_b32 s23, s7
.LBB4_6193:                             ;   in Loop: Header=BB4_6174 Depth=2
	v_mov_b32_e32 v19, v16
.LBB4_6194:                             ;   in Loop: Header=BB4_6174 Depth=2
	s_or_b32 exec_lo, exec_lo, s23
	s_delay_alu instid0(VALU_DEP_1) | instskip(SKIP_1) | instid1(VALU_DEP_1)
	v_max_f32_e32 v16, v19, v19
	v_max_f32_e32 v18, v20, v20
	v_min_f32_e32 v20, v18, v16
.LBB4_6195:                             ;   in Loop: Header=BB4_6174 Depth=2
	s_delay_alu instid0(VALU_DEP_1) | instskip(NEXT) | instid1(VALU_DEP_1)
	v_and_b32_e32 v16, 0x7f800000, v20
	v_cmp_ne_u32_e32 vcc_lo, 0x7f800000, v16
	v_mov_b32_e32 v16, 0x80
	s_and_saveexec_b32 s23, vcc_lo
	s_cbranch_execz .LBB4_6173
; %bb.6196:                             ;   in Loop: Header=BB4_6174 Depth=2
	v_mov_b32_e32 v16, 0
	s_mov_b32 s24, exec_lo
	v_cmpx_ne_u32_e32 0, v20
	s_cbranch_execz .LBB4_6172
; %bb.6197:                             ;   in Loop: Header=BB4_6174 Depth=2
	v_bfe_u32 v16, v20, 23, 8
	s_waitcnt vmcnt(0) lgkmcnt(0)
	s_delay_alu instid0(VALU_DEP_1) | instskip(SKIP_1) | instid1(VALU_DEP_2)
	v_sub_nc_u32_e32 v19, 0x78, v16
	v_cmp_gt_u32_e32 vcc_lo, 0x79, v16
	v_dual_cndmask_b32 v19, 0, v19 :: v_dual_and_b32 v18, 0x7fffff, v20
	s_delay_alu instid0(VALU_DEP_1) | instskip(SKIP_2) | instid1(VALU_DEP_4)
	v_or_b32_e32 v21, 0x800000, v18
	v_cmp_eq_u32_e32 vcc_lo, 0, v16
	v_add_nc_u32_e32 v16, 0xffffff89, v16
	v_cndmask_b32_e64 v19, v19, 0x77, vcc_lo
	s_delay_alu instid0(VALU_DEP_4) | instskip(NEXT) | instid1(VALU_DEP_3)
	v_cndmask_b32_e32 v18, v21, v18, vcc_lo
	v_cndmask_b32_e64 v16, v16, 0xffffff8a, vcc_lo
	s_delay_alu instid0(VALU_DEP_3) | instskip(NEXT) | instid1(VALU_DEP_3)
	v_lshl_add_u32 v21, 0x100000, v19, -1
	v_lshrrev_b32_e32 v22, v19, v18
	v_lshlrev_b32_e64 v24, v19, 0x80000
	s_delay_alu instid0(VALU_DEP_4) | instskip(NEXT) | instid1(VALU_DEP_4)
	v_add_nc_u32_e32 v19, v19, v16
	v_and_b32_e32 v18, v21, v18
	s_delay_alu instid0(VALU_DEP_4) | instskip(NEXT) | instid1(VALU_DEP_2)
	v_bfe_u32 v23, v22, 20, 1
	v_cmp_eq_u32_e64 s7, v18, v24
	s_delay_alu instid0(VALU_DEP_2) | instskip(NEXT) | instid1(VALU_DEP_1)
	v_add_nc_u32_e32 v21, -1, v23
	v_cndmask_b32_e64 v18, 0, v21, s7
	v_lshrrev_b32_e32 v21, 23, v22
	s_mov_b32 s7, exec_lo
	s_delay_alu instid0(VALU_DEP_2) | instskip(NEXT) | instid1(VALU_DEP_2)
	v_add_nc_u32_e32 v18, v18, v22
	v_xor_b32_e32 v21, 1, v21
	s_delay_alu instid0(VALU_DEP_2) | instskip(NEXT) | instid1(VALU_DEP_1)
	v_and_b32_e32 v16, 0xfffff, v18
	v_add_nc_u32_e32 v18, v16, v22
                                        ; implicit-def: $vgpr16
	s_delay_alu instid0(VALU_DEP_3)
	v_cmpx_ne_u32_e64 v19, v21
	s_xor_b32 s7, exec_lo, s7
; %bb.6198:                             ;   in Loop: Header=BB4_6174 Depth=2
	s_delay_alu instid0(VALU_DEP_2) | instskip(SKIP_2) | instid1(VALU_DEP_2)
	v_cmp_lt_u32_e32 vcc_lo, 0xffffff, v18
	v_sub_nc_u32_e32 v16, v19, v21
	v_cndmask_b32_e64 v19, 0, 1, vcc_lo
	v_add_co_ci_u32_e32 v16, vcc_lo, 0, v16, vcc_lo
	s_delay_alu instid0(VALU_DEP_2)
	v_lshrrev_b32_e32 v18, v19, v18
; %bb.6199:                             ;   in Loop: Header=BB4_6174 Depth=2
	s_and_not1_saveexec_b32 s7, s7
	s_cbranch_execz .LBB4_6171
; %bb.6200:                             ;   in Loop: Header=BB4_6174 Depth=2
	s_delay_alu instid0(VALU_DEP_1)
	v_bfe_u32 v16, v18, 23, 1
	s_branch .LBB4_6171
.LBB4_6201:                             ;   in Loop: Header=BB4_6174 Depth=2
	s_mov_b32 s7, -1
	s_mov_b32 s25, exec_lo
                                        ; implicit-def: $sgpr23
	v_cmpx_eq_u16_e32 0x80, v21
; %bb.6202:                             ;   in Loop: Header=BB4_6174 Depth=2
	s_mov_b32 s23, 0x7f800001
	s_xor_b32 s7, exec_lo, -1
; %bb.6203:                             ;   in Loop: Header=BB4_6174 Depth=2
	s_or_b32 exec_lo, exec_lo, s25
	s_delay_alu instid0(SALU_CYCLE_1)
	s_and_b32 s7, s7, exec_lo
                                        ; implicit-def: $vgpr21
	s_or_saveexec_b32 s24, s24
	v_mov_b32_e32 v20, s23
	s_xor_b32 exec_lo, exec_lo, s24
	s_cbranch_execz .LBB4_6177
.LBB4_6204:                             ;   in Loop: Header=BB4_6174 Depth=2
	v_cmp_ne_u16_e32 vcc_lo, 0, v21
	v_mov_b32_e32 v20, 0
	s_and_not1_b32 s7, s7, exec_lo
	s_and_b32 s23, vcc_lo, exec_lo
	s_delay_alu instid0(SALU_CYCLE_1)
	s_or_b32 s7, s7, s23
	s_or_b32 exec_lo, exec_lo, s24
	s_and_saveexec_b32 s23, s7
	s_cbranch_execnz .LBB4_6178
	s_branch .LBB4_6179
.LBB4_6205:                             ;   in Loop: Header=BB4_6174 Depth=2
	s_mov_b32 s7, -1
	s_mov_b32 s25, exec_lo
                                        ; implicit-def: $sgpr23
	v_cmpx_eq_u16_e32 0x80, v21
; %bb.6206:                             ;   in Loop: Header=BB4_6174 Depth=2
	s_mov_b32 s23, 0x7f800001
	s_xor_b32 s7, exec_lo, -1
; %bb.6207:                             ;   in Loop: Header=BB4_6174 Depth=2
	s_or_b32 exec_lo, exec_lo, s25
	s_delay_alu instid0(SALU_CYCLE_1)
	s_and_b32 s7, s7, exec_lo
                                        ; implicit-def: $vgpr21
	s_or_saveexec_b32 s24, s24
	v_mov_b32_e32 v22, s23
	s_xor_b32 exec_lo, exec_lo, s24
	s_cbranch_execz .LBB4_6181
.LBB4_6208:                             ;   in Loop: Header=BB4_6174 Depth=2
	v_cmp_ne_u16_e32 vcc_lo, 0, v21
	v_mov_b32_e32 v22, 0
	s_and_not1_b32 s7, s7, exec_lo
	s_and_b32 s23, vcc_lo, exec_lo
	s_delay_alu instid0(SALU_CYCLE_1)
	s_or_b32 s7, s7, s23
	s_or_b32 exec_lo, exec_lo, s24
	s_and_saveexec_b32 s23, s7
	s_cbranch_execnz .LBB4_6182
	s_branch .LBB4_6183
.LBB4_6209:                             ;   in Loop: Header=BB4_6174 Depth=2
	s_mov_b32 s7, -1
	s_mov_b32 s25, exec_lo
                                        ; implicit-def: $sgpr23
	v_cmpx_eq_u16_e32 0x80, v21
; %bb.6210:                             ;   in Loop: Header=BB4_6174 Depth=2
	s_mov_b32 s23, 0x7f800001
	s_xor_b32 s7, exec_lo, -1
; %bb.6211:                             ;   in Loop: Header=BB4_6174 Depth=2
	s_or_b32 exec_lo, exec_lo, s25
	s_delay_alu instid0(SALU_CYCLE_1)
	s_and_b32 s7, s7, exec_lo
                                        ; implicit-def: $vgpr21
	s_or_saveexec_b32 s24, s24
	v_mov_b32_e32 v20, s23
	s_xor_b32 exec_lo, exec_lo, s24
	s_cbranch_execz .LBB4_6188
.LBB4_6212:                             ;   in Loop: Header=BB4_6174 Depth=2
	v_cmp_ne_u16_e32 vcc_lo, 0, v21
	v_mov_b32_e32 v20, 0
	s_and_not1_b32 s7, s7, exec_lo
	s_and_b32 s23, vcc_lo, exec_lo
	s_delay_alu instid0(SALU_CYCLE_1)
	s_or_b32 s7, s7, s23
	s_or_b32 exec_lo, exec_lo, s24
	s_and_saveexec_b32 s23, s7
	s_cbranch_execnz .LBB4_6189
	s_branch .LBB4_6190
.LBB4_6213:                             ;   in Loop: Header=BB4_6174 Depth=2
	s_mov_b32 s7, -1
	s_mov_b32 s25, exec_lo
                                        ; implicit-def: $sgpr23
	v_cmpx_eq_u16_e32 0x80, v18
; %bb.6214:                             ;   in Loop: Header=BB4_6174 Depth=2
	s_mov_b32 s23, 0x7f800001
	s_xor_b32 s7, exec_lo, -1
; %bb.6215:                             ;   in Loop: Header=BB4_6174 Depth=2
	s_or_b32 exec_lo, exec_lo, s25
	s_delay_alu instid0(SALU_CYCLE_1)
	s_and_b32 s7, s7, exec_lo
                                        ; implicit-def: $vgpr18
	s_or_saveexec_b32 s24, s24
	v_mov_b32_e32 v19, s23
	s_xor_b32 exec_lo, exec_lo, s24
	s_cbranch_execz .LBB4_6192
.LBB4_6216:                             ;   in Loop: Header=BB4_6174 Depth=2
	v_cmp_ne_u16_e32 vcc_lo, 0, v18
	v_mov_b32_e32 v19, 0
	s_and_not1_b32 s7, s7, exec_lo
	s_and_b32 s23, vcc_lo, exec_lo
	s_delay_alu instid0(SALU_CYCLE_1)
	s_or_b32 s7, s7, s23
	s_or_b32 exec_lo, exec_lo, s24
	s_and_saveexec_b32 s23, s7
	s_cbranch_execnz .LBB4_6193
	s_branch .LBB4_6194
.LBB4_6217:                             ;   in Loop: Header=BB4_3185 Depth=1
	s_or_b32 exec_lo, exec_lo, s10
	v_cmp_ne_u32_e64 s7, 0, v50
.LBB4_6218:                             ;   in Loop: Header=BB4_3185 Depth=1
	s_and_saveexec_b32 s10, s2
	s_cbranch_execz .LBB4_6240
; %bb.6219:                             ;   in Loop: Header=BB4_3185 Depth=1
	s_and_saveexec_b32 s21, s3
	s_delay_alu instid0(SALU_CYCLE_1)
	s_xor_b32 s21, exec_lo, s21
	s_cbranch_execz .LBB4_6237
; %bb.6220:                             ;   in Loop: Header=BB4_3185 Depth=1
	s_and_saveexec_b32 s22, s4
	s_cbranch_execz .LBB4_6236
; %bb.6221:                             ;   in Loop: Header=BB4_3185 Depth=1
	s_mov_b32 s24, exec_lo
	s_mov_b32 s23, exec_lo
	v_mbcnt_lo_u32_b32 v10, s24, 0
	s_waitcnt vmcnt(0) lgkmcnt(0)
	s_waitcnt_vscnt null, 0x0
	buffer_gl1_inv
	buffer_gl0_inv
	v_cmpx_eq_u32_e32 0, v10
	s_cbranch_execz .LBB4_6223
; %bb.6222:                             ;   in Loop: Header=BB4_3185 Depth=1
	s_bcnt1_i32_b32 s24, s24
	s_delay_alu instid0(SALU_CYCLE_1)
	v_mov_b32_e32 v50, s24
	ds_add_u64 v0, v[50:51]
	s_cbranch_execnz .LBB4_6745
.LBB4_6223:                             ;   in Loop: Header=BB4_3185 Depth=1
	s_or_b32 exec_lo, exec_lo, s23
	s_cbranch_execnz .LBB4_6725
; %bb.6224:                             ;   in Loop: Header=BB4_3185 Depth=1
	ds_load_b64 v[10:11], v0
	v_add_co_u32 v38, vcc_lo, v38, v70
	v_add_co_ci_u32_e32 v39, vcc_lo, 0, v39, vcc_lo
	s_mov_b32 s23, exec_lo
	s_waitcnt lgkmcnt(0)
	s_delay_alu instid0(VALU_DEP_1)
	v_cmpx_lt_u64_e64 v[10:11], v[38:39]
	s_cbranch_execz .LBB4_6235
; %bb.6225:                             ;   in Loop: Header=BB4_3185 Depth=1
	s_mov_b32 s24, 0
	s_mov_b32 s27, 0
                                        ; implicit-def: $sgpr25
                                        ; implicit-def: $sgpr26
	s_branch .LBB4_6227
.LBB4_6226:                             ;   in Loop: Header=BB4_6227 Depth=2
	s_or_b32 exec_lo, exec_lo, vcc_hi
	s_delay_alu instid0(SALU_CYCLE_1) | instskip(NEXT) | instid1(SALU_CYCLE_1)
	s_and_b32 s28, exec_lo, s29
	s_or_b32 s24, s28, s24
	s_and_not1_b32 s25, s25, exec_lo
	s_and_b32 s28, s26, exec_lo
	s_delay_alu instid0(SALU_CYCLE_1)
	s_or_b32 s25, s25, s28
	s_and_not1_b32 exec_lo, exec_lo, s24
	s_cbranch_execz .LBB4_6233
.LBB4_6227:                             ;   Parent Loop BB4_3185 Depth=1
                                        ; =>  This Inner Loop Header: Depth=2
	s_add_i32 s27, s27, 1
                                        ; implicit-def: $sgpr29
	s_delay_alu instid0(SALU_CYCLE_1) | instskip(SKIP_1) | instid1(SALU_CYCLE_1)
	s_cmpk_lg_i32 s27, 0x2710
	s_cselect_b32 s28, -1, 0
	s_and_b32 vcc_lo, exec_lo, s28
	s_cbranch_vccz .LBB4_6231
.LBB4_6228:                             ;   in Loop: Header=BB4_6227 Depth=2
	s_and_not1_b32 s26, s26, exec_lo
	s_and_b32 vcc_lo, s29, exec_lo
	s_mov_b32 s29, -1
	s_or_b32 s26, s26, vcc_lo
	s_and_saveexec_b32 vcc_hi, s28
	s_cbranch_execz .LBB4_6226
; %bb.6229:                             ;   in Loop: Header=BB4_6227 Depth=2
	s_sleep 1
	s_cbranch_execnz .LBB4_6761
; %bb.6230:                             ;   in Loop: Header=BB4_6227 Depth=2
	ds_load_b64 v[10:11], v0
	s_and_not1_b32 s26, s26, exec_lo
	s_waitcnt lgkmcnt(0)
	v_cmp_ge_u64_e32 vcc_lo, v[10:11], v[38:39]
	s_or_not1_b32 s29, vcc_lo, exec_lo
	s_branch .LBB4_6226
.LBB4_6231:                             ;   in Loop: Header=BB4_6227 Depth=2
	s_cbranch_execnz .LBB4_6767
; %bb.6232:                             ;   in Loop: Header=BB4_6227 Depth=2
	ds_load_b64 v[10:11], v0
	s_and_not1_b32 s28, s28, exec_lo
	s_mov_b32 s27, 0
	s_mov_b32 s29, -1
	s_waitcnt lgkmcnt(0)
	flat_load_b32 v10, v[10:11] glc
	s_waitcnt vmcnt(0) lgkmcnt(0)
	buffer_gl1_inv
	buffer_gl0_inv
	v_cmp_eq_u32_e32 vcc_lo, 0, v10
	s_and_b32 vcc_lo, vcc_lo, exec_lo
	s_delay_alu instid0(SALU_CYCLE_1)
	s_or_b32 s28, s28, vcc_lo
	s_branch .LBB4_6228
.LBB4_6233:                             ;   in Loop: Header=BB4_3185 Depth=1
	s_or_b32 exec_lo, exec_lo, s24
	s_and_saveexec_b32 s24, s25
	s_delay_alu instid0(SALU_CYCLE_1)
	s_xor_b32 s24, exec_lo, s24
	s_cbranch_execz .LBB4_6235
; %bb.6234:                             ;   in Loop: Header=BB4_3185 Depth=1
	ds_store_b32 v0, v100
	s_cbranch_execnz .LBB4_6791
.LBB4_6235:                             ;   in Loop: Header=BB4_3185 Depth=1
	s_or_b32 exec_lo, exec_lo, s23
	;;#ASMSTART
	s_wakeup
	;;#ASMEND
.LBB4_6236:                             ;   in Loop: Header=BB4_3185 Depth=1
	s_or_b32 exec_lo, exec_lo, s22
.LBB4_6237:                             ;   in Loop: Header=BB4_3185 Depth=1
	s_and_not1_saveexec_b32 s21, s21
	s_cbranch_execz .LBB4_6239
; %bb.6238:                             ;   in Loop: Header=BB4_3185 Depth=1
	s_waitcnt vmcnt(0) lgkmcnt(0)
	s_waitcnt_vscnt null, 0x0
	buffer_gl1_inv
	buffer_gl0_inv
	s_barrier
.LBB4_6239:                             ;   in Loop: Header=BB4_3185 Depth=1
	s_or_b32 exec_lo, exec_lo, s21
.LBB4_6240:                             ;   in Loop: Header=BB4_3185 Depth=1
	s_delay_alu instid0(SALU_CYCLE_1) | instskip(SKIP_1) | instid1(VALU_DEP_1)
	s_or_b32 exec_lo, exec_lo, s10
	v_and_b32_e32 v10, 16, v30
	v_cmp_ne_u32_e32 vcc_lo, 0, v10
	s_and_b32 s10, vcc_lo, s7
	s_delay_alu instid0(SALU_CYCLE_1)
	s_and_saveexec_b32 s7, s10
	s_cbranch_execz .LBB4_6242
; %bb.6241:                             ;   in Loop: Header=BB4_3185 Depth=1
	s_waitcnt vmcnt(0) lgkmcnt(0)
	s_waitcnt_vscnt null, 0x0
	buffer_gl1_inv
	buffer_gl0_inv
.LBB4_6242:                             ;   in Loop: Header=BB4_3185 Depth=1
	s_or_b32 exec_lo, exec_lo, s7
	v_and_b32_e32 v10, 32, v30
	s_mov_b32 s7, exec_lo
	s_delay_alu instid0(VALU_DEP_1)
	v_cmpx_ne_u32_e32 0, v10
	s_cbranch_execz .LBB4_6244
; %bb.6243:                             ;   in Loop: Header=BB4_3185 Depth=1
	v_add_co_u32 v8, vcc_lo, v8, 1
	v_add_co_ci_u32_e32 v9, vcc_lo, 0, v9, vcc_lo
	s_waitcnt vmcnt(0) lgkmcnt(0)
	s_waitcnt_vscnt null, 0x0
	flat_store_b64 v[32:33], v[8:9]
.LBB4_6244:                             ;   in Loop: Header=BB4_3185 Depth=1
	s_or_b32 exec_lo, exec_lo, s7
	v_mov_b32_e32 v14, v55
.LBB4_6245:                             ;   in Loop: Header=BB4_3185 Depth=1
	s_or_b32 exec_lo, exec_lo, s20
	s_and_saveexec_b32 s10, s19
	s_cbranch_execz .LBB4_6298
; %bb.6246:                             ;   in Loop: Header=BB4_3185 Depth=1
	v_and_b32_e32 v10, 4, v30
	s_mov_b32 s19, -1
	s_mov_b32 s7, exec_lo
	s_delay_alu instid0(VALU_DEP_1)
	v_cmpx_ne_u32_e32 0, v10
	s_cbranch_execz .LBB4_6260
; %bb.6247:                             ;   in Loop: Header=BB4_3185 Depth=1
	s_waitcnt lgkmcnt(0)
	v_add_co_u32 v10, vcc_lo, v8, 1
	v_add_co_ci_u32_e32 v11, vcc_lo, 0, v9, vcc_lo
	v_mov_b32_e32 v12, 1
	s_mov_b32 s19, exec_lo
	s_delay_alu instid0(VALU_DEP_2)
	v_cmpx_lt_u64_e64 v[36:37], v[10:11]
	s_cbranch_execz .LBB4_6259
; %bb.6248:                             ;   in Loop: Header=BB4_3185 Depth=1
	v_mov_b32_e32 v12, 0
	s_mov_b32 s20, 0
                                        ; implicit-def: $sgpr21
	s_branch .LBB4_6252
.LBB4_6249:                             ;   in Loop: Header=BB4_6252 Depth=2
	s_or_b32 exec_lo, exec_lo, s25
	v_mov_b32_e32 v13, 0
	s_or_not1_b32 s24, s24, exec_lo
.LBB4_6250:                             ;   in Loop: Header=BB4_6252 Depth=2
	s_or_b32 exec_lo, exec_lo, s23
	s_delay_alu instid0(VALU_DEP_1) | instskip(SKIP_2) | instid1(SALU_CYCLE_1)
	v_mov_b32_e32 v12, v13
	s_and_not1_b32 s21, s21, exec_lo
	s_and_b32 s23, s24, exec_lo
	s_or_b32 s21, s21, s23
.LBB4_6251:                             ;   in Loop: Header=BB4_6252 Depth=2
	s_or_b32 exec_lo, exec_lo, s22
	s_waitcnt vmcnt(0) lgkmcnt(0)
	v_cmp_ge_u64_e32 vcc_lo, v[36:37], v[10:11]
	s_xor_b32 s22, s21, -1
	s_delay_alu instid0(SALU_CYCLE_1) | instskip(NEXT) | instid1(SALU_CYCLE_1)
	s_or_b32 s22, s22, vcc_lo
	s_and_b32 s22, exec_lo, s22
	s_delay_alu instid0(SALU_CYCLE_1) | instskip(NEXT) | instid1(SALU_CYCLE_1)
	s_or_b32 s20, s22, s20
	s_and_not1_b32 exec_lo, exec_lo, s20
	s_cbranch_execz .LBB4_6258
.LBB4_6252:                             ;   Parent Loop BB4_3185 Depth=1
                                        ; =>  This Inner Loop Header: Depth=2
	s_sleep 1
	flat_load_b64 v[36:37], v[32:33] glc
	v_and_b32_e32 v13, 64, v30
	s_and_not1_b32 s21, s21, exec_lo
	s_mov_b32 s22, exec_lo
	s_delay_alu instid0(VALU_DEP_1)
	v_cmpx_eq_u32_e32 0, v13
	s_cbranch_execz .LBB4_6251
; %bb.6253:                             ;   in Loop: Header=BB4_6252 Depth=2
	v_add_nc_u32_e32 v13, 1, v12
	s_mov_b32 s24, -1
	s_mov_b32 s23, exec_lo
	v_cmpx_lt_i32_e32 0x270e, v12
	s_cbranch_execz .LBB4_6250
; %bb.6254:                             ;   in Loop: Header=BB4_6252 Depth=2
	s_cbranch_execnz .LBB4_6617
; %bb.6255:                             ;   in Loop: Header=BB4_6252 Depth=2
	ds_load_b64 v[12:13], v0
	s_mov_b32 s25, exec_lo
	s_waitcnt vmcnt(0) lgkmcnt(0)
	s_waitcnt_vscnt null, 0x0
	flat_load_b32 v12, v[12:13] glc
	s_waitcnt vmcnt(0) lgkmcnt(0)
	buffer_gl1_inv
	buffer_gl0_inv
	v_cmpx_ne_u32_e32 0, v12
	s_cbranch_execz .LBB4_6249
; %bb.6256:                             ;   in Loop: Header=BB4_6252 Depth=2
	ds_store_b32 v0, v12
	s_cbranch_execnz .LBB4_6651
; %bb.6257:                             ;   in Loop: Header=BB4_6252 Depth=2
	v_or_b32_e32 v30, 64, v30
	s_xor_b32 s24, exec_lo, -1
	s_branch .LBB4_6249
.LBB4_6258:                             ;   in Loop: Header=BB4_3185 Depth=1
	s_or_b32 exec_lo, exec_lo, s20
	v_and_b32_e32 v12, 4, v30
.LBB4_6259:                             ;   in Loop: Header=BB4_3185 Depth=1
	s_or_b32 exec_lo, exec_lo, s19
	s_delay_alu instid0(VALU_DEP_1)
	v_cmp_eq_u32_e32 vcc_lo, 0, v12
	;;#ASMSTART
	s_wakeup
	;;#ASMEND
	s_or_not1_b32 s19, vcc_lo, exec_lo
.LBB4_6260:                             ;   in Loop: Header=BB4_3185 Depth=1
	s_or_b32 exec_lo, exec_lo, s7
	s_xor_b32 s7, s19, -1
	s_delay_alu instid0(SALU_CYCLE_1)
	s_and_saveexec_b32 s19, s7
	s_cbranch_execz .LBB4_6270
; %bb.6261:                             ;   in Loop: Header=BB4_3185 Depth=1
	v_and_b32_e32 v10, 0x100, v30
	s_waitcnt lgkmcnt(0)
	v_and_b32_e32 v15, 7, v8
	s_mov_b32 s7, -1
	s_delay_alu instid0(VALU_DEP_2)
	v_cmp_ne_u32_e32 vcc_lo, 0, v10
                                        ; implicit-def: $vgpr10_vgpr11
	s_and_saveexec_b32 s20, vcc_lo
	s_cbranch_execz .LBB4_6265
; %bb.6262:                             ;   in Loop: Header=BB4_3185 Depth=1
	v_mad_u64_u32 v[12:13], null, v15, 24, v[6:7]
	flat_load_b32 v10, v[12:13]
	s_waitcnt vmcnt(0) lgkmcnt(0)
	v_cmp_ne_u32_e32 vcc_lo, 1, v10
	v_cmp_eq_u32_e64 s7, 1, v10
                                        ; implicit-def: $vgpr10_vgpr11
	s_delay_alu instid0(VALU_DEP_1)
	s_and_saveexec_b32 s21, s7
	s_cbranch_execz .LBB4_6264
; %bb.6263:                             ;   in Loop: Header=BB4_3185 Depth=1
	flat_load_b32 v10, v[12:13] offset:4 glc
	s_waitcnt vmcnt(0) lgkmcnt(0)
	v_ashrrev_i32_e32 v11, 31, v10
.LBB4_6264:                             ;   in Loop: Header=BB4_3185 Depth=1
	s_or_b32 exec_lo, exec_lo, s21
	s_delay_alu instid0(SALU_CYCLE_1)
	s_or_not1_b32 s7, vcc_lo, exec_lo
.LBB4_6265:                             ;   in Loop: Header=BB4_3185 Depth=1
	s_or_b32 exec_lo, exec_lo, s20
	s_and_saveexec_b32 s20, s7
; %bb.6266:                             ;   in Loop: Header=BB4_3185 Depth=1
	v_mad_i64_i32 v[10:11], null, v15, v81, 0
; %bb.6267:                             ;   in Loop: Header=BB4_3185 Depth=1
	s_or_b32 exec_lo, exec_lo, s20
	s_delay_alu instid0(VALU_DEP_1) | instskip(SKIP_1) | instid1(VALU_DEP_3)
	v_add_co_u32 v10, vcc_lo, v34, v10
	v_and_b32_e32 v12, 0x2000, v30
	v_add_co_ci_u32_e32 v11, vcc_lo, v35, v11, vcc_lo
	s_mov_b32 s7, exec_lo
	ds_store_b64 v0, v[10:11] offset:728
	v_cmpx_ne_u32_e32 0, v12
	s_cbranch_execz .LBB4_6269
; %bb.6268:                             ;   in Loop: Header=BB4_3185 Depth=1
	ds_load_b64 v[10:11], v0 offset:584
	s_waitcnt lgkmcnt(0)
	v_add_co_u32 v10, vcc_lo, v10, 1
	v_add_co_ci_u32_e32 v11, vcc_lo, 0, v11, vcc_lo
	ds_store_b64 v0, v[10:11] offset:584
.LBB4_6269:                             ;   in Loop: Header=BB4_3185 Depth=1
	s_or_b32 exec_lo, exec_lo, s7
	v_add_co_u32 v8, vcc_lo, v8, 1
	v_add_co_ci_u32_e32 v9, vcc_lo, 0, v9, vcc_lo
.LBB4_6270:                             ;   in Loop: Header=BB4_3185 Depth=1
	s_or_b32 exec_lo, exec_lo, s19
	s_and_saveexec_b32 s7, s2
	s_cbranch_execz .LBB4_6292
; %bb.6271:                             ;   in Loop: Header=BB4_3185 Depth=1
	s_and_saveexec_b32 s19, s3
	s_delay_alu instid0(SALU_CYCLE_1)
	s_xor_b32 s19, exec_lo, s19
	s_cbranch_execz .LBB4_6289
; %bb.6272:                             ;   in Loop: Header=BB4_3185 Depth=1
	s_and_saveexec_b32 s20, s4
	s_cbranch_execz .LBB4_6288
; %bb.6273:                             ;   in Loop: Header=BB4_3185 Depth=1
	s_mov_b32 s22, exec_lo
	s_mov_b32 s21, exec_lo
	v_mbcnt_lo_u32_b32 v10, s22, 0
	s_waitcnt vmcnt(0) lgkmcnt(0)
	s_waitcnt_vscnt null, 0x0
	buffer_gl1_inv
	buffer_gl0_inv
	v_cmpx_eq_u32_e32 0, v10
	s_cbranch_execz .LBB4_6275
; %bb.6274:                             ;   in Loop: Header=BB4_3185 Depth=1
	s_bcnt1_i32_b32 s22, s22
	s_delay_alu instid0(SALU_CYCLE_1)
	v_mov_b32_e32 v50, s22
	ds_add_u64 v0, v[50:51]
	s_cbranch_execnz .LBB4_6667
.LBB4_6275:                             ;   in Loop: Header=BB4_3185 Depth=1
	s_or_b32 exec_lo, exec_lo, s21
	s_cbranch_execnz .LBB4_6653
; %bb.6276:                             ;   in Loop: Header=BB4_3185 Depth=1
	ds_load_b64 v[10:11], v0
	v_add_co_u32 v38, vcc_lo, v38, v70
	v_add_co_ci_u32_e32 v39, vcc_lo, 0, v39, vcc_lo
	s_mov_b32 s21, exec_lo
	s_waitcnt lgkmcnt(0)
	s_delay_alu instid0(VALU_DEP_1)
	v_cmpx_lt_u64_e64 v[10:11], v[38:39]
	s_cbranch_execz .LBB4_6287
; %bb.6277:                             ;   in Loop: Header=BB4_3185 Depth=1
	s_mov_b32 s22, 0
	s_mov_b32 s25, 0
                                        ; implicit-def: $sgpr23
                                        ; implicit-def: $sgpr24
	s_branch .LBB4_6279
.LBB4_6278:                             ;   in Loop: Header=BB4_6279 Depth=2
	s_or_b32 exec_lo, exec_lo, s28
	s_delay_alu instid0(SALU_CYCLE_1) | instskip(NEXT) | instid1(SALU_CYCLE_1)
	s_and_b32 s26, exec_lo, s27
	s_or_b32 s22, s26, s22
	s_and_not1_b32 s23, s23, exec_lo
	s_and_b32 s26, s24, exec_lo
	s_delay_alu instid0(SALU_CYCLE_1)
	s_or_b32 s23, s23, s26
	s_and_not1_b32 exec_lo, exec_lo, s22
	s_cbranch_execz .LBB4_6285
.LBB4_6279:                             ;   Parent Loop BB4_3185 Depth=1
                                        ; =>  This Inner Loop Header: Depth=2
	s_add_i32 s25, s25, 1
                                        ; implicit-def: $sgpr27
	s_delay_alu instid0(SALU_CYCLE_1) | instskip(SKIP_1) | instid1(SALU_CYCLE_1)
	s_cmpk_lg_i32 s25, 0x2710
	s_cselect_b32 s26, -1, 0
	s_and_b32 vcc_lo, exec_lo, s26
	s_cbranch_vccz .LBB4_6283
.LBB4_6280:                             ;   in Loop: Header=BB4_6279 Depth=2
	s_and_not1_b32 s24, s24, exec_lo
	s_and_b32 s28, s27, exec_lo
	s_mov_b32 s27, -1
	s_or_b32 s24, s24, s28
	s_and_saveexec_b32 s28, s26
	s_cbranch_execz .LBB4_6278
; %bb.6281:                             ;   in Loop: Header=BB4_6279 Depth=2
	s_sleep 1
	s_cbranch_execnz .LBB4_6703
; %bb.6282:                             ;   in Loop: Header=BB4_6279 Depth=2
	ds_load_b64 v[10:11], v0
	s_and_not1_b32 s24, s24, exec_lo
	s_waitcnt lgkmcnt(0)
	v_cmp_ge_u64_e32 vcc_lo, v[10:11], v[38:39]
	s_or_not1_b32 s27, vcc_lo, exec_lo
	s_branch .LBB4_6278
.LBB4_6283:                             ;   in Loop: Header=BB4_6279 Depth=2
	s_cbranch_execnz .LBB4_6721
; %bb.6284:                             ;   in Loop: Header=BB4_6279 Depth=2
	ds_load_b64 v[10:11], v0
	s_and_not1_b32 s26, s26, exec_lo
	s_mov_b32 s25, 0
	s_mov_b32 s27, -1
	s_waitcnt lgkmcnt(0)
	flat_load_b32 v10, v[10:11] glc
	s_waitcnt vmcnt(0) lgkmcnt(0)
	buffer_gl1_inv
	buffer_gl0_inv
	v_cmp_eq_u32_e32 vcc_lo, 0, v10
	s_and_b32 s28, vcc_lo, exec_lo
	s_delay_alu instid0(SALU_CYCLE_1)
	s_or_b32 s26, s26, s28
	s_branch .LBB4_6280
.LBB4_6285:                             ;   in Loop: Header=BB4_3185 Depth=1
	s_or_b32 exec_lo, exec_lo, s22
	s_and_saveexec_b32 s22, s23
	s_delay_alu instid0(SALU_CYCLE_1)
	s_xor_b32 s22, exec_lo, s22
	s_cbranch_execz .LBB4_6287
; %bb.6286:                             ;   in Loop: Header=BB4_3185 Depth=1
	ds_store_b32 v0, v100
	s_cbranch_execnz .LBB4_6781
.LBB4_6287:                             ;   in Loop: Header=BB4_3185 Depth=1
	s_or_b32 exec_lo, exec_lo, s21
	;;#ASMSTART
	s_wakeup
	;;#ASMEND
.LBB4_6288:                             ;   in Loop: Header=BB4_3185 Depth=1
	s_or_b32 exec_lo, exec_lo, s20
.LBB4_6289:                             ;   in Loop: Header=BB4_3185 Depth=1
	s_and_not1_saveexec_b32 s19, s19
	s_cbranch_execz .LBB4_6291
; %bb.6290:                             ;   in Loop: Header=BB4_3185 Depth=1
	s_waitcnt vmcnt(0) lgkmcnt(0)
	s_waitcnt_vscnt null, 0x0
	buffer_gl1_inv
	buffer_gl0_inv
	s_barrier
.LBB4_6291:                             ;   in Loop: Header=BB4_3185 Depth=1
	s_or_b32 exec_lo, exec_lo, s19
.LBB4_6292:                             ;   in Loop: Header=BB4_3185 Depth=1
	s_delay_alu instid0(SALU_CYCLE_1)
	s_or_b32 exec_lo, exec_lo, s7
	s_cbranch_execnz .LBB4_6588
; %bb.6293:                             ;   in Loop: Header=BB4_3185 Depth=1
	ds_load_b32 v10, v0
	v_sub_nc_u32_e32 v11, v54, v14
	s_delay_alu instid0(VALU_DEP_1) | instskip(NEXT) | instid1(VALU_DEP_1)
	v_min_i32_e32 v11, v55, v11
	v_cmp_lt_i32_e32 vcc_lo, 0, v11
	s_waitcnt lgkmcnt(0)
	v_readfirstlane_b32 s7, v10
	v_and_b32_e32 v10, 16, v30
	s_delay_alu instid0(VALU_DEP_2) | instskip(NEXT) | instid1(VALU_DEP_1)
	s_cmp_eq_u32 s7, 0
	v_cmp_ne_u32_e64 s7, 0, v10
	s_cselect_b32 s19, -1, 0
	s_delay_alu instid0(SALU_CYCLE_1)
	s_and_b32 s19, vcc_lo, s19
	s_delay_alu instid0(VALU_DEP_1) | instid1(SALU_CYCLE_1)
	s_and_b32 s19, s7, s19
	s_delay_alu instid0(SALU_CYCLE_1)
	s_and_saveexec_b32 s7, s19
	s_cbranch_execz .LBB4_6295
; %bb.6294:                             ;   in Loop: Header=BB4_3185 Depth=1
	s_waitcnt vmcnt(0)
	s_waitcnt_vscnt null, 0x0
	buffer_gl1_inv
	buffer_gl0_inv
.LBB4_6295:                             ;   in Loop: Header=BB4_3185 Depth=1
	s_or_b32 exec_lo, exec_lo, s7
	v_and_b32_e32 v10, 32, v30
	s_mov_b32 s7, exec_lo
	s_delay_alu instid0(VALU_DEP_1)
	v_cmpx_ne_u32_e32 0, v10
	s_cbranch_execz .LBB4_6297
; %bb.6296:                             ;   in Loop: Header=BB4_3185 Depth=1
	v_add_co_u32 v8, vcc_lo, v8, 1
	v_add_co_ci_u32_e32 v9, vcc_lo, 0, v9, vcc_lo
	s_waitcnt vmcnt(0)
	s_waitcnt_vscnt null, 0x0
	flat_store_b64 v[32:33], v[8:9]
.LBB4_6297:                             ;   in Loop: Header=BB4_3185 Depth=1
	s_or_b32 exec_lo, exec_lo, s7
.LBB4_6298:                             ;   in Loop: Header=BB4_3185 Depth=1
	s_delay_alu instid0(SALU_CYCLE_1) | instskip(SKIP_2) | instid1(VALU_DEP_1)
	s_or_b32 exec_lo, exec_lo, s10
	v_add_co_u32 v52, vcc_lo, v52, v48
	v_add_co_ci_u32_e32 v53, vcc_lo, 0, v53, vcc_lo
	v_cmp_ge_u64_e32 vcc_lo, v[52:53], v[4:5]
	s_or_b32 s16, vcc_lo, s16
	s_delay_alu instid0(SALU_CYCLE_1)
	s_and_not1_b32 exec_lo, exec_lo, s16
	s_cbranch_execnz .LBB4_3185
; %bb.6299:
	s_or_b32 exec_lo, exec_lo, s16
.LBB4_6300:
	s_delay_alu instid0(SALU_CYCLE_1)
	s_or_b32 exec_lo, exec_lo, s12
.LBB4_6301:
	s_delay_alu instid0(SALU_CYCLE_1)
	s_or_b32 exec_lo, exec_lo, s11
                                        ; implicit-def: $vgpr26_vgpr27
                                        ; implicit-def: $vgpr4_vgpr5
                                        ; implicit-def: $vgpr50_vgpr51
                                        ; implicit-def: $vgpr81
                                        ; implicit-def: $vgpr36_vgpr37
                                        ; implicit-def: $vgpr34_vgpr35
                                        ; implicit-def: $vgpr32_vgpr33
                                        ; implicit-def: $vgpr0
                                        ; implicit-def: $vgpr54
                                        ; implicit-def: $vgpr48_vgpr49
.LBB4_6302:
	s_and_not1_saveexec_b32 s12, s15
	s_cbranch_execz .LBB4_6500
; %bb.6303:
	v_mov_b32_e32 v38, 0
	v_mov_b32_e32 v39, 0
	s_mov_b32 s15, exec_lo
	v_cmpx_ne_u64_e32 0, v[4:5]
	s_cbranch_execz .LBB4_6499
; %bb.6304:
	v_cmp_ge_i32_e64 s1, v0, v1
	s_cbranch_execnz .LBB4_6529
; %bb.6305:
	v_ashrrev_i32_e32 v10, 31, v0
	s_waitcnt vmcnt(0) lgkmcnt(1)
	v_lshrrev_b32_e32 v19, 5, v1
	v_dual_mov_b32 v65, 1 :: v_dual_and_b32 v12, 31, v31
	s_ashr_i32 s4, s14, 31
	v_lshrrev_b32_e32 v10, 27, v10
	s_lshr_b32 s4, s4, 24
	s_waitcnt lgkmcnt(0)
	v_and_b32_e32 v20, 0xffffffe0, v1
	s_add_i32 s14, s14, s4
	v_cmp_eq_u32_e64 s4, 0, v12
	v_dual_mov_b32 v11, 0 :: v_dual_add_nc_u32 v10, v0, v10
	v_cmp_eq_u32_e32 vcc_lo, 32, v1
	v_cmp_ne_u32_e64 s2, 32, v1
	v_cmp_ne_u32_e64 s3, v80, v1
	s_delay_alu instid0(VALU_DEP_4)
	v_and_b32_e32 v13, 0xffffffe0, v10
	v_ashrrev_i32_e32 v21, 5, v10
	v_lshl_add_u32 v10, v19, 11, 0xfffff800
	s_ashr_i32 s16, s14, 8
	s_mov_b32 s14, 0
	v_sub_nc_u32_e32 v23, v0, v13
	v_lshlrev_b32_e32 v13, 11, v21
	v_ashrrev_i32_e32 v12, 31, v10
	v_add_co_u32 v25, s5, 0x800, v10
	s_delay_alu instid0(VALU_DEP_4) | instskip(NEXT) | instid1(VALU_DEP_4)
	v_cmp_lt_i32_e64 s6, v23, v54
	v_lshl_add_u32 v24, v23, 4, v13
	s_delay_alu instid0(VALU_DEP_4)
	v_add_co_ci_u32_e64 v52, s5, 0, v12, s5
	v_mov_b32_e32 v12, 0
	v_dual_mov_b32 v13, 0 :: v_dual_lshlrev_b32 v22, 9, v19
	v_cmp_gt_i32_e64 s5, 1, v23
	v_ashrrev_i32_e32 v53, 31, v24
	v_ashrrev_i32_e32 v64, 31, v20
	s_delay_alu instid0(VALU_DEP_4) | instskip(SKIP_2) | instid1(VALU_DEP_2)
	v_dual_mov_b32 v39, v13 :: v_dual_add_nc_u32 v14, 0xfffffe00, v22
	v_mov_b32_e32 v38, v12
	s_xor_b32 s17, vcc_lo, -1
	v_ashrrev_i32_e32 v10, 31, v14
	v_add_co_u32 v54, s7, 0x200, v14
	s_delay_alu instid0(VALU_DEP_1)
	v_add_co_ci_u32_e64 v55, s7, 0, v10, s7
	v_cmp_ne_u64_e64 s7, 0, v[50:51]
.LBB4_6306:                             ; =>This Loop Header: Depth=1
                                        ;     Child Loop BB4_6316 Depth 2
                                        ;     Child Loop BB4_6343 Depth 2
	;; [unrolled: 1-line block ×10, first 2 shown]
	v_sub_co_u32 v14, vcc_lo, v4, v12
	v_sub_co_ci_u32_e32 v15, vcc_lo, v5, v13, vcc_lo
	v_mov_b32_e32 v17, 0
	s_delay_alu instid0(VALU_DEP_2) | instskip(SKIP_2) | instid1(VALU_DEP_2)
	v_cmp_lt_u64_e32 vcc_lo, v[48:49], v[14:15]
	v_cndmask_b32_e32 v14, v14, v48, vcc_lo
	v_cndmask_b32_e64 v15, v15, 0, vcc_lo
	v_add_nc_u32_e32 v10, 15, v14
	s_delay_alu instid0(VALU_DEP_2) | instskip(NEXT) | instid1(VALU_DEP_2)
	v_cmp_eq_u64_e32 vcc_lo, 0, v[14:15]
	v_and_b32_e32 v10, 0x7ffffff0, v10
	s_or_b32 s18, s1, vcc_lo
	s_delay_alu instid0(SALU_CYCLE_1) | instskip(NEXT) | instid1(VALU_DEP_1)
	s_xor_b32 s10, s18, -1
	v_max_i32_e32 v10, s16, v10
	s_and_saveexec_b32 s19, s10
	s_cbranch_execz .LBB4_6442
; %bb.6307:                             ;   in Loop: Header=BB4_6306 Depth=1
	s_and_saveexec_b32 s10, s0
	s_cbranch_execz .LBB4_6310
; %bb.6308:                             ;   in Loop: Header=BB4_6306 Depth=1
	s_cbranch_execnz .LBB4_6570
; %bb.6309:                             ;   in Loop: Header=BB4_6306 Depth=1
	ds_load_b64 v[15:16], v0
	s_waitcnt lgkmcnt(0)
	v_add_co_u32 v17, vcc_lo, v15, v26
	v_add_co_ci_u32_e32 v16, vcc_lo, v16, v27, vcc_lo
	v_mov_b32_e32 v15, v11
	s_delay_alu instid0(VALU_DEP_3) | instskip(NEXT) | instid1(VALU_DEP_3)
	v_add_co_u32 v17, vcc_lo, v17, v12
	v_add_co_ci_u32_e32 v18, vcc_lo, v16, v13, vcc_lo
	v_mov_b32_e32 v16, v11
	ds_store_b64 v0, v[17:18]
	ds_store_b64 v0, v[15:16]
.LBB4_6310:                             ;   in Loop: Header=BB4_6306 Depth=1
	s_or_b32 exec_lo, exec_lo, s10
	v_and_b32_e32 v15, 8, v30
	s_mov_b32 s11, -1
	s_mov_b32 s10, exec_lo
	s_delay_alu instid0(VALU_DEP_1)
	v_cmpx_ne_u32_e32 0, v15
	s_cbranch_execz .LBB4_6324
; %bb.6311:                             ;   in Loop: Header=BB4_6306 Depth=1
	v_add_co_u32 v17, vcc_lo, v36, 8
	v_add_co_ci_u32_e32 v18, vcc_lo, 0, v37, vcc_lo
	v_add_co_u32 v15, vcc_lo, v8, 1
	v_add_co_ci_u32_e32 v16, vcc_lo, 0, v9, vcc_lo
	s_delay_alu instid0(VALU_DEP_1)
	v_cmp_lt_u64_e32 vcc_lo, v[17:18], v[15:16]
	v_mov_b32_e32 v17, 1
	s_and_saveexec_b32 s11, vcc_lo
	s_cbranch_execz .LBB4_6323
; %bb.6312:                             ;   in Loop: Header=BB4_6306 Depth=1
	v_mov_b32_e32 v17, 0
	s_mov_b32 s20, 0
                                        ; implicit-def: $sgpr21
	s_branch .LBB4_6316
.LBB4_6313:                             ;   in Loop: Header=BB4_6316 Depth=2
	s_or_b32 exec_lo, exec_lo, s25
	v_mov_b32_e32 v18, 0
	s_or_not1_b32 s24, s24, exec_lo
.LBB4_6314:                             ;   in Loop: Header=BB4_6316 Depth=2
	s_or_b32 exec_lo, exec_lo, s23
	s_delay_alu instid0(VALU_DEP_1) | instskip(SKIP_2) | instid1(SALU_CYCLE_1)
	v_mov_b32_e32 v17, v18
	s_and_not1_b32 s21, s21, exec_lo
	s_and_b32 s23, s24, exec_lo
	s_or_b32 s21, s21, s23
.LBB4_6315:                             ;   in Loop: Header=BB4_6316 Depth=2
	s_or_b32 exec_lo, exec_lo, s22
	s_waitcnt vmcnt(0) lgkmcnt(0)
	v_add_co_u32 v66, vcc_lo, v36, 8
	v_add_co_ci_u32_e32 v67, vcc_lo, 0, v37, vcc_lo
	s_xor_b32 s22, s21, -1
	s_delay_alu instid0(VALU_DEP_1) | instskip(SKIP_1) | instid1(SALU_CYCLE_1)
	v_cmp_ge_u64_e32 vcc_lo, v[66:67], v[15:16]
	s_or_b32 s22, s22, vcc_lo
	s_and_b32 s22, exec_lo, s22
	s_delay_alu instid0(SALU_CYCLE_1) | instskip(NEXT) | instid1(SALU_CYCLE_1)
	s_or_b32 s20, s22, s20
	s_and_not1_b32 exec_lo, exec_lo, s20
	s_cbranch_execz .LBB4_6322
.LBB4_6316:                             ;   Parent Loop BB4_6306 Depth=1
                                        ; =>  This Inner Loop Header: Depth=2
	s_sleep 1
	flat_load_b64 v[36:37], v[32:33] glc
	v_and_b32_e32 v18, 64, v30
	s_and_not1_b32 s21, s21, exec_lo
	s_mov_b32 s22, exec_lo
	s_delay_alu instid0(VALU_DEP_1)
	v_cmpx_eq_u32_e32 0, v18
	s_cbranch_execz .LBB4_6315
; %bb.6317:                             ;   in Loop: Header=BB4_6316 Depth=2
	v_add_nc_u32_e32 v18, 1, v17
	s_mov_b32 s24, -1
	s_mov_b32 s23, exec_lo
	v_cmpx_lt_i32_e32 0x270e, v17
	s_cbranch_execz .LBB4_6314
; %bb.6318:                             ;   in Loop: Header=BB4_6316 Depth=2
	s_cbranch_execnz .LBB4_6576
; %bb.6319:                             ;   in Loop: Header=BB4_6316 Depth=2
	ds_load_b64 v[17:18], v0
	s_mov_b32 s25, exec_lo
	s_waitcnt vmcnt(0) lgkmcnt(0)
	s_waitcnt_vscnt null, 0x0
	flat_load_b32 v17, v[17:18] glc
	s_waitcnt vmcnt(0) lgkmcnt(0)
	buffer_gl1_inv
	buffer_gl0_inv
	v_cmpx_ne_u32_e32 0, v17
	s_cbranch_execz .LBB4_6313
; %bb.6320:                             ;   in Loop: Header=BB4_6316 Depth=2
	ds_store_b32 v0, v17
	s_cbranch_execnz .LBB4_6619
; %bb.6321:                             ;   in Loop: Header=BB4_6316 Depth=2
	v_or_b32_e32 v30, 64, v30
	s_xor_b32 s24, exec_lo, -1
	s_branch .LBB4_6313
.LBB4_6322:                             ;   in Loop: Header=BB4_6306 Depth=1
	s_or_b32 exec_lo, exec_lo, s20
	v_and_b32_e32 v17, 8, v30
.LBB4_6323:                             ;   in Loop: Header=BB4_6306 Depth=1
	s_or_b32 exec_lo, exec_lo, s11
	s_delay_alu instid0(VALU_DEP_1)
	v_cmp_eq_u32_e32 vcc_lo, 0, v17
	;;#ASMSTART
	s_wakeup
	;;#ASMEND
	s_or_not1_b32 s11, vcc_lo, exec_lo
.LBB4_6324:                             ;   in Loop: Header=BB4_6306 Depth=1
	s_or_b32 exec_lo, exec_lo, s10
	v_min_u32_e32 v10, v10, v14
	s_xor_b32 s10, s11, -1
	s_delay_alu instid0(SALU_CYCLE_1)
	s_and_saveexec_b32 s11, s10
	s_cbranch_execz .LBB4_6334
; %bb.6325:                             ;   in Loop: Header=BB4_6306 Depth=1
	v_and_b32_e32 v15, 0x100, v30
	v_and_b32_e32 v66, 7, v8
	s_mov_b32 s10, -1
	s_delay_alu instid0(VALU_DEP_2)
	v_cmp_ne_u32_e32 vcc_lo, 0, v15
                                        ; implicit-def: $vgpr15_vgpr16
	s_and_saveexec_b32 s20, vcc_lo
	s_cbranch_execz .LBB4_6329
; %bb.6326:                             ;   in Loop: Header=BB4_6306 Depth=1
	v_mad_u64_u32 v[17:18], null, v66, 24, v[6:7]
	flat_load_b32 v15, v[17:18]
	flat_store_b64 v[17:18], v[10:11] offset:8
	s_waitcnt vmcnt(0) lgkmcnt(1)
	v_cmp_ne_u32_e32 vcc_lo, 1, v15
	v_cmp_eq_u32_e64 s10, 1, v15
                                        ; implicit-def: $vgpr15_vgpr16
	s_delay_alu instid0(VALU_DEP_1)
	s_and_saveexec_b32 s21, s10
	s_cbranch_execz .LBB4_6328
; %bb.6327:                             ;   in Loop: Header=BB4_6306 Depth=1
	flat_load_b32 v15, v[17:18] offset:4 glc
	s_waitcnt vmcnt(0) lgkmcnt(0)
	v_ashrrev_i32_e32 v16, 31, v15
.LBB4_6328:                             ;   in Loop: Header=BB4_6306 Depth=1
	s_or_b32 exec_lo, exec_lo, s21
	s_delay_alu instid0(SALU_CYCLE_1)
	s_or_not1_b32 s10, vcc_lo, exec_lo
.LBB4_6329:                             ;   in Loop: Header=BB4_6306 Depth=1
	s_or_b32 exec_lo, exec_lo, s20
	s_and_saveexec_b32 s20, s10
; %bb.6330:                             ;   in Loop: Header=BB4_6306 Depth=1
	v_mad_i64_i32 v[15:16], null, v66, v81, 0
; %bb.6331:                             ;   in Loop: Header=BB4_6306 Depth=1
	s_or_b32 exec_lo, exec_lo, s20
	s_delay_alu instid0(VALU_DEP_1) | instskip(SKIP_1) | instid1(VALU_DEP_3)
	v_add_co_u32 v15, vcc_lo, v34, v15
	v_and_b32_e32 v17, 0x2000, v30
	v_add_co_ci_u32_e32 v16, vcc_lo, v35, v16, vcc_lo
	s_mov_b32 s10, exec_lo
	ds_store_b64 v0, v[15:16] offset:784
	v_cmpx_ne_u32_e32 0, v17
	s_cbranch_execz .LBB4_6333
; %bb.6332:                             ;   in Loop: Header=BB4_6306 Depth=1
	ds_load_b64 v[15:16], v0 offset:584
	s_waitcnt lgkmcnt(0)
	v_add_co_u32 v15, vcc_lo, v15, 1
	v_add_co_ci_u32_e32 v16, vcc_lo, 0, v16, vcc_lo
	ds_store_b64 v0, v[15:16] offset:584
.LBB4_6333:                             ;   in Loop: Header=BB4_6306 Depth=1
	s_or_b32 exec_lo, exec_lo, s10
	v_add_co_u32 v8, vcc_lo, v8, 1
	v_add_co_ci_u32_e32 v9, vcc_lo, 0, v9, vcc_lo
.LBB4_6334:                             ;   in Loop: Header=BB4_6306 Depth=1
	s_or_b32 exec_lo, exec_lo, s11
	s_and_saveexec_b32 s10, s2
	s_cbranch_execz .LBB4_6356
; %bb.6335:                             ;   in Loop: Header=BB4_6306 Depth=1
	s_and_saveexec_b32 s11, s3
	s_delay_alu instid0(SALU_CYCLE_1)
	s_xor_b32 s11, exec_lo, s11
	s_cbranch_execz .LBB4_6353
; %bb.6336:                             ;   in Loop: Header=BB4_6306 Depth=1
	s_and_saveexec_b32 s20, s4
	s_cbranch_execz .LBB4_6352
; %bb.6337:                             ;   in Loop: Header=BB4_6306 Depth=1
	s_mov_b32 s22, exec_lo
	s_mov_b32 s21, exec_lo
	v_mbcnt_lo_u32_b32 v15, s22, 0
	s_waitcnt lgkmcnt(0)
	s_waitcnt_vscnt null, 0x0
	buffer_gl1_inv
	buffer_gl0_inv
	v_cmpx_eq_u32_e32 0, v15
	s_cbranch_execz .LBB4_6339
; %bb.6338:                             ;   in Loop: Header=BB4_6306 Depth=1
	s_bcnt1_i32_b32 s22, s22
	s_delay_alu instid0(SALU_CYCLE_1)
	v_dual_mov_b32 v16, v11 :: v_dual_mov_b32 v15, s22
	ds_add_u64 v0, v[15:16]
	s_cbranch_execnz .LBB4_6631
.LBB4_6339:                             ;   in Loop: Header=BB4_6306 Depth=1
	s_or_b32 exec_lo, exec_lo, s21
	s_cbranch_execnz .LBB4_6621
; %bb.6340:                             ;   in Loop: Header=BB4_6306 Depth=1
	ds_load_b64 v[15:16], v0
	v_add_co_u32 v38, vcc_lo, v38, v19
	v_add_co_ci_u32_e32 v39, vcc_lo, 0, v39, vcc_lo
	s_mov_b32 s21, exec_lo
	s_waitcnt lgkmcnt(0)
	s_delay_alu instid0(VALU_DEP_1)
	v_cmpx_lt_u64_e64 v[15:16], v[38:39]
	s_cbranch_execz .LBB4_6351
; %bb.6341:                             ;   in Loop: Header=BB4_6306 Depth=1
	s_mov_b32 s22, 0
	s_mov_b32 s25, 0
                                        ; implicit-def: $sgpr23
                                        ; implicit-def: $sgpr24
	s_branch .LBB4_6343
.LBB4_6342:                             ;   in Loop: Header=BB4_6343 Depth=2
	s_or_b32 exec_lo, exec_lo, s28
	s_delay_alu instid0(SALU_CYCLE_1) | instskip(NEXT) | instid1(SALU_CYCLE_1)
	s_and_b32 s26, exec_lo, s27
	s_or_b32 s22, s26, s22
	s_and_not1_b32 s23, s23, exec_lo
	s_and_b32 s26, s24, exec_lo
	s_delay_alu instid0(SALU_CYCLE_1)
	s_or_b32 s23, s23, s26
	s_and_not1_b32 exec_lo, exec_lo, s22
	s_cbranch_execz .LBB4_6349
.LBB4_6343:                             ;   Parent Loop BB4_6306 Depth=1
                                        ; =>  This Inner Loop Header: Depth=2
	s_add_i32 s25, s25, 1
                                        ; implicit-def: $sgpr27
	s_delay_alu instid0(SALU_CYCLE_1) | instskip(SKIP_1) | instid1(SALU_CYCLE_1)
	s_cmpk_lg_i32 s25, 0x2710
	s_cselect_b32 s26, -1, 0
	s_and_b32 vcc_lo, exec_lo, s26
	s_cbranch_vccz .LBB4_6347
.LBB4_6344:                             ;   in Loop: Header=BB4_6343 Depth=2
	s_and_not1_b32 s24, s24, exec_lo
	s_and_b32 s28, s27, exec_lo
	s_mov_b32 s27, -1
	s_or_b32 s24, s24, s28
	s_and_saveexec_b32 s28, s26
	s_cbranch_execz .LBB4_6342
; %bb.6345:                             ;   in Loop: Header=BB4_6343 Depth=2
	s_sleep 1
	s_cbranch_execnz .LBB4_6663
; %bb.6346:                             ;   in Loop: Header=BB4_6343 Depth=2
	ds_load_b64 v[15:16], v0
	s_and_not1_b32 s24, s24, exec_lo
	s_waitcnt lgkmcnt(0)
	v_cmp_ge_u64_e32 vcc_lo, v[15:16], v[38:39]
	s_or_not1_b32 s27, vcc_lo, exec_lo
	s_branch .LBB4_6342
.LBB4_6347:                             ;   in Loop: Header=BB4_6343 Depth=2
	s_cbranch_execnz .LBB4_6673
; %bb.6348:                             ;   in Loop: Header=BB4_6343 Depth=2
	ds_load_b64 v[15:16], v0
	s_and_not1_b32 s26, s26, exec_lo
	s_mov_b32 s25, 0
	s_mov_b32 s27, -1
	s_waitcnt lgkmcnt(0)
	flat_load_b32 v15, v[15:16] glc
	s_waitcnt vmcnt(0) lgkmcnt(0)
	buffer_gl1_inv
	buffer_gl0_inv
	v_cmp_eq_u32_e32 vcc_lo, 0, v15
	s_and_b32 s28, vcc_lo, exec_lo
	s_delay_alu instid0(SALU_CYCLE_1)
	s_or_b32 s26, s26, s28
	s_branch .LBB4_6344
.LBB4_6349:                             ;   in Loop: Header=BB4_6306 Depth=1
	s_or_b32 exec_lo, exec_lo, s22
	s_and_saveexec_b32 s22, s23
	s_delay_alu instid0(SALU_CYCLE_1)
	s_xor_b32 s22, exec_lo, s22
	s_cbranch_execz .LBB4_6351
; %bb.6350:                             ;   in Loop: Header=BB4_6306 Depth=1
	ds_store_b32 v0, v65
	s_cbranch_execnz .LBB4_6771
.LBB4_6351:                             ;   in Loop: Header=BB4_6306 Depth=1
	s_or_b32 exec_lo, exec_lo, s21
	;;#ASMSTART
	s_wakeup
	;;#ASMEND
.LBB4_6352:                             ;   in Loop: Header=BB4_6306 Depth=1
	s_or_b32 exec_lo, exec_lo, s20
.LBB4_6353:                             ;   in Loop: Header=BB4_6306 Depth=1
	s_and_not1_saveexec_b32 s11, s11
	s_cbranch_execz .LBB4_6355
; %bb.6354:                             ;   in Loop: Header=BB4_6306 Depth=1
	s_waitcnt lgkmcnt(0)
	s_waitcnt_vscnt null, 0x0
	buffer_gl1_inv
	buffer_gl0_inv
	s_barrier
.LBB4_6355:                             ;   in Loop: Header=BB4_6306 Depth=1
	s_or_b32 exec_lo, exec_lo, s11
.LBB4_6356:                             ;   in Loop: Header=BB4_6306 Depth=1
	s_delay_alu instid0(SALU_CYCLE_1)
	s_or_b32 exec_lo, exec_lo, s10
	s_cbranch_execnz .LBB4_6568
; %bb.6357:                             ;   in Loop: Header=BB4_6306 Depth=1
	ds_load_b32 v15, v0
	v_and_b32_e32 v16, 0x4000, v30
	s_delay_alu instid0(VALU_DEP_1) | instskip(SKIP_1) | instid1(SALU_CYCLE_1)
	v_cmp_ne_u32_e32 vcc_lo, 0, v16
	s_and_b32 s11, s17, vcc_lo
	s_and_saveexec_b32 s10, s11
	s_cbranch_execz .LBB4_6379
; %bb.6358:                             ;   in Loop: Header=BB4_6306 Depth=1
	s_and_saveexec_b32 s11, s3
	s_delay_alu instid0(SALU_CYCLE_1)
	s_xor_b32 s11, exec_lo, s11
	s_cbranch_execz .LBB4_6376
; %bb.6359:                             ;   in Loop: Header=BB4_6306 Depth=1
	s_and_saveexec_b32 s20, s4
	s_cbranch_execz .LBB4_6375
; %bb.6360:                             ;   in Loop: Header=BB4_6306 Depth=1
	s_mov_b32 s22, exec_lo
	s_mov_b32 s21, exec_lo
	v_mbcnt_lo_u32_b32 v16, s22, 0
	s_waitcnt lgkmcnt(0)
	s_waitcnt_vscnt null, 0x0
	buffer_gl1_inv
	buffer_gl0_inv
	v_cmpx_eq_u32_e32 0, v16
	s_cbranch_execz .LBB4_6362
; %bb.6361:                             ;   in Loop: Header=BB4_6306 Depth=1
	s_bcnt1_i32_b32 s22, s22
	s_delay_alu instid0(SALU_CYCLE_1)
	v_dual_mov_b32 v17, v11 :: v_dual_mov_b32 v16, s22
	ds_add_u64 v0, v[16:17]
	s_cbranch_execnz .LBB4_6661
.LBB4_6362:                             ;   in Loop: Header=BB4_6306 Depth=1
	s_or_b32 exec_lo, exec_lo, s21
	s_cbranch_execnz .LBB4_6649
; %bb.6363:                             ;   in Loop: Header=BB4_6306 Depth=1
	ds_load_b64 v[16:17], v0
	v_add_co_u32 v38, vcc_lo, v38, v19
	v_add_co_ci_u32_e32 v39, vcc_lo, 0, v39, vcc_lo
	s_mov_b32 s21, exec_lo
	s_waitcnt lgkmcnt(0)
	s_delay_alu instid0(VALU_DEP_1)
	v_cmpx_lt_u64_e64 v[16:17], v[38:39]
	s_cbranch_execz .LBB4_6374
; %bb.6364:                             ;   in Loop: Header=BB4_6306 Depth=1
	s_mov_b32 s22, 0
	s_mov_b32 s25, 0
                                        ; implicit-def: $sgpr23
                                        ; implicit-def: $sgpr24
	s_branch .LBB4_6366
.LBB4_6365:                             ;   in Loop: Header=BB4_6366 Depth=2
	s_or_b32 exec_lo, exec_lo, s28
	s_delay_alu instid0(SALU_CYCLE_1) | instskip(NEXT) | instid1(SALU_CYCLE_1)
	s_and_b32 s26, exec_lo, s27
	s_or_b32 s22, s26, s22
	s_and_not1_b32 s23, s23, exec_lo
	s_and_b32 s26, s24, exec_lo
	s_delay_alu instid0(SALU_CYCLE_1)
	s_or_b32 s23, s23, s26
	s_and_not1_b32 exec_lo, exec_lo, s22
	s_cbranch_execz .LBB4_6372
.LBB4_6366:                             ;   Parent Loop BB4_6306 Depth=1
                                        ; =>  This Inner Loop Header: Depth=2
	s_add_i32 s25, s25, 1
                                        ; implicit-def: $sgpr27
	s_delay_alu instid0(SALU_CYCLE_1) | instskip(SKIP_1) | instid1(SALU_CYCLE_1)
	s_cmpk_lg_i32 s25, 0x2710
	s_cselect_b32 s26, -1, 0
	s_and_b32 vcc_lo, exec_lo, s26
	s_cbranch_vccz .LBB4_6370
.LBB4_6367:                             ;   in Loop: Header=BB4_6366 Depth=2
	s_and_not1_b32 s24, s24, exec_lo
	s_and_b32 s28, s27, exec_lo
	s_mov_b32 s27, -1
	s_or_b32 s24, s24, s28
	s_and_saveexec_b32 s28, s26
	s_cbranch_execz .LBB4_6365
; %bb.6368:                             ;   in Loop: Header=BB4_6366 Depth=2
	s_sleep 1
	s_cbranch_execnz .LBB4_6693
; %bb.6369:                             ;   in Loop: Header=BB4_6366 Depth=2
	ds_load_b64 v[16:17], v0
	s_and_not1_b32 s24, s24, exec_lo
	s_waitcnt lgkmcnt(0)
	v_cmp_ge_u64_e32 vcc_lo, v[16:17], v[38:39]
	s_or_not1_b32 s27, vcc_lo, exec_lo
	s_branch .LBB4_6365
.LBB4_6370:                             ;   in Loop: Header=BB4_6366 Depth=2
	s_cbranch_execnz .LBB4_6701
; %bb.6371:                             ;   in Loop: Header=BB4_6366 Depth=2
	ds_load_b64 v[16:17], v0
	s_and_not1_b32 s26, s26, exec_lo
	s_mov_b32 s25, 0
	s_mov_b32 s27, -1
	s_waitcnt lgkmcnt(0)
	flat_load_b32 v16, v[16:17] glc
	s_waitcnt vmcnt(0) lgkmcnt(0)
	buffer_gl1_inv
	buffer_gl0_inv
	v_cmp_eq_u32_e32 vcc_lo, 0, v16
	s_and_b32 s28, vcc_lo, exec_lo
	s_delay_alu instid0(SALU_CYCLE_1)
	s_or_b32 s26, s26, s28
	s_branch .LBB4_6367
.LBB4_6372:                             ;   in Loop: Header=BB4_6306 Depth=1
	s_or_b32 exec_lo, exec_lo, s22
	s_and_saveexec_b32 s22, s23
	s_delay_alu instid0(SALU_CYCLE_1)
	s_xor_b32 s22, exec_lo, s22
	s_cbranch_execz .LBB4_6374
; %bb.6373:                             ;   in Loop: Header=BB4_6306 Depth=1
	ds_store_b32 v0, v65
	s_cbranch_execnz .LBB4_6779
.LBB4_6374:                             ;   in Loop: Header=BB4_6306 Depth=1
	s_or_b32 exec_lo, exec_lo, s21
	;;#ASMSTART
	s_wakeup
	;;#ASMEND
.LBB4_6375:                             ;   in Loop: Header=BB4_6306 Depth=1
	s_or_b32 exec_lo, exec_lo, s20
.LBB4_6376:                             ;   in Loop: Header=BB4_6306 Depth=1
	s_and_not1_saveexec_b32 s11, s11
	s_cbranch_execz .LBB4_6378
; %bb.6377:                             ;   in Loop: Header=BB4_6306 Depth=1
	s_waitcnt lgkmcnt(0)
	s_waitcnt_vscnt null, 0x0
	buffer_gl1_inv
	buffer_gl0_inv
	s_barrier
.LBB4_6378:                             ;   in Loop: Header=BB4_6306 Depth=1
	s_or_b32 exec_lo, exec_lo, s11
.LBB4_6379:                             ;   in Loop: Header=BB4_6306 Depth=1
	s_delay_alu instid0(SALU_CYCLE_1)
	s_or_b32 exec_lo, exec_lo, s10
	s_cbranch_execnz .LBB4_6582
; %bb.6380:                             ;   in Loop: Header=BB4_6306 Depth=1
	ds_load_b64 v[16:17], v0
	s_waitcnt lgkmcnt(0)
	v_cmp_eq_u64_e32 vcc_lo, 0, v[16:17]
	s_or_b32 s10, vcc_lo, vcc_lo
	s_delay_alu instid0(SALU_CYCLE_1)
	s_and_b32 vcc_lo, exec_lo, s10
	s_mov_b32 s10, 0
	s_cbranch_vccnz .LBB4_6413
; %bb.6381:                             ;   in Loop: Header=BB4_6306 Depth=1
	s_mov_b32 s10, -1
	s_and_saveexec_b32 s11, s5
	s_cbranch_execz .LBB4_6383
; %bb.6382:                             ;   in Loop: Header=BB4_6306 Depth=1
	ds_load_b32 v16, v0 offset:720
	s_waitcnt lgkmcnt(0)
	v_and_b32_e32 v16, 15, v16
	s_delay_alu instid0(VALU_DEP_1)
	v_cmp_eq_u32_e32 vcc_lo, 0, v16
	s_or_not1_b32 s10, vcc_lo, exec_lo
.LBB4_6383:                             ;   in Loop: Header=BB4_6306 Depth=1
	s_or_b32 exec_lo, exec_lo, s11
	s_and_saveexec_b32 s11, s6
	s_cbranch_execz .LBB4_6385
; %bb.6384:                             ;   in Loop: Header=BB4_6306 Depth=1
	ds_load_b32 v16, v0 offset:784
	s_waitcnt lgkmcnt(0)
	v_and_b32_e32 v16, 15, v16
	s_delay_alu instid0(VALU_DEP_1) | instskip(SKIP_3) | instid1(SALU_CYCLE_1)
	v_cmp_eq_u32_e32 vcc_lo, 0, v16
	s_and_b32 s20, s10, vcc_lo
	s_and_not1_b32 s10, s10, exec_lo
	s_and_b32 s20, s20, exec_lo
	s_or_b32 s10, s10, s20
.LBB4_6385:                             ;   in Loop: Header=BB4_6306 Depth=1
	s_or_b32 exec_lo, exec_lo, s11
	v_cmp_eq_u32_e32 vcc_lo, 0, v15
	s_xor_b32 s10, s10, -1
	v_mov_b32_e32 v82, v21
	v_cndmask_b32_e64 v16, 0, 1, s10
	;;#ASMSTART
	;;#ASMEND
	v_dual_cndmask_b32 v66, 0, v10 :: v_dual_mov_b32 v69, v0
	s_delay_alu instid0(VALU_DEP_2) | instskip(SKIP_2) | instid1(VALU_DEP_3)
	v_cmp_ne_u32_e32 vcc_lo, 0, v16
	v_mov_b32_e32 v68, 0
	s_mov_b32 s10, -1
	v_mov_b32_e32 v67, v66
	s_cbranch_vccnz .LBB4_6401
; %bb.6386:                             ;   in Loop: Header=BB4_6306 Depth=1
	v_lshrrev_b32_e32 v15, 11, v66
	s_mov_b32 s11, exec_lo
	s_delay_alu instid0(VALU_DEP_1) | instskip(NEXT) | instid1(VALU_DEP_1)
	v_sub_nc_u32_e32 v70, v15, v21
	v_cmpx_lt_i32_e32 0, v70
	s_cbranch_execz .LBB4_6391
; %bb.6387:                             ;   in Loop: Header=BB4_6306 Depth=1
	s_cbranch_execnz .LBB4_6677
; %bb.6388:                             ;   in Loop: Header=BB4_6306 Depth=1
	ds_load_b64 v[15:16], v0
	s_mov_b32 s20, 0
	s_waitcnt lgkmcnt(0)
	v_dual_mov_b32 v18, v16 :: v_dual_mov_b32 v17, v15
	s_set_inst_prefetch_distance 0x1
.LBB4_6389:                             ;   Parent Loop BB4_6306 Depth=1
                                        ; =>  This Inner Loop Header: Depth=2
	s_delay_alu instid0(VALU_DEP_1) | instskip(NEXT) | instid1(VALU_DEP_2)
	v_add_co_u32 v67, vcc_lo, v24, v17
	v_add_co_ci_u32_e32 v68, vcc_lo, v53, v18, vcc_lo
	v_sub_nc_u32_e32 v70, v70, v19
	s_clause 0x3
	global_load_b128 v[82:85], v[67:68], off slc dlc
	global_load_b128 v[96:99], v[67:68], off offset:512 slc dlc
	global_load_b128 v[100:103], v[67:68], off offset:1024 slc dlc
	global_load_b128 v[112:115], v[67:68], off offset:1536 slc dlc
	v_add_co_u32 v67, vcc_lo, v24, v15
	v_add_co_ci_u32_e32 v68, vcc_lo, v53, v16, vcc_lo
	v_add_co_u32 v17, vcc_lo, v17, v25
	v_add_co_ci_u32_e32 v18, vcc_lo, v18, v52, vcc_lo
	v_add_co_u32 v15, vcc_lo, v15, v25
	v_cmp_gt_i32_e64 s10, 1, v70
	v_add_co_ci_u32_e32 v16, vcc_lo, v16, v52, vcc_lo
	s_waitcnt vmcnt(3)
	global_store_b128 v[67:68], v[82:85], off glc slc dlc
	s_waitcnt vmcnt(2)
	global_store_b128 v[67:68], v[96:99], off offset:512 glc slc dlc
	s_waitcnt vmcnt(1)
	global_store_b128 v[67:68], v[100:103], off offset:1024 glc slc dlc
	s_waitcnt vmcnt(0)
	global_store_b128 v[67:68], v[112:115], off offset:1536 glc slc dlc
	s_or_b32 s20, s10, s20
	s_delay_alu instid0(SALU_CYCLE_1)
	s_and_not1_b32 exec_lo, exec_lo, s20
	s_cbranch_execnz .LBB4_6389
; %bb.6390:                             ;   in Loop: Header=BB4_6306 Depth=1
	s_set_inst_prefetch_distance 0x2
	s_or_b32 exec_lo, exec_lo, s20
.LBB4_6391:                             ;   in Loop: Header=BB4_6306 Depth=1
	s_delay_alu instid0(SALU_CYCLE_1) | instskip(SKIP_3) | instid1(VALU_DEP_1)
	s_or_b32 exec_lo, exec_lo, s11
	v_dual_mov_b32 v68, 0 :: v_dual_and_b32 v71, 0x3ffff800, v66
	s_mov_b32 s10, 0
	s_mov_b32 s20, exec_lo
                                        ; implicit-def: $vgpr67
                                        ; implicit-def: $vgpr69
                                        ; implicit-def: $vgpr82
	v_cmpx_ne_u32_e64 v71, v66
	s_cbranch_execz .LBB4_6400
; %bb.6392:                             ;   in Loop: Header=BB4_6306 Depth=1
	v_lshlrev_b32_e32 v15, 5, v70
	v_and_b32_e32 v18, 0x600, v66
	v_bfe_u32 v69, v66, 9, 2
	s_mov_b32 s21, exec_lo
	s_delay_alu instid0(VALU_DEP_3) | instskip(NEXT) | instid1(VALU_DEP_1)
	v_sub_nc_u32_e32 v15, v23, v15
	v_ashrrev_i32_e32 v16, 31, v15
	s_delay_alu instid0(VALU_DEP_1) | instskip(NEXT) | instid1(VALU_DEP_1)
	v_lshrrev_b32_e32 v16, 27, v16
	v_add_nc_u32_e32 v16, v15, v16
	s_delay_alu instid0(VALU_DEP_1) | instskip(SKIP_1) | instid1(VALU_DEP_2)
	v_and_b32_e32 v17, 0xffffffe0, v16
	v_ashrrev_i32_e32 v16, 5, v16
	v_sub_nc_u32_e32 v17, v15, v17
	v_and_b32_e32 v15, 0x7ff, v66
	s_delay_alu instid0(VALU_DEP_2) | instskip(NEXT) | instid1(VALU_DEP_2)
	v_lshlrev_b32_e32 v67, 4, v17
	v_sub_nc_u32_e32 v18, v15, v18
	s_delay_alu instid0(VALU_DEP_2) | instskip(NEXT) | instid1(VALU_DEP_2)
	v_lshl_add_u32 v68, v16, 9, v67
	v_cmp_lt_i32_e32 vcc_lo, 15, v18
	s_delay_alu instid0(VALU_DEP_2) | instskip(SKIP_1) | instid1(VALU_DEP_1)
	v_sub_nc_u32_e32 v67, v15, v68
	v_add_co_ci_u32_e64 v69, s10, 0, v69, vcc_lo
	v_sub_nc_u32_e32 v70, v69, v16
	s_delay_alu instid0(VALU_DEP_3)
	v_cmpx_lt_i32_e32 15, v67
	s_cbranch_execz .LBB4_6397
; %bb.6393:                             ;   in Loop: Header=BB4_6306 Depth=1
	s_cbranch_execnz .LBB4_6719
; %bb.6394:                             ;   in Loop: Header=BB4_6306 Depth=1
	ds_load_b64 v[15:16], v0
	v_add_nc_u32_e32 v68, v68, v71
	s_mov_b32 s22, 0
	s_delay_alu instid0(VALU_DEP_1)
	v_ashrrev_i32_e32 v69, 31, v68
.LBB4_6395:                             ;   Parent Loop BB4_6306 Depth=1
                                        ; =>  This Inner Loop Header: Depth=2
	s_waitcnt lgkmcnt(0)
	v_add_co_u32 v86, s10, v15, v68
	s_delay_alu instid0(VALU_DEP_1)
	v_add_co_ci_u32_e64 v87, s10, v16, v69, s10
	v_sub_nc_u32_e32 v67, v67, v22
	v_add_co_u32 v68, s11, v68, v54
	global_load_b128 v[82:85], v[86:87], off slc dlc
	v_sub_nc_u32_e32 v70, v70, v19
	v_cmp_gt_i32_e64 s10, 16, v67
	v_add_co_ci_u32_e64 v69, s11, v69, v55, s11
	s_delay_alu instid0(VALU_DEP_2)
	s_or_b32 s22, s10, s22
	s_waitcnt vmcnt(0)
	global_store_b128 v[86:87], v[82:85], off glc slc dlc
	s_and_not1_b32 exec_lo, exec_lo, s22
	s_cbranch_execnz .LBB4_6395
; %bb.6396:                             ;   in Loop: Header=BB4_6306 Depth=1
	s_or_b32 exec_lo, exec_lo, s22
.LBB4_6397:                             ;   in Loop: Header=BB4_6306 Depth=1
	s_delay_alu instid0(SALU_CYCLE_1) | instskip(SKIP_3) | instid1(VALU_DEP_1)
	s_or_b32 exec_lo, exec_lo, s21
	v_dual_mov_b32 v68, 0 :: v_dual_and_b32 v15, 15, v66
	s_mov_b32 s11, 0
	s_mov_b32 s21, exec_lo
                                        ; implicit-def: $vgpr69
                                        ; implicit-def: $vgpr82
	v_cndmask_b32_e32 v67, v18, v15, vcc_lo
	s_delay_alu instid0(VALU_DEP_1)
	v_cmpx_ne_u32_e32 0, v67
	s_cbranch_execz .LBB4_6399
; %bb.6398:                             ;   in Loop: Header=BB4_6306 Depth=1
	v_cmp_lt_i32_e64 s10, 0, v70
	v_sub_nc_u32_e32 v15, v18, v15
	s_mov_b32 s11, exec_lo
	s_delay_alu instid0(VALU_DEP_2) | instskip(NEXT) | instid1(VALU_DEP_1)
	v_cndmask_b32_e64 v16, 0, v19, s10
	v_sub_nc_u32_e32 v16, v16, v70
	s_delay_alu instid0(VALU_DEP_1) | instskip(SKIP_1) | instid1(VALU_DEP_2)
	v_lshl_add_u32 v69, v16, 5, v17
	v_and_b32_e32 v17, 0x3ffffe00, v66
	v_ashrrev_i32_e32 v16, 31, v69
	s_delay_alu instid0(VALU_DEP_1) | instskip(NEXT) | instid1(VALU_DEP_1)
	v_lshrrev_b32_e32 v16, 27, v16
	v_dual_cndmask_b32 v15, 0, v15 :: v_dual_add_nc_u32 v16, v69, v16
	s_delay_alu instid0(VALU_DEP_1) | instskip(NEXT) | instid1(VALU_DEP_2)
	v_add_nc_u32_e32 v68, v15, v17
	v_ashrrev_i32_e32 v82, 5, v16
.LBB4_6399:                             ;   in Loop: Header=BB4_6306 Depth=1
	s_or_b32 exec_lo, exec_lo, s21
	s_delay_alu instid0(SALU_CYCLE_1)
	s_and_b32 s10, s11, exec_lo
.LBB4_6400:                             ;   in Loop: Header=BB4_6306 Depth=1
	s_or_b32 exec_lo, exec_lo, s20
.LBB4_6401:                             ;   in Loop: Header=BB4_6306 Depth=1
	s_and_saveexec_b32 s11, s10
	s_cbranch_execz .LBB4_6412
; %bb.6402:                             ;   in Loop: Header=BB4_6306 Depth=1
	s_delay_alu instid0(VALU_DEP_1) | instskip(SKIP_1) | instid1(VALU_DEP_1)
	v_ashrrev_i32_e32 v15, 31, v67
	s_mov_b32 s10, exec_lo
	v_lshrrev_b32_e32 v15, 23, v15
	s_delay_alu instid0(VALU_DEP_1) | instskip(NEXT) | instid1(VALU_DEP_1)
	v_add_nc_u32_e32 v15, v67, v15
	v_ashrrev_i32_e32 v71, 9, v15
	s_delay_alu instid0(VALU_DEP_1) | instskip(NEXT) | instid1(VALU_DEP_1)
	v_sub_nc_u32_e32 v70, v71, v82
	v_cmpx_lt_i32_e32 0, v70
	s_cbranch_execz .LBB4_6407
; %bb.6403:                             ;   in Loop: Header=BB4_6306 Depth=1
	s_cbranch_execnz .LBB4_6665
; %bb.6404:                             ;   in Loop: Header=BB4_6306 Depth=1
	v_ashrrev_i32_e32 v15, 31, v69
	s_mov_b32 s20, 0
	s_delay_alu instid0(VALU_DEP_1) | instskip(NEXT) | instid1(VALU_DEP_1)
	v_lshrrev_b32_e32 v15, 27, v15
	v_add_nc_u32_e32 v17, v69, v15
	ds_load_b64 v[15:16], v0
	v_lshlrev_b32_e32 v18, 9, v82
	v_and_b32_e32 v17, 0xffffffe0, v17
	s_delay_alu instid0(VALU_DEP_1) | instskip(NEXT) | instid1(VALU_DEP_1)
	v_sub_nc_u32_e32 v17, v69, v17
	v_add3_u32 v82, v68, v17, v18
	s_delay_alu instid0(VALU_DEP_1)
	v_ashrrev_i32_e32 v83, 31, v82
	s_waitcnt lgkmcnt(0)
	v_dual_mov_b32 v18, v16 :: v_dual_mov_b32 v17, v15
.LBB4_6405:                             ;   Parent Loop BB4_6306 Depth=1
                                        ; =>  This Inner Loop Header: Depth=2
	s_delay_alu instid0(VALU_DEP_1) | instskip(NEXT) | instid1(VALU_DEP_2)
	v_add_co_u32 v84, vcc_lo, v82, v17
	v_add_co_ci_u32_e32 v85, vcc_lo, v83, v18, vcc_lo
	v_sub_nc_u32_e32 v70, v70, v19
	s_clause 0xf
	flat_load_u8 v86, v[84:85] slc dlc
	flat_load_u8 v87, v[84:85] offset:32 slc dlc
	flat_load_u8 v96, v[84:85] offset:64 slc dlc
	;; [unrolled: 1-line block ×15, first 2 shown]
	v_add_co_u32 v84, vcc_lo, v82, v15
	v_add_co_ci_u32_e32 v85, vcc_lo, v83, v16, vcc_lo
	v_add_co_u32 v17, vcc_lo, v17, v54
	v_add_co_ci_u32_e32 v18, vcc_lo, v18, v55, vcc_lo
	;; [unrolled: 2-line block ×3, first 2 shown]
	v_cmp_gt_i32_e32 vcc_lo, 1, v70
	s_waitcnt vmcnt(15) lgkmcnt(15)
	flat_store_b8 v[84:85], v86 glc slc dlc
	s_waitcnt vmcnt(14) lgkmcnt(15)
	flat_store_b8 v[84:85], v87 offset:32 glc slc dlc
	s_waitcnt vmcnt(13) lgkmcnt(15)
	flat_store_b8 v[84:85], v96 offset:64 glc slc dlc
	s_waitcnt vmcnt(12) lgkmcnt(15)
	flat_store_b8 v[84:85], v97 offset:96 glc slc dlc
	s_waitcnt vmcnt(11) lgkmcnt(15)
	flat_store_b8 v[84:85], v98 offset:128 glc slc dlc
	s_waitcnt vmcnt(10) lgkmcnt(15)
	flat_store_b8 v[84:85], v99 offset:160 glc slc dlc
	s_waitcnt vmcnt(9) lgkmcnt(15)
	flat_store_b8 v[84:85], v100 offset:192 glc slc dlc
	s_waitcnt vmcnt(8) lgkmcnt(15)
	flat_store_b8 v[84:85], v101 offset:224 glc slc dlc
	s_waitcnt vmcnt(7) lgkmcnt(15)
	flat_store_b8 v[84:85], v102 offset:256 glc slc dlc
	s_waitcnt vmcnt(6) lgkmcnt(15)
	flat_store_b8 v[84:85], v103 offset:288 glc slc dlc
	s_waitcnt vmcnt(5) lgkmcnt(15)
	flat_store_b8 v[84:85], v112 offset:320 glc slc dlc
	s_waitcnt vmcnt(4) lgkmcnt(15)
	flat_store_b8 v[84:85], v113 offset:352 glc slc dlc
	s_waitcnt vmcnt(3) lgkmcnt(15)
	flat_store_b8 v[84:85], v114 offset:384 glc slc dlc
	s_waitcnt vmcnt(2) lgkmcnt(15)
	flat_store_b8 v[84:85], v115 offset:416 glc slc dlc
	s_waitcnt vmcnt(1) lgkmcnt(15)
	flat_store_b8 v[84:85], v116 offset:448 glc slc dlc
	s_waitcnt vmcnt(0) lgkmcnt(15)
	flat_store_b8 v[84:85], v117 offset:480 glc slc dlc
	s_or_b32 s20, vcc_lo, s20
	s_delay_alu instid0(SALU_CYCLE_1)
	s_and_not1_b32 exec_lo, exec_lo, s20
	s_cbranch_execnz .LBB4_6405
; %bb.6406:                             ;   in Loop: Header=BB4_6306 Depth=1
	s_or_b32 exec_lo, exec_lo, s20
.LBB4_6407:                             ;   in Loop: Header=BB4_6306 Depth=1
	s_delay_alu instid0(SALU_CYCLE_1) | instskip(SKIP_1) | instid1(VALU_DEP_1)
	s_or_b32 exec_lo, exec_lo, s10
	v_lshlrev_b32_e32 v15, 9, v71
	v_cmp_ne_u32_e32 vcc_lo, v67, v15
	s_and_b32 exec_lo, exec_lo, vcc_lo
	s_cbranch_execz .LBB4_6412
; %bb.6408:                             ;   in Loop: Header=BB4_6306 Depth=1
	v_ashrrev_i32_e32 v16, 31, v69
	v_lshlrev_b32_e32 v17, 5, v70
	s_delay_alu instid0(VALU_DEP_2) | instskip(NEXT) | instid1(VALU_DEP_1)
	v_lshrrev_b32_e32 v16, 27, v16
	v_add_nc_u32_e32 v16, v69, v16
	s_delay_alu instid0(VALU_DEP_1) | instskip(NEXT) | instid1(VALU_DEP_1)
	v_and_b32_e32 v16, 0xffffffe0, v16
	v_sub_nc_u32_e32 v16, v69, v16
	s_delay_alu instid0(VALU_DEP_1) | instskip(NEXT) | instid1(VALU_DEP_1)
	v_sub_nc_u32_e32 v16, v16, v17
	v_add_nc_u32_e32 v18, v15, v16
	s_delay_alu instid0(VALU_DEP_1) | instskip(NEXT) | instid1(VALU_DEP_1)
	v_sub_nc_u32_e32 v17, v67, v18
	v_cmp_lt_i32_e32 vcc_lo, 0, v17
	s_and_b32 exec_lo, exec_lo, vcc_lo
	s_cbranch_execz .LBB4_6412
; %bb.6409:                             ;   in Loop: Header=BB4_6306 Depth=1
	s_cbranch_execnz .LBB4_6705
; %bb.6410:                             ;   in Loop: Header=BB4_6306 Depth=1
	ds_load_b64 v[15:16], v0
	v_add_nc_u32_e32 v18, v18, v68
	s_mov_b32 s20, 0
	s_delay_alu instid0(VALU_DEP_1)
	v_ashrrev_i32_e32 v67, 31, v18
.LBB4_6411:                             ;   Parent Loop BB4_6306 Depth=1
                                        ; =>  This Inner Loop Header: Depth=2
	s_waitcnt lgkmcnt(0)
	v_add_co_u32 v68, vcc_lo, v15, v18
	s_delay_alu instid0(VALU_DEP_2)
	v_add_co_ci_u32_e32 v69, vcc_lo, v16, v67, vcc_lo
	v_sub_nc_u32_e32 v17, v17, v20
	v_add_co_u32 v18, s10, v18, v20
	flat_load_u8 v70, v[68:69] slc dlc
	v_add_co_ci_u32_e64 v67, s10, v67, v64, s10
	v_cmp_gt_i32_e32 vcc_lo, 1, v17
	s_or_b32 s20, vcc_lo, s20
	s_waitcnt vmcnt(0) lgkmcnt(0)
	flat_store_b8 v[68:69], v70 glc slc dlc
	s_and_not1_b32 exec_lo, exec_lo, s20
	s_cbranch_execnz .LBB4_6411
.LBB4_6412:                             ;   in Loop: Header=BB4_6306 Depth=1
	s_or_b32 exec_lo, exec_lo, s11
	v_cmp_ne_u32_e64 s10, 0, v66
.LBB4_6413:                             ;   in Loop: Header=BB4_6306 Depth=1
	s_and_saveexec_b32 s11, s2
	s_cbranch_execz .LBB4_6435
; %bb.6414:                             ;   in Loop: Header=BB4_6306 Depth=1
	s_and_saveexec_b32 s20, s3
	s_delay_alu instid0(SALU_CYCLE_1)
	s_xor_b32 s20, exec_lo, s20
	s_cbranch_execz .LBB4_6432
; %bb.6415:                             ;   in Loop: Header=BB4_6306 Depth=1
	s_and_saveexec_b32 s21, s4
	s_cbranch_execz .LBB4_6431
; %bb.6416:                             ;   in Loop: Header=BB4_6306 Depth=1
	s_mov_b32 s23, exec_lo
	s_mov_b32 s22, exec_lo
	v_mbcnt_lo_u32_b32 v15, s23, 0
	s_waitcnt lgkmcnt(0)
	s_waitcnt_vscnt null, 0x0
	buffer_gl1_inv
	buffer_gl0_inv
	v_cmpx_eq_u32_e32 0, v15
	s_cbranch_execz .LBB4_6418
; %bb.6417:                             ;   in Loop: Header=BB4_6306 Depth=1
	s_bcnt1_i32_b32 s23, s23
	s_delay_alu instid0(SALU_CYCLE_1)
	v_dual_mov_b32 v16, v11 :: v_dual_mov_b32 v15, s23
	ds_add_u64 v0, v[15:16]
	s_cbranch_execnz .LBB4_6695
.LBB4_6418:                             ;   in Loop: Header=BB4_6306 Depth=1
	s_or_b32 exec_lo, exec_lo, s22
	s_cbranch_execnz .LBB4_6681
; %bb.6419:                             ;   in Loop: Header=BB4_6306 Depth=1
	ds_load_b64 v[15:16], v0
	v_add_co_u32 v38, vcc_lo, v38, v19
	v_add_co_ci_u32_e32 v39, vcc_lo, 0, v39, vcc_lo
	s_mov_b32 s22, exec_lo
	s_waitcnt lgkmcnt(0)
	s_delay_alu instid0(VALU_DEP_1)
	v_cmpx_lt_u64_e64 v[15:16], v[38:39]
	s_cbranch_execz .LBB4_6430
; %bb.6420:                             ;   in Loop: Header=BB4_6306 Depth=1
	s_mov_b32 s23, 0
	s_mov_b32 s26, 0
                                        ; implicit-def: $sgpr24
                                        ; implicit-def: $sgpr25
	s_branch .LBB4_6422
.LBB4_6421:                             ;   in Loop: Header=BB4_6422 Depth=2
	s_or_b32 exec_lo, exec_lo, s29
	s_delay_alu instid0(SALU_CYCLE_1) | instskip(NEXT) | instid1(SALU_CYCLE_1)
	s_and_b32 s27, exec_lo, s28
	s_or_b32 s23, s27, s23
	s_and_not1_b32 s24, s24, exec_lo
	s_and_b32 s27, s25, exec_lo
	s_delay_alu instid0(SALU_CYCLE_1)
	s_or_b32 s24, s24, s27
	s_and_not1_b32 exec_lo, exec_lo, s23
	s_cbranch_execz .LBB4_6428
.LBB4_6422:                             ;   Parent Loop BB4_6306 Depth=1
                                        ; =>  This Inner Loop Header: Depth=2
	s_add_i32 s26, s26, 1
                                        ; implicit-def: $sgpr28
	s_delay_alu instid0(SALU_CYCLE_1) | instskip(SKIP_1) | instid1(SALU_CYCLE_1)
	s_cmpk_lg_i32 s26, 0x2710
	s_cselect_b32 s27, -1, 0
	s_and_b32 vcc_lo, exec_lo, s27
	s_cbranch_vccz .LBB4_6426
.LBB4_6423:                             ;   in Loop: Header=BB4_6422 Depth=2
	s_and_not1_b32 s25, s25, exec_lo
	s_and_b32 s29, s28, exec_lo
	s_mov_b32 s28, -1
	s_or_b32 s25, s25, s29
	s_and_saveexec_b32 s29, s27
	s_cbranch_execz .LBB4_6421
; %bb.6424:                             ;   in Loop: Header=BB4_6422 Depth=2
	s_sleep 1
	s_cbranch_execnz .LBB4_6739
; %bb.6425:                             ;   in Loop: Header=BB4_6422 Depth=2
	ds_load_b64 v[15:16], v0
	s_and_not1_b32 s25, s25, exec_lo
	s_waitcnt lgkmcnt(0)
	v_cmp_ge_u64_e32 vcc_lo, v[15:16], v[38:39]
	s_or_not1_b32 s28, vcc_lo, exec_lo
	s_branch .LBB4_6421
.LBB4_6426:                             ;   in Loop: Header=BB4_6422 Depth=2
	s_cbranch_execnz .LBB4_6751
; %bb.6427:                             ;   in Loop: Header=BB4_6422 Depth=2
	ds_load_b64 v[15:16], v0
	s_and_not1_b32 s27, s27, exec_lo
	s_mov_b32 s26, 0
	s_mov_b32 s28, -1
	s_waitcnt lgkmcnt(0)
	flat_load_b32 v15, v[15:16] glc
	s_waitcnt vmcnt(0) lgkmcnt(0)
	buffer_gl1_inv
	buffer_gl0_inv
	v_cmp_eq_u32_e32 vcc_lo, 0, v15
	s_and_b32 s29, vcc_lo, exec_lo
	s_delay_alu instid0(SALU_CYCLE_1)
	s_or_b32 s27, s27, s29
	s_branch .LBB4_6423
.LBB4_6428:                             ;   in Loop: Header=BB4_6306 Depth=1
	s_or_b32 exec_lo, exec_lo, s23
	s_and_saveexec_b32 s23, s24
	s_delay_alu instid0(SALU_CYCLE_1)
	s_xor_b32 s23, exec_lo, s23
	s_cbranch_execz .LBB4_6430
; %bb.6429:                             ;   in Loop: Header=BB4_6306 Depth=1
	ds_store_b32 v0, v65
	s_cbranch_execnz .LBB4_6789
.LBB4_6430:                             ;   in Loop: Header=BB4_6306 Depth=1
	s_or_b32 exec_lo, exec_lo, s22
	;;#ASMSTART
	s_wakeup
	;;#ASMEND
.LBB4_6431:                             ;   in Loop: Header=BB4_6306 Depth=1
	s_or_b32 exec_lo, exec_lo, s21
.LBB4_6432:                             ;   in Loop: Header=BB4_6306 Depth=1
	s_and_not1_saveexec_b32 s20, s20
	s_cbranch_execz .LBB4_6434
; %bb.6433:                             ;   in Loop: Header=BB4_6306 Depth=1
	s_waitcnt lgkmcnt(0)
	s_waitcnt_vscnt null, 0x0
	buffer_gl1_inv
	buffer_gl0_inv
	s_barrier
.LBB4_6434:                             ;   in Loop: Header=BB4_6306 Depth=1
	s_or_b32 exec_lo, exec_lo, s20
.LBB4_6435:                             ;   in Loop: Header=BB4_6306 Depth=1
	s_delay_alu instid0(SALU_CYCLE_1) | instskip(SKIP_1) | instid1(VALU_DEP_1)
	s_or_b32 exec_lo, exec_lo, s11
	v_and_b32_e32 v15, 16, v30
	v_cmp_ne_u32_e32 vcc_lo, 0, v15
	s_and_b32 s11, vcc_lo, s10
	s_delay_alu instid0(SALU_CYCLE_1)
	s_and_saveexec_b32 s10, s11
	s_cbranch_execz .LBB4_6437
; %bb.6436:                             ;   in Loop: Header=BB4_6306 Depth=1
	s_waitcnt lgkmcnt(0)
	s_waitcnt_vscnt null, 0x0
	buffer_gl1_inv
	buffer_gl0_inv
.LBB4_6437:                             ;   in Loop: Header=BB4_6306 Depth=1
	s_or_b32 exec_lo, exec_lo, s10
	s_delay_alu instid0(SALU_CYCLE_1)
	s_mov_b32 s10, exec_lo
	v_cmpx_ne_u32_e32 0, v15
	s_cbranch_execz .LBB4_6441
; %bb.6438:                             ;   in Loop: Header=BB4_6306 Depth=1
	s_and_saveexec_b32 s11, s7
	s_cbranch_execz .LBB4_6440
; %bb.6439:                             ;   in Loop: Header=BB4_6306 Depth=1
	s_waitcnt lgkmcnt(0)
	s_waitcnt_vscnt null, 0x0
	flat_store_b32 v[50:51], v65
.LBB4_6440:                             ;   in Loop: Header=BB4_6306 Depth=1
	s_or_b32 exec_lo, exec_lo, s11
	v_add_co_u32 v8, vcc_lo, v8, 1
	v_add_co_ci_u32_e32 v9, vcc_lo, 0, v9, vcc_lo
	s_waitcnt lgkmcnt(0)
	s_waitcnt_vscnt null, 0x0
	flat_store_b64 v[32:33], v[8:9]
.LBB4_6441:                             ;   in Loop: Header=BB4_6306 Depth=1
	s_or_b32 exec_lo, exec_lo, s10
	v_mov_b32_e32 v17, v10
.LBB4_6442:                             ;   in Loop: Header=BB4_6306 Depth=1
	s_or_b32 exec_lo, exec_lo, s19
	s_and_saveexec_b32 s11, s18
	s_cbranch_execz .LBB4_6497
; %bb.6443:                             ;   in Loop: Header=BB4_6306 Depth=1
	v_and_b32_e32 v15, 8, v30
	s_mov_b32 s18, -1
	s_mov_b32 s10, exec_lo
	s_delay_alu instid0(VALU_DEP_1)
	v_cmpx_ne_u32_e32 0, v15
	s_cbranch_execz .LBB4_6457
; %bb.6444:                             ;   in Loop: Header=BB4_6306 Depth=1
	v_add_co_u32 v66, vcc_lo, v36, 8
	v_add_co_ci_u32_e32 v67, vcc_lo, 0, v37, vcc_lo
	v_add_co_u32 v15, vcc_lo, v8, 1
	v_add_co_ci_u32_e32 v16, vcc_lo, 0, v9, vcc_lo
	v_mov_b32_e32 v18, 1
	s_mov_b32 s18, exec_lo
	s_delay_alu instid0(VALU_DEP_2)
	v_cmpx_lt_u64_e64 v[66:67], v[15:16]
	s_cbranch_execz .LBB4_6456
; %bb.6445:                             ;   in Loop: Header=BB4_6306 Depth=1
	v_mov_b32_e32 v18, 0
	s_mov_b32 s19, 0
                                        ; implicit-def: $sgpr20
	s_branch .LBB4_6449
.LBB4_6446:                             ;   in Loop: Header=BB4_6449 Depth=2
	s_or_b32 exec_lo, exec_lo, s24
	v_mov_b32_e32 v66, 0
	s_or_not1_b32 s23, s23, exec_lo
.LBB4_6447:                             ;   in Loop: Header=BB4_6449 Depth=2
	s_or_b32 exec_lo, exec_lo, s22
	s_delay_alu instid0(VALU_DEP_1) | instskip(SKIP_2) | instid1(SALU_CYCLE_1)
	v_mov_b32_e32 v18, v66
	s_and_not1_b32 s20, s20, exec_lo
	s_and_b32 s22, s23, exec_lo
	s_or_b32 s20, s20, s22
.LBB4_6448:                             ;   in Loop: Header=BB4_6449 Depth=2
	s_or_b32 exec_lo, exec_lo, s21
	s_waitcnt vmcnt(0) lgkmcnt(0)
	v_add_co_u32 v66, vcc_lo, v36, 8
	v_add_co_ci_u32_e32 v67, vcc_lo, 0, v37, vcc_lo
	s_xor_b32 s21, s20, -1
	s_delay_alu instid0(VALU_DEP_1) | instskip(SKIP_1) | instid1(SALU_CYCLE_1)
	v_cmp_ge_u64_e32 vcc_lo, v[66:67], v[15:16]
	s_or_b32 s21, s21, vcc_lo
	s_and_b32 s21, exec_lo, s21
	s_delay_alu instid0(SALU_CYCLE_1) | instskip(NEXT) | instid1(SALU_CYCLE_1)
	s_or_b32 s19, s21, s19
	s_and_not1_b32 exec_lo, exec_lo, s19
	s_cbranch_execz .LBB4_6455
.LBB4_6449:                             ;   Parent Loop BB4_6306 Depth=1
                                        ; =>  This Inner Loop Header: Depth=2
	s_sleep 1
	flat_load_b64 v[36:37], v[32:33] glc
	v_and_b32_e32 v66, 64, v30
	s_and_not1_b32 s20, s20, exec_lo
	s_mov_b32 s21, exec_lo
	s_delay_alu instid0(VALU_DEP_1)
	v_cmpx_eq_u32_e32 0, v66
	s_cbranch_execz .LBB4_6448
; %bb.6450:                             ;   in Loop: Header=BB4_6449 Depth=2
	v_add_nc_u32_e32 v66, 1, v18
	s_mov_b32 s23, -1
	s_mov_b32 s22, exec_lo
	v_cmpx_lt_i32_e32 0x270e, v18
	s_cbranch_execz .LBB4_6447
; %bb.6451:                             ;   in Loop: Header=BB4_6449 Depth=2
	s_cbranch_execnz .LBB4_6586
; %bb.6452:                             ;   in Loop: Header=BB4_6449 Depth=2
	ds_load_b64 v[66:67], v0
	s_mov_b32 s24, exec_lo
	s_waitcnt vmcnt(0) lgkmcnt(0)
	s_waitcnt_vscnt null, 0x0
	flat_load_b32 v18, v[66:67] glc
	s_waitcnt vmcnt(0) lgkmcnt(0)
	buffer_gl1_inv
	buffer_gl0_inv
	v_cmpx_ne_u32_e32 0, v18
	s_cbranch_execz .LBB4_6446
; %bb.6453:                             ;   in Loop: Header=BB4_6449 Depth=2
	ds_store_b32 v0, v18
	s_cbranch_execnz .LBB4_6623
; %bb.6454:                             ;   in Loop: Header=BB4_6449 Depth=2
	v_or_b32_e32 v30, 64, v30
	s_xor_b32 s23, exec_lo, -1
	s_branch .LBB4_6446
.LBB4_6455:                             ;   in Loop: Header=BB4_6306 Depth=1
	s_or_b32 exec_lo, exec_lo, s19
	v_and_b32_e32 v18, 8, v30
.LBB4_6456:                             ;   in Loop: Header=BB4_6306 Depth=1
	s_or_b32 exec_lo, exec_lo, s18
	s_delay_alu instid0(VALU_DEP_1)
	v_cmp_eq_u32_e32 vcc_lo, 0, v18
	;;#ASMSTART
	s_wakeup
	;;#ASMEND
	s_or_not1_b32 s18, vcc_lo, exec_lo
.LBB4_6457:                             ;   in Loop: Header=BB4_6306 Depth=1
	s_or_b32 exec_lo, exec_lo, s10
	v_sub_nc_u32_e32 v14, v14, v17
	s_xor_b32 s10, s18, -1
	s_delay_alu instid0(VALU_DEP_1)
	v_min_i32_e32 v14, v10, v14
	s_and_saveexec_b32 s18, s10
	s_cbranch_execz .LBB4_6467
; %bb.6458:                             ;   in Loop: Header=BB4_6306 Depth=1
	v_and_b32_e32 v10, 0x100, v30
	s_mov_b32 s10, -1
                                        ; implicit-def: $vgpr15_vgpr16
	s_delay_alu instid0(VALU_DEP_1)
	v_cmp_ne_u32_e32 vcc_lo, 0, v10
	v_and_b32_e32 v10, 7, v8
	s_and_saveexec_b32 s19, vcc_lo
	s_cbranch_execz .LBB4_6462
; %bb.6459:                             ;   in Loop: Header=BB4_6306 Depth=1
	s_delay_alu instid0(VALU_DEP_1)
	v_mad_u64_u32 v[17:18], null, v10, 24, v[6:7]
	v_ashrrev_i32_e32 v15, 31, v14
	flat_load_b32 v16, v[17:18]
	flat_store_b64 v[17:18], v[14:15] offset:8
	s_waitcnt vmcnt(0) lgkmcnt(1)
	v_cmp_ne_u32_e32 vcc_lo, 1, v16
	v_cmp_eq_u32_e64 s10, 1, v16
                                        ; implicit-def: $vgpr15_vgpr16
	s_delay_alu instid0(VALU_DEP_1)
	s_and_saveexec_b32 s20, s10
	s_cbranch_execz .LBB4_6461
; %bb.6460:                             ;   in Loop: Header=BB4_6306 Depth=1
	flat_load_b32 v15, v[17:18] offset:4 glc
	s_waitcnt vmcnt(0) lgkmcnt(0)
	v_ashrrev_i32_e32 v16, 31, v15
.LBB4_6461:                             ;   in Loop: Header=BB4_6306 Depth=1
	s_or_b32 exec_lo, exec_lo, s20
	s_delay_alu instid0(SALU_CYCLE_1)
	s_or_not1_b32 s10, vcc_lo, exec_lo
.LBB4_6462:                             ;   in Loop: Header=BB4_6306 Depth=1
	s_or_b32 exec_lo, exec_lo, s19
	s_and_saveexec_b32 s19, s10
; %bb.6463:                             ;   in Loop: Header=BB4_6306 Depth=1
	v_mad_i64_i32 v[15:16], null, v10, v81, 0
; %bb.6464:                             ;   in Loop: Header=BB4_6306 Depth=1
	s_or_b32 exec_lo, exec_lo, s19
	s_delay_alu instid0(VALU_DEP_1) | instskip(SKIP_1) | instid1(VALU_DEP_3)
	v_add_co_u32 v15, vcc_lo, v34, v15
	v_and_b32_e32 v10, 0x2000, v30
	v_add_co_ci_u32_e32 v16, vcc_lo, v35, v16, vcc_lo
	s_mov_b32 s10, exec_lo
	ds_store_b64 v0, v[15:16] offset:784
	v_cmpx_ne_u32_e32 0, v10
	s_cbranch_execz .LBB4_6466
; %bb.6465:                             ;   in Loop: Header=BB4_6306 Depth=1
	ds_load_b64 v[15:16], v0 offset:584
	s_waitcnt lgkmcnt(0)
	v_add_co_u32 v15, vcc_lo, v15, 1
	v_add_co_ci_u32_e32 v16, vcc_lo, 0, v16, vcc_lo
	ds_store_b64 v0, v[15:16] offset:584
.LBB4_6466:                             ;   in Loop: Header=BB4_6306 Depth=1
	s_or_b32 exec_lo, exec_lo, s10
	v_add_co_u32 v8, vcc_lo, v8, 1
	v_add_co_ci_u32_e32 v9, vcc_lo, 0, v9, vcc_lo
.LBB4_6467:                             ;   in Loop: Header=BB4_6306 Depth=1
	s_or_b32 exec_lo, exec_lo, s18
	s_and_saveexec_b32 s10, s2
	s_cbranch_execz .LBB4_6489
; %bb.6468:                             ;   in Loop: Header=BB4_6306 Depth=1
	s_and_saveexec_b32 s18, s3
	s_delay_alu instid0(SALU_CYCLE_1)
	s_xor_b32 s18, exec_lo, s18
	s_cbranch_execz .LBB4_6486
; %bb.6469:                             ;   in Loop: Header=BB4_6306 Depth=1
	s_and_saveexec_b32 s19, s4
	s_cbranch_execz .LBB4_6485
; %bb.6470:                             ;   in Loop: Header=BB4_6306 Depth=1
	s_mov_b32 s21, exec_lo
	s_mov_b32 s20, exec_lo
	v_mbcnt_lo_u32_b32 v10, s21, 0
	s_waitcnt lgkmcnt(0)
	s_waitcnt_vscnt null, 0x0
	buffer_gl1_inv
	buffer_gl0_inv
	v_cmpx_eq_u32_e32 0, v10
	s_cbranch_execz .LBB4_6472
; %bb.6471:                             ;   in Loop: Header=BB4_6306 Depth=1
	s_bcnt1_i32_b32 s21, s21
	s_delay_alu instid0(SALU_CYCLE_1)
	v_mov_b32_e32 v10, s21
	ds_add_u64 v0, v[10:11]
	s_cbranch_execnz .LBB4_6643
.LBB4_6472:                             ;   in Loop: Header=BB4_6306 Depth=1
	s_or_b32 exec_lo, exec_lo, s20
	s_cbranch_execnz .LBB4_6627
; %bb.6473:                             ;   in Loop: Header=BB4_6306 Depth=1
	ds_load_b64 v[15:16], v0
	v_add_co_u32 v38, vcc_lo, v38, v19
	v_add_co_ci_u32_e32 v39, vcc_lo, 0, v39, vcc_lo
	s_mov_b32 s20, exec_lo
	s_waitcnt lgkmcnt(0)
	s_delay_alu instid0(VALU_DEP_1)
	v_cmpx_lt_u64_e64 v[15:16], v[38:39]
	s_cbranch_execz .LBB4_6484
; %bb.6474:                             ;   in Loop: Header=BB4_6306 Depth=1
	s_mov_b32 s21, 0
	s_mov_b32 s24, 0
                                        ; implicit-def: $sgpr22
                                        ; implicit-def: $sgpr23
	s_branch .LBB4_6476
.LBB4_6475:                             ;   in Loop: Header=BB4_6476 Depth=2
	s_or_b32 exec_lo, exec_lo, s27
	s_delay_alu instid0(SALU_CYCLE_1) | instskip(NEXT) | instid1(SALU_CYCLE_1)
	s_and_b32 s25, exec_lo, s26
	s_or_b32 s21, s25, s21
	s_and_not1_b32 s22, s22, exec_lo
	s_and_b32 s25, s23, exec_lo
	s_delay_alu instid0(SALU_CYCLE_1)
	s_or_b32 s22, s22, s25
	s_and_not1_b32 exec_lo, exec_lo, s21
	s_cbranch_execz .LBB4_6482
.LBB4_6476:                             ;   Parent Loop BB4_6306 Depth=1
                                        ; =>  This Inner Loop Header: Depth=2
	s_add_i32 s24, s24, 1
                                        ; implicit-def: $sgpr26
	s_delay_alu instid0(SALU_CYCLE_1) | instskip(SKIP_1) | instid1(SALU_CYCLE_1)
	s_cmpk_lg_i32 s24, 0x2710
	s_cselect_b32 s25, -1, 0
	s_and_b32 vcc_lo, exec_lo, s25
	s_cbranch_vccz .LBB4_6480
.LBB4_6477:                             ;   in Loop: Header=BB4_6476 Depth=2
	s_and_not1_b32 s23, s23, exec_lo
	s_and_b32 s27, s26, exec_lo
	s_mov_b32 s26, -1
	s_or_b32 s23, s23, s27
	s_and_saveexec_b32 s27, s25
	s_cbranch_execz .LBB4_6475
; %bb.6478:                             ;   in Loop: Header=BB4_6476 Depth=2
	s_sleep 1
	s_cbranch_execnz .LBB4_6679
; %bb.6479:                             ;   in Loop: Header=BB4_6476 Depth=2
	ds_load_b64 v[15:16], v0
	s_and_not1_b32 s23, s23, exec_lo
	s_waitcnt lgkmcnt(0)
	v_cmp_ge_u64_e32 vcc_lo, v[15:16], v[38:39]
	s_or_not1_b32 s26, vcc_lo, exec_lo
	s_branch .LBB4_6475
.LBB4_6480:                             ;   in Loop: Header=BB4_6476 Depth=2
	s_cbranch_execnz .LBB4_6683
; %bb.6481:                             ;   in Loop: Header=BB4_6476 Depth=2
	ds_load_b64 v[15:16], v0
	s_and_not1_b32 s25, s25, exec_lo
	s_mov_b32 s24, 0
	s_mov_b32 s26, -1
	s_waitcnt lgkmcnt(0)
	flat_load_b32 v10, v[15:16] glc
	s_waitcnt vmcnt(0) lgkmcnt(0)
	buffer_gl1_inv
	buffer_gl0_inv
	v_cmp_eq_u32_e32 vcc_lo, 0, v10
	s_and_b32 s27, vcc_lo, exec_lo
	s_delay_alu instid0(SALU_CYCLE_1)
	s_or_b32 s25, s25, s27
	s_branch .LBB4_6477
.LBB4_6482:                             ;   in Loop: Header=BB4_6306 Depth=1
	s_or_b32 exec_lo, exec_lo, s21
	s_and_saveexec_b32 s21, s22
	s_delay_alu instid0(SALU_CYCLE_1)
	s_xor_b32 s21, exec_lo, s21
	s_cbranch_execz .LBB4_6484
; %bb.6483:                             ;   in Loop: Header=BB4_6306 Depth=1
	ds_store_b32 v0, v65
	s_cbranch_execnz .LBB4_6773
.LBB4_6484:                             ;   in Loop: Header=BB4_6306 Depth=1
	s_or_b32 exec_lo, exec_lo, s20
	;;#ASMSTART
	s_wakeup
	;;#ASMEND
.LBB4_6485:                             ;   in Loop: Header=BB4_6306 Depth=1
	s_or_b32 exec_lo, exec_lo, s19
.LBB4_6486:                             ;   in Loop: Header=BB4_6306 Depth=1
	s_and_not1_saveexec_b32 s18, s18
	s_cbranch_execz .LBB4_6488
; %bb.6487:                             ;   in Loop: Header=BB4_6306 Depth=1
	s_waitcnt lgkmcnt(0)
	s_waitcnt_vscnt null, 0x0
	buffer_gl1_inv
	buffer_gl0_inv
	s_barrier
.LBB4_6488:                             ;   in Loop: Header=BB4_6306 Depth=1
	s_or_b32 exec_lo, exec_lo, s18
.LBB4_6489:                             ;   in Loop: Header=BB4_6306 Depth=1
	s_delay_alu instid0(SALU_CYCLE_1)
	s_or_b32 exec_lo, exec_lo, s10
	s_cbranch_execnz .LBB4_6572
; %bb.6490:                             ;   in Loop: Header=BB4_6306 Depth=1
	ds_load_b32 v10, v0
	v_cmp_lt_i32_e32 vcc_lo, 0, v14
	s_waitcnt lgkmcnt(0)
	v_readfirstlane_b32 s10, v10
	v_and_b32_e32 v10, 16, v30
	s_delay_alu instid0(VALU_DEP_2) | instskip(NEXT) | instid1(VALU_DEP_1)
	s_cmp_eq_u32 s10, 0
	v_cmp_ne_u32_e64 s10, 0, v10
	s_cselect_b32 s18, -1, 0
	s_delay_alu instid0(SALU_CYCLE_1)
	s_and_b32 s18, vcc_lo, s18
	s_delay_alu instid0(VALU_DEP_1) | instid1(SALU_CYCLE_1)
	s_and_b32 s18, s10, s18
	s_delay_alu instid0(SALU_CYCLE_1)
	s_and_saveexec_b32 s10, s18
	s_cbranch_execz .LBB4_6492
; %bb.6491:                             ;   in Loop: Header=BB4_6306 Depth=1
	s_waitcnt_vscnt null, 0x0
	buffer_gl1_inv
	buffer_gl0_inv
.LBB4_6492:                             ;   in Loop: Header=BB4_6306 Depth=1
	s_or_b32 exec_lo, exec_lo, s10
	s_delay_alu instid0(SALU_CYCLE_1)
	s_mov_b32 s10, exec_lo
	v_cmpx_ne_u32_e32 0, v10
	s_cbranch_execz .LBB4_6496
; %bb.6493:                             ;   in Loop: Header=BB4_6306 Depth=1
	s_and_saveexec_b32 s18, s7
	s_cbranch_execz .LBB4_6495
; %bb.6494:                             ;   in Loop: Header=BB4_6306 Depth=1
	s_waitcnt_vscnt null, 0x0
	flat_store_b32 v[50:51], v65
.LBB4_6495:                             ;   in Loop: Header=BB4_6306 Depth=1
	s_or_b32 exec_lo, exec_lo, s18
	v_add_co_u32 v8, vcc_lo, v8, 1
	v_add_co_ci_u32_e32 v9, vcc_lo, 0, v9, vcc_lo
	s_waitcnt lgkmcnt(0)
	s_waitcnt_vscnt null, 0x0
	flat_store_b64 v[32:33], v[8:9]
.LBB4_6496:                             ;   in Loop: Header=BB4_6306 Depth=1
	s_or_b32 exec_lo, exec_lo, s10
.LBB4_6497:                             ;   in Loop: Header=BB4_6306 Depth=1
	s_delay_alu instid0(SALU_CYCLE_1) | instskip(SKIP_2) | instid1(VALU_DEP_1)
	s_or_b32 exec_lo, exec_lo, s11
	v_add_co_u32 v12, vcc_lo, v12, v48
	v_add_co_ci_u32_e32 v13, vcc_lo, 0, v13, vcc_lo
	v_cmp_ge_u64_e32 vcc_lo, v[12:13], v[4:5]
	s_or_b32 s14, vcc_lo, s14
	s_delay_alu instid0(SALU_CYCLE_1)
	s_and_not1_b32 exec_lo, exec_lo, s14
	s_cbranch_execnz .LBB4_6306
; %bb.6498:
	s_or_b32 exec_lo, exec_lo, s14
.LBB4_6499:
	s_delay_alu instid0(SALU_CYCLE_1)
	s_or_b32 exec_lo, exec_lo, s15
.LBB4_6500:
	s_delay_alu instid0(SALU_CYCLE_1) | instskip(SKIP_2) | instid1(VALU_DEP_1)
	s_or_b32 exec_lo, exec_lo, s12
	v_and_b32_e32 v0, 0x800, v30
	s_mov_b32 s0, exec_lo
	v_cmpx_eq_u32_e32 0, v0
	s_cbranch_execz .LBB4_6715
; %bb.6501:
	v_and_b32_e32 v0, 48, v30
	s_mov_b32 s1, exec_lo
	s_delay_alu instid0(VALU_DEP_1)
	v_cmpx_ne_u32_e32 0, v0
	s_cbranch_execz .LBB4_6503
; %bb.6502:
	s_waitcnt lgkmcnt(0)
	flat_store_b64 v[28:29], v[8:9] offset:104
.LBB4_6503:
	s_or_b32 exec_lo, exec_lo, s1
	v_and_b32_e32 v0, 0x88, v30
	s_mov_b32 s1, exec_lo
	s_delay_alu instid0(VALU_DEP_1)
	v_cmpx_eq_u32_e32 0x88, v0
	s_cbranch_execz .LBB4_6553
; %bb.6504:
	s_waitcnt lgkmcnt(0)
	v_add_nc_u32_e32 v0, -1, v8
	s_mov_b32 s2, 0
                                        ; implicit-def: $sgpr3
	s_delay_alu instid0(VALU_DEP_1) | instskip(NEXT) | instid1(VALU_DEP_1)
	v_and_b32_e32 v0, 7, v0
	v_mad_u64_u32 v[4:5], null, v0, 24, v[6:7]
	v_mov_b32_e32 v0, 0
	s_delay_alu instid0(VALU_DEP_2) | instskip(NEXT) | instid1(VALU_DEP_3)
	v_add_co_u32 v4, vcc_lo, v4, 8
	v_add_co_ci_u32_e32 v5, vcc_lo, 0, v5, vcc_lo
	s_branch .LBB4_6537
.LBB4_6505:
	s_trap 2
	s_sendmsg_rtn_b32 s0, sendmsg(MSG_RTN_GET_DOORBELL)
	s_mov_b32 ttmp2, m0
	s_waitcnt lgkmcnt(0)
	s_and_b32 s0, s0, 0x3ff
	s_delay_alu instid0(SALU_CYCLE_1) | instskip(NEXT) | instid1(SALU_CYCLE_1)
	s_bitset1_b32 s0, 10
	s_mov_b32 m0, s0
	s_sendmsg sendmsg(MSG_INTERRUPT)
	s_mov_b32 m0, ttmp2
.LBB4_6506:                             ; =>This Inner Loop Header: Depth=1
	s_sethalt 5
	s_branch .LBB4_6506
.LBB4_6507:
	v_bfe_u32 v10, v6, 8, 8
	v_not_b32_e32 v8, v8
	s_mov_b32 s1, exec_lo
                                        ; implicit-def: $vgpr17_vgpr18
                                        ; implicit-def: $vgpr4_vgpr5
                                        ; implicit-def: $vgpr26_vgpr27
	s_delay_alu instid0(VALU_DEP_2)
	v_cmpx_ne_u32_e64 v10, v9
	s_xor_b32 s1, exec_lo, s1
	s_cbranch_execz .LBB4_6509
; %bb.6508:
	s_clause 0x1
	flat_load_b128 v[4:7], v[2:3] offset:72
	flat_load_b64 v[10:11], v[2:3] offset:96
	v_add_nc_u32_e32 v8, v9, v8
	s_delay_alu instid0(VALU_DEP_1) | instskip(SKIP_1) | instid1(VALU_DEP_1)
	v_ashrrev_i32_e32 v9, 31, v8
	s_waitcnt vmcnt(1) lgkmcnt(1)
	v_mul_lo_u32 v9, v6, v9
	v_mad_u64_u32 v[26:27], null, v6, v8, v[4:5]
	v_mul_lo_u32 v4, v7, v8
	s_waitcnt vmcnt(0) lgkmcnt(0)
	v_lshrrev_b64 v[17:18], 12, v[10:11]
                                        ; implicit-def: $vgpr10
                                        ; implicit-def: $vgpr8
	s_delay_alu instid0(VALU_DEP_2)
	v_add3_u32 v27, v4, v27, v9
	v_dual_mov_b32 v4, v6 :: v_dual_mov_b32 v5, v7
.LBB4_6509:
	s_and_not1_saveexec_b32 s1, s1
	s_cbranch_execz .LBB4_6511
; %bb.6510:
	s_clause 0x1
	flat_load_b128 v[17:20], v[2:3] offset:72
	flat_load_b128 v[4:7], v[2:3] offset:88
	s_waitcnt vmcnt(0) lgkmcnt(0)
	v_add_nc_u32_e32 v6, v10, v8
	s_delay_alu instid0(VALU_DEP_1) | instskip(NEXT) | instid1(VALU_DEP_1)
	v_ashrrev_i32_e32 v8, 31, v6
	v_mul_lo_u32 v8, v19, v8
	v_mad_u64_u32 v[26:27], null, v19, v6, v[17:18]
	v_mul_lo_u32 v6, v20, v6
	v_lshrrev_b32_e32 v17, 1, v7
	s_delay_alu instid0(VALU_DEP_2)
	v_add3_u32 v27, v6, v27, v8
.LBB4_6511:
	s_or_b32 exec_lo, exec_lo, s1
	s_and_not1_saveexec_b32 s0, s0
	s_cbranch_execnz .LBB4_6512
; %bb.6869:
	s_getpc_b64 s[34:35]
.Lpost_getpc74:
	s_add_u32 s34, s34, (.LBB4_3-.Lpost_getpc74)&4294967295
	s_addc_u32 s35, s35, (.LBB4_3-.Lpost_getpc74)>>32
	s_setpc_b64 s[34:35]
.LBB4_6512:
	s_clause 0x1
	flat_load_b64 v[6:7], v[2:3] offset:96
	flat_load_b64 v[4:5], v[2:3] offset:72
	v_mov_b32_e32 v26, 0
	v_mov_b32_e32 v27, 0
	s_waitcnt vmcnt(1) lgkmcnt(1)
	v_lshlrev_b64 v[17:18], 9, v[6:7]
	s_or_b32 exec_lo, exec_lo, s0
	s_cbranch_execnz .LBB4_6513
; %bb.6871:
	s_getpc_b64 s[34:35]
.Lpost_getpc75:
	s_add_u32 s34, s34, (.LBB4_4-.Lpost_getpc75)&4294967295
	s_addc_u32 s35, s35, (.LBB4_4-.Lpost_getpc75)>>32
	s_setpc_b64 s[34:35]
.LBB4_6513:
	s_trap 2
	s_sendmsg_rtn_b32 s0, sendmsg(MSG_RTN_GET_DOORBELL)
	s_mov_b32 ttmp2, m0
	s_waitcnt lgkmcnt(0)
	s_and_b32 s0, s0, 0x3ff
	s_delay_alu instid0(SALU_CYCLE_1) | instskip(NEXT) | instid1(SALU_CYCLE_1)
	s_bitset1_b32 s0, 10
	s_mov_b32 m0, s0
	s_sendmsg sendmsg(MSG_INTERRUPT)
	s_mov_b32 m0, ttmp2
.LBB4_6514:                             ; =>This Inner Loop Header: Depth=1
	s_sethalt 5
	s_branch .LBB4_6514
.LBB4_6515:
	s_trap 2
	s_sendmsg_rtn_b32 s0, sendmsg(MSG_RTN_GET_DOORBELL)
	s_mov_b32 ttmp2, m0
	s_waitcnt lgkmcnt(0)
	s_and_b32 s0, s0, 0x3ff
	s_delay_alu instid0(SALU_CYCLE_1) | instskip(NEXT) | instid1(SALU_CYCLE_1)
	s_bitset1_b32 s0, 10
	s_mov_b32 m0, s0
	s_sendmsg sendmsg(MSG_INTERRUPT)
	s_mov_b32 m0, ttmp2
.LBB4_6516:                             ; =>This Inner Loop Header: Depth=1
	s_sethalt 5
	s_branch .LBB4_6516
.LBB4_6517:
	s_trap 2
	s_sendmsg_rtn_b32 s0, sendmsg(MSG_RTN_GET_DOORBELL)
	s_mov_b32 ttmp2, m0
	s_waitcnt lgkmcnt(0)
	s_and_b32 s0, s0, 0x3ff
	s_delay_alu instid0(SALU_CYCLE_1) | instskip(NEXT) | instid1(SALU_CYCLE_1)
	s_bitset1_b32 s0, 10
	s_mov_b32 m0, s0
	s_sendmsg sendmsg(MSG_INTERRUPT)
	s_mov_b32 m0, ttmp2
.LBB4_6518:                             ; =>This Inner Loop Header: Depth=1
	s_sethalt 5
	s_branch .LBB4_6518
.LBB4_6519:
	s_trap 2
	s_sendmsg_rtn_b32 s0, sendmsg(MSG_RTN_GET_DOORBELL)
	s_mov_b32 ttmp2, m0
	s_waitcnt lgkmcnt(0)
	s_and_b32 s0, s0, 0x3ff
	s_delay_alu instid0(SALU_CYCLE_1) | instskip(NEXT) | instid1(SALU_CYCLE_1)
	s_bitset1_b32 s0, 10
	s_mov_b32 m0, s0
	s_sendmsg sendmsg(MSG_INTERRUPT)
	s_mov_b32 m0, ttmp2
.LBB4_6520:                             ; =>This Inner Loop Header: Depth=1
	s_sethalt 5
	s_branch .LBB4_6520
.LBB4_6521:
	s_trap 2
	s_sendmsg_rtn_b32 s0, sendmsg(MSG_RTN_GET_DOORBELL)
	s_mov_b32 ttmp2, m0
	s_waitcnt lgkmcnt(0)
	s_and_b32 s0, s0, 0x3ff
	s_delay_alu instid0(SALU_CYCLE_1) | instskip(NEXT) | instid1(SALU_CYCLE_1)
	s_bitset1_b32 s0, 10
	s_mov_b32 m0, s0
	s_sendmsg sendmsg(MSG_INTERRUPT)
	s_mov_b32 m0, ttmp2
.LBB4_6522:                             ; =>This Inner Loop Header: Depth=1
	s_sethalt 5
	s_branch .LBB4_6522
.LBB4_6523:
	s_trap 2
	s_sendmsg_rtn_b32 s0, sendmsg(MSG_RTN_GET_DOORBELL)
	s_mov_b32 ttmp2, m0
	s_waitcnt lgkmcnt(0)
	s_and_b32 s0, s0, 0x3ff
	s_delay_alu instid0(SALU_CYCLE_1) | instskip(NEXT) | instid1(SALU_CYCLE_1)
	s_bitset1_b32 s0, 10
	s_mov_b32 m0, s0
	s_sendmsg sendmsg(MSG_INTERRUPT)
	s_mov_b32 m0, ttmp2
.LBB4_6524:                             ; =>This Inner Loop Header: Depth=1
	s_sethalt 5
	s_branch .LBB4_6524
.LBB4_6525:
	s_trap 2
	s_sendmsg_rtn_b32 s0, sendmsg(MSG_RTN_GET_DOORBELL)
	s_mov_b32 ttmp2, m0
	s_waitcnt lgkmcnt(0)
	s_and_b32 s0, s0, 0x3ff
	s_delay_alu instid0(SALU_CYCLE_1) | instskip(NEXT) | instid1(SALU_CYCLE_1)
	s_bitset1_b32 s0, 10
	s_mov_b32 m0, s0
	s_sendmsg sendmsg(MSG_INTERRUPT)
	s_mov_b32 m0, ttmp2
.LBB4_6526:                             ; =>This Inner Loop Header: Depth=1
	s_sethalt 5
	s_branch .LBB4_6526
.LBB4_6527:
	s_trap 2
	s_sendmsg_rtn_b32 s0, sendmsg(MSG_RTN_GET_DOORBELL)
	s_mov_b32 ttmp2, m0
	s_waitcnt lgkmcnt(0)
	s_and_b32 s0, s0, 0x3ff
	s_delay_alu instid0(SALU_CYCLE_1) | instskip(NEXT) | instid1(SALU_CYCLE_1)
	s_bitset1_b32 s0, 10
	s_mov_b32 m0, s0
	s_sendmsg sendmsg(MSG_INTERRUPT)
	s_mov_b32 m0, ttmp2
.LBB4_6528:                             ; =>This Inner Loop Header: Depth=1
	s_sethalt 5
	s_branch .LBB4_6528
.LBB4_6529:
	s_trap 2
	s_sendmsg_rtn_b32 s0, sendmsg(MSG_RTN_GET_DOORBELL)
	s_mov_b32 ttmp2, m0
	s_waitcnt lgkmcnt(0)
	s_and_b32 s0, s0, 0x3ff
	s_delay_alu instid0(SALU_CYCLE_1) | instskip(NEXT) | instid1(SALU_CYCLE_1)
	s_bitset1_b32 s0, 10
	s_mov_b32 m0, s0
	s_sendmsg sendmsg(MSG_INTERRUPT)
	s_mov_b32 m0, ttmp2
.LBB4_6530:                             ; =>This Inner Loop Header: Depth=1
	s_sethalt 5
	s_branch .LBB4_6530
.LBB4_6531:
	s_trap 2
	s_sendmsg_rtn_b32 s0, sendmsg(MSG_RTN_GET_DOORBELL)
	s_mov_b32 ttmp2, m0
	s_waitcnt lgkmcnt(0)
	s_and_b32 s0, s0, 0x3ff
	s_delay_alu instid0(SALU_CYCLE_1) | instskip(NEXT) | instid1(SALU_CYCLE_1)
	s_bitset1_b32 s0, 10
	s_mov_b32 m0, s0
	s_sendmsg sendmsg(MSG_INTERRUPT)
	s_mov_b32 m0, ttmp2
.LBB4_6532:                             ; =>This Inner Loop Header: Depth=1
	s_sethalt 5
	s_branch .LBB4_6532
.LBB4_6533:                             ;   in Loop: Header=BB4_6537 Depth=1
	s_or_b32 exec_lo, exec_lo, s10
	v_mov_b32_e32 v6, 0
	s_or_not1_b32 s7, s7, exec_lo
.LBB4_6534:                             ;   in Loop: Header=BB4_6537 Depth=1
	s_or_b32 exec_lo, exec_lo, s6
	s_delay_alu instid0(VALU_DEP_1)
	v_mov_b32_e32 v0, v6
	s_and_b32 s6, s7, exec_lo
.LBB4_6535:                             ;   in Loop: Header=BB4_6537 Depth=1
	s_or_b32 exec_lo, exec_lo, s5
	s_xor_b32 s5, s6, -1
	s_and_not1_b32 s3, s3, exec_lo
	s_and_b32 s5, s5, exec_lo
	s_delay_alu instid0(SALU_CYCLE_1)
	s_or_b32 s3, s3, s5
.LBB4_6536:                             ;   in Loop: Header=BB4_6537 Depth=1
	s_or_b32 exec_lo, exec_lo, s4
	s_delay_alu instid0(SALU_CYCLE_1) | instskip(NEXT) | instid1(SALU_CYCLE_1)
	s_and_b32 s4, exec_lo, s3
	s_or_b32 s2, s4, s2
	s_delay_alu instid0(SALU_CYCLE_1)
	s_and_not1_b32 exec_lo, exec_lo, s2
	s_cbranch_execz .LBB4_6552
.LBB4_6537:                             ; =>This Inner Loop Header: Depth=1
	flat_load_b64 v[6:7], v[4:5] glc dlc
	s_waitcnt vmcnt(0)
	s_or_b32 s3, s3, exec_lo
	s_mov_b32 s4, exec_lo
	s_waitcnt lgkmcnt(0)
	v_cmpx_ne_u64_e32 -1, v[6:7]
	s_cbranch_execz .LBB4_6536
; %bb.6538:                             ;   in Loop: Header=BB4_6537 Depth=1
	v_and_b32_e32 v6, 64, v30
	s_mov_b32 s6, 0
	s_mov_b32 s5, exec_lo
	s_delay_alu instid0(VALU_DEP_1)
	v_cmpx_eq_u32_e32 0, v6
	s_cbranch_execz .LBB4_6535
; %bb.6539:                             ;   in Loop: Header=BB4_6537 Depth=1
	v_add_nc_u32_e32 v6, 1, v0
	s_mov_b32 s7, -1
	s_mov_b32 s6, exec_lo
	v_cmpx_lt_i32_e32 0x270e, v0
	s_cbranch_execz .LBB4_6534
; %bb.6540:                             ;   in Loop: Header=BB4_6537 Depth=1
	s_cbranch_execnz .LBB4_6544
; %bb.6541:                             ;   in Loop: Header=BB4_6537 Depth=1
	ds_load_b64 v[6:7], v0
	s_mov_b32 s10, exec_lo
	s_waitcnt lgkmcnt(0)
	s_waitcnt_vscnt null, 0x0
	flat_load_b32 v0, v[6:7] glc
	s_waitcnt vmcnt(0) lgkmcnt(0)
	buffer_gl1_inv
	buffer_gl0_inv
	v_cmpx_ne_u32_e32 0, v0
	s_cbranch_execz .LBB4_6533
; %bb.6542:                             ;   in Loop: Header=BB4_6537 Depth=1
	ds_store_b32 v0, v0
	s_cbranch_execnz .LBB4_6566
; %bb.6543:                             ;   in Loop: Header=BB4_6537 Depth=1
	v_or_b32_e32 v30, 64, v30
	s_xor_b32 s7, exec_lo, -1
	s_branch .LBB4_6533
.LBB4_6544:
	s_trap 2
	s_sendmsg_rtn_b32 s0, sendmsg(MSG_RTN_GET_DOORBELL)
	s_mov_b32 ttmp2, m0
	s_waitcnt lgkmcnt(0)
	s_and_b32 s0, s0, 0x3ff
	s_delay_alu instid0(SALU_CYCLE_1) | instskip(NEXT) | instid1(SALU_CYCLE_1)
	s_bitset1_b32 s0, 10
	s_mov_b32 m0, s0
	s_sendmsg sendmsg(MSG_INTERRUPT)
	s_mov_b32 m0, ttmp2
.LBB4_6545:                             ; =>This Inner Loop Header: Depth=1
	s_sethalt 5
	s_branch .LBB4_6545
.LBB4_6546:
	s_trap 2
	s_sendmsg_rtn_b32 s0, sendmsg(MSG_RTN_GET_DOORBELL)
	s_mov_b32 ttmp2, m0
	s_waitcnt lgkmcnt(0)
	s_and_b32 s0, s0, 0x3ff
	s_delay_alu instid0(SALU_CYCLE_1) | instskip(NEXT) | instid1(SALU_CYCLE_1)
	s_bitset1_b32 s0, 10
	s_mov_b32 m0, s0
	s_sendmsg sendmsg(MSG_INTERRUPT)
	s_mov_b32 m0, ttmp2
.LBB4_6547:                             ; =>This Inner Loop Header: Depth=1
	s_sethalt 5
	s_branch .LBB4_6547
.LBB4_6548:
	s_trap 2
	s_sendmsg_rtn_b32 s0, sendmsg(MSG_RTN_GET_DOORBELL)
	s_mov_b32 ttmp2, m0
	s_waitcnt lgkmcnt(0)
	s_and_b32 s0, s0, 0x3ff
	s_delay_alu instid0(SALU_CYCLE_1) | instskip(NEXT) | instid1(SALU_CYCLE_1)
	s_bitset1_b32 s0, 10
	s_mov_b32 m0, s0
	s_sendmsg sendmsg(MSG_INTERRUPT)
	s_mov_b32 m0, ttmp2
.LBB4_6549:                             ; =>This Inner Loop Header: Depth=1
	s_sethalt 5
	s_branch .LBB4_6549
.LBB4_6550:
	s_trap 2
	s_sendmsg_rtn_b32 s0, sendmsg(MSG_RTN_GET_DOORBELL)
	s_mov_b32 ttmp2, m0
	s_waitcnt lgkmcnt(0)
	s_and_b32 s0, s0, 0x3ff
	s_delay_alu instid0(SALU_CYCLE_1) | instskip(NEXT) | instid1(SALU_CYCLE_1)
	s_bitset1_b32 s0, 10
	s_mov_b32 m0, s0
	s_sendmsg sendmsg(MSG_INTERRUPT)
	s_mov_b32 m0, ttmp2
.LBB4_6551:                             ; =>This Inner Loop Header: Depth=1
	s_sethalt 5
	s_branch .LBB4_6551
.LBB4_6552:
	s_or_b32 exec_lo, exec_lo, s2
.LBB4_6553:
	s_delay_alu instid0(SALU_CYCLE_1) | instskip(SKIP_2) | instid1(VALU_DEP_1)
	s_or_b32 exec_lo, exec_lo, s1
	v_and_b32_e32 v0, 0x2000, v30
	s_mov_b32 s1, exec_lo
	v_cmpx_ne_u32_e32 0, v0
	s_cbranch_execz .LBB4_6556
; %bb.6554:
	s_cbranch_execnz .LBB4_6564
; %bb.6555:
	ds_load_b64 v[4:5], v0
	s_waitcnt lgkmcnt(0)
	flat_store_b64 v[2:3], v[4:5] offset:16
.LBB4_6556:
	s_or_b32 exec_lo, exec_lo, s1
	v_cmp_ne_u32_e32 vcc_lo, 32, v1
	s_and_b32 exec_lo, exec_lo, vcc_lo
	s_cbranch_execz .LBB4_6715
; %bb.6557:
	s_mov_b32 s1, exec_lo
	v_cmpx_ne_u32_e64 v80, v1
	s_xor_b32 s1, exec_lo, s1
	s_cbranch_execz .LBB4_6713
; %bb.6558:
	v_and_b32_e32 v0, 31, v31
	s_mov_b32 s2, exec_lo
	s_delay_alu instid0(VALU_DEP_1)
	v_cmpx_eq_u32_e32 0, v0
	s_cbranch_execz .LBB4_6712
; %bb.6559:
	s_mov_b32 s4, exec_lo
	s_mov_b32 s3, exec_lo
	v_mbcnt_lo_u32_b32 v0, s4, 0
	s_waitcnt vmcnt(0) lgkmcnt(0)
	s_waitcnt_vscnt null, 0x0
	buffer_gl1_inv
	buffer_gl0_inv
	v_cmpx_eq_u32_e32 0, v0
	s_cbranch_execz .LBB4_6561
; %bb.6560:
	s_bcnt1_i32_b32 s4, s4
	s_delay_alu instid0(SALU_CYCLE_1)
	v_dual_mov_b32 v3, 0 :: v_dual_mov_b32 v2, s4
	ds_add_u64 v0, v[2:3]
	s_cbranch_execnz .LBB4_6609
.LBB4_6561:
	s_or_b32 exec_lo, exec_lo, s3
	s_cbranch_execnz .LBB4_6592
; %bb.6562:
	v_ashrrev_i32_e32 v0, 31, v1
	s_mov_b32 s3, exec_lo
	s_delay_alu instid0(VALU_DEP_1) | instskip(NEXT) | instid1(VALU_DEP_1)
	v_lshrrev_b32_e32 v0, 27, v0
	v_add_nc_u32_e32 v0, v1, v0
	ds_load_b64 v[2:3], v0
	v_ashrrev_i32_e32 v0, 5, v0
	s_delay_alu instid0(VALU_DEP_1) | instskip(SKIP_1) | instid1(VALU_DEP_2)
	v_ashrrev_i32_e32 v1, 31, v0
	v_add_co_u32 v0, vcc_lo, v38, v0
	v_add_co_ci_u32_e32 v1, vcc_lo, v39, v1, vcc_lo
	s_waitcnt lgkmcnt(0)
	s_delay_alu instid0(VALU_DEP_1)
	v_cmpx_lt_u64_e64 v[2:3], v[0:1]
	s_cbranch_execz .LBB4_6711
; %bb.6563:
	s_mov_b32 s4, 0
	s_mov_b32 s7, 0
                                        ; implicit-def: $sgpr5
                                        ; implicit-def: $sgpr6
	s_branch .LBB4_6599
.LBB4_6564:
	s_trap 2
	s_sendmsg_rtn_b32 s0, sendmsg(MSG_RTN_GET_DOORBELL)
	s_mov_b32 ttmp2, m0
	s_waitcnt lgkmcnt(0)
	s_and_b32 s0, s0, 0x3ff
	s_delay_alu instid0(SALU_CYCLE_1) | instskip(NEXT) | instid1(SALU_CYCLE_1)
	s_bitset1_b32 s0, 10
	s_mov_b32 m0, s0
	s_sendmsg sendmsg(MSG_INTERRUPT)
	s_mov_b32 m0, ttmp2
.LBB4_6565:                             ; =>This Inner Loop Header: Depth=1
	s_sethalt 5
	s_branch .LBB4_6565
.LBB4_6566:
	s_trap 2
	s_sendmsg_rtn_b32 s0, sendmsg(MSG_RTN_GET_DOORBELL)
	s_mov_b32 ttmp2, m0
	s_waitcnt lgkmcnt(0)
	s_and_b32 s0, s0, 0x3ff
	s_delay_alu instid0(SALU_CYCLE_1) | instskip(NEXT) | instid1(SALU_CYCLE_1)
	s_bitset1_b32 s0, 10
	s_mov_b32 m0, s0
	s_sendmsg sendmsg(MSG_INTERRUPT)
	s_mov_b32 m0, ttmp2
.LBB4_6567:                             ; =>This Inner Loop Header: Depth=1
	s_sethalt 5
	s_branch .LBB4_6567
.LBB4_6568:
	s_trap 2
	s_sendmsg_rtn_b32 s0, sendmsg(MSG_RTN_GET_DOORBELL)
	s_mov_b32 ttmp2, m0
	s_waitcnt lgkmcnt(0)
	s_and_b32 s0, s0, 0x3ff
	s_delay_alu instid0(SALU_CYCLE_1) | instskip(NEXT) | instid1(SALU_CYCLE_1)
	s_bitset1_b32 s0, 10
	s_mov_b32 m0, s0
	s_sendmsg sendmsg(MSG_INTERRUPT)
	s_mov_b32 m0, ttmp2
.LBB4_6569:                             ; =>This Inner Loop Header: Depth=1
	s_sethalt 5
	s_branch .LBB4_6569
.LBB4_6570:
	s_trap 2
	s_sendmsg_rtn_b32 s0, sendmsg(MSG_RTN_GET_DOORBELL)
	s_mov_b32 ttmp2, m0
	s_waitcnt lgkmcnt(0)
	s_and_b32 s0, s0, 0x3ff
	s_delay_alu instid0(SALU_CYCLE_1) | instskip(NEXT) | instid1(SALU_CYCLE_1)
	s_bitset1_b32 s0, 10
	s_mov_b32 m0, s0
	s_sendmsg sendmsg(MSG_INTERRUPT)
	s_mov_b32 m0, ttmp2
.LBB4_6571:                             ; =>This Inner Loop Header: Depth=1
	s_sethalt 5
	s_branch .LBB4_6571
.LBB4_6572:
	s_trap 2
	s_sendmsg_rtn_b32 s0, sendmsg(MSG_RTN_GET_DOORBELL)
	s_mov_b32 ttmp2, m0
	s_waitcnt lgkmcnt(0)
	s_and_b32 s0, s0, 0x3ff
	s_delay_alu instid0(SALU_CYCLE_1) | instskip(NEXT) | instid1(SALU_CYCLE_1)
	s_bitset1_b32 s0, 10
	s_mov_b32 m0, s0
	s_sendmsg sendmsg(MSG_INTERRUPT)
	s_mov_b32 m0, ttmp2
.LBB4_6573:                             ; =>This Inner Loop Header: Depth=1
	s_sethalt 5
	s_branch .LBB4_6573
.LBB4_6574:
	s_trap 2
	s_sendmsg_rtn_b32 s0, sendmsg(MSG_RTN_GET_DOORBELL)
	s_mov_b32 ttmp2, m0
	s_waitcnt lgkmcnt(0)
	s_and_b32 s0, s0, 0x3ff
	s_delay_alu instid0(SALU_CYCLE_1) | instskip(NEXT) | instid1(SALU_CYCLE_1)
	s_bitset1_b32 s0, 10
	s_mov_b32 m0, s0
	s_sendmsg sendmsg(MSG_INTERRUPT)
	s_mov_b32 m0, ttmp2
.LBB4_6575:                             ; =>This Inner Loop Header: Depth=1
	s_sethalt 5
	s_branch .LBB4_6575
.LBB4_6576:
	s_trap 2
	s_sendmsg_rtn_b32 s0, sendmsg(MSG_RTN_GET_DOORBELL)
	s_mov_b32 ttmp2, m0
	s_waitcnt lgkmcnt(0)
	s_and_b32 s0, s0, 0x3ff
	s_delay_alu instid0(SALU_CYCLE_1) | instskip(NEXT) | instid1(SALU_CYCLE_1)
	s_bitset1_b32 s0, 10
	s_mov_b32 m0, s0
	s_sendmsg sendmsg(MSG_INTERRUPT)
	s_mov_b32 m0, ttmp2
.LBB4_6577:                             ; =>This Inner Loop Header: Depth=1
	s_sethalt 5
	s_branch .LBB4_6577
.LBB4_6578:
	s_trap 2
	s_sendmsg_rtn_b32 s0, sendmsg(MSG_RTN_GET_DOORBELL)
	s_mov_b32 ttmp2, m0
	s_waitcnt lgkmcnt(0)
	s_and_b32 s0, s0, 0x3ff
	s_delay_alu instid0(SALU_CYCLE_1) | instskip(NEXT) | instid1(SALU_CYCLE_1)
	s_bitset1_b32 s0, 10
	s_mov_b32 m0, s0
	s_sendmsg sendmsg(MSG_INTERRUPT)
	s_mov_b32 m0, ttmp2
.LBB4_6579:                             ; =>This Inner Loop Header: Depth=1
	s_sethalt 5
	s_branch .LBB4_6579
.LBB4_6580:
	s_trap 2
	s_sendmsg_rtn_b32 s0, sendmsg(MSG_RTN_GET_DOORBELL)
	s_mov_b32 ttmp2, m0
	s_waitcnt lgkmcnt(0)
	s_and_b32 s0, s0, 0x3ff
	s_delay_alu instid0(SALU_CYCLE_1) | instskip(NEXT) | instid1(SALU_CYCLE_1)
	s_bitset1_b32 s0, 10
	s_mov_b32 m0, s0
	s_sendmsg sendmsg(MSG_INTERRUPT)
	s_mov_b32 m0, ttmp2
.LBB4_6581:                             ; =>This Inner Loop Header: Depth=1
	s_sethalt 5
	s_branch .LBB4_6581
.LBB4_6582:
	s_trap 2
	s_sendmsg_rtn_b32 s0, sendmsg(MSG_RTN_GET_DOORBELL)
	s_mov_b32 ttmp2, m0
	s_waitcnt lgkmcnt(0)
	s_and_b32 s0, s0, 0x3ff
	s_delay_alu instid0(SALU_CYCLE_1) | instskip(NEXT) | instid1(SALU_CYCLE_1)
	s_bitset1_b32 s0, 10
	s_mov_b32 m0, s0
	s_sendmsg sendmsg(MSG_INTERRUPT)
	s_mov_b32 m0, ttmp2
.LBB4_6583:                             ; =>This Inner Loop Header: Depth=1
	s_sethalt 5
	s_branch .LBB4_6583
.LBB4_6584:
	s_trap 2
	s_sendmsg_rtn_b32 s0, sendmsg(MSG_RTN_GET_DOORBELL)
	s_mov_b32 ttmp2, m0
	s_waitcnt lgkmcnt(0)
	s_and_b32 s0, s0, 0x3ff
	s_delay_alu instid0(SALU_CYCLE_1) | instskip(NEXT) | instid1(SALU_CYCLE_1)
	s_bitset1_b32 s0, 10
	s_mov_b32 m0, s0
	s_sendmsg sendmsg(MSG_INTERRUPT)
	s_mov_b32 m0, ttmp2
.LBB4_6585:                             ; =>This Inner Loop Header: Depth=1
	s_sethalt 5
	s_branch .LBB4_6585
.LBB4_6586:
	s_trap 2
	s_sendmsg_rtn_b32 s0, sendmsg(MSG_RTN_GET_DOORBELL)
	s_mov_b32 ttmp2, m0
	s_waitcnt lgkmcnt(0)
	s_and_b32 s0, s0, 0x3ff
	s_delay_alu instid0(SALU_CYCLE_1) | instskip(NEXT) | instid1(SALU_CYCLE_1)
	s_bitset1_b32 s0, 10
	s_mov_b32 m0, s0
	s_sendmsg sendmsg(MSG_INTERRUPT)
	s_mov_b32 m0, ttmp2
.LBB4_6587:                             ; =>This Inner Loop Header: Depth=1
	s_sethalt 5
	s_branch .LBB4_6587
.LBB4_6588:
	s_trap 2
	s_sendmsg_rtn_b32 s0, sendmsg(MSG_RTN_GET_DOORBELL)
	s_mov_b32 ttmp2, m0
	s_waitcnt lgkmcnt(0)
	s_and_b32 s0, s0, 0x3ff
	s_delay_alu instid0(SALU_CYCLE_1) | instskip(NEXT) | instid1(SALU_CYCLE_1)
	s_bitset1_b32 s0, 10
	s_mov_b32 m0, s0
	s_sendmsg sendmsg(MSG_INTERRUPT)
	s_mov_b32 m0, ttmp2
.LBB4_6589:                             ; =>This Inner Loop Header: Depth=1
	s_sethalt 5
	s_branch .LBB4_6589
.LBB4_6590:
	s_trap 2
	s_sendmsg_rtn_b32 s0, sendmsg(MSG_RTN_GET_DOORBELL)
	s_mov_b32 ttmp2, m0
	s_waitcnt lgkmcnt(0)
	s_and_b32 s0, s0, 0x3ff
	s_delay_alu instid0(SALU_CYCLE_1) | instskip(NEXT) | instid1(SALU_CYCLE_1)
	s_bitset1_b32 s0, 10
	s_mov_b32 m0, s0
	s_sendmsg sendmsg(MSG_INTERRUPT)
	s_mov_b32 m0, ttmp2
.LBB4_6591:                             ; =>This Inner Loop Header: Depth=1
	s_sethalt 5
	s_branch .LBB4_6591
.LBB4_6592:
	s_trap 2
	s_sendmsg_rtn_b32 s0, sendmsg(MSG_RTN_GET_DOORBELL)
	s_mov_b32 ttmp2, m0
	s_waitcnt lgkmcnt(0)
	s_and_b32 s0, s0, 0x3ff
	s_delay_alu instid0(SALU_CYCLE_1) | instskip(NEXT) | instid1(SALU_CYCLE_1)
	s_bitset1_b32 s0, 10
	s_mov_b32 m0, s0
	s_sendmsg sendmsg(MSG_INTERRUPT)
	s_mov_b32 m0, ttmp2
.LBB4_6593:                             ; =>This Inner Loop Header: Depth=1
	s_sethalt 5
	s_branch .LBB4_6593
.LBB4_6594:
	s_trap 2
	s_sendmsg_rtn_b32 s0, sendmsg(MSG_RTN_GET_DOORBELL)
	s_mov_b32 ttmp2, m0
	s_waitcnt lgkmcnt(0)
	s_and_b32 s0, s0, 0x3ff
	s_delay_alu instid0(SALU_CYCLE_1) | instskip(NEXT) | instid1(SALU_CYCLE_1)
	s_bitset1_b32 s0, 10
	s_mov_b32 m0, s0
	s_sendmsg sendmsg(MSG_INTERRUPT)
	s_mov_b32 m0, ttmp2
.LBB4_6595:                             ; =>This Inner Loop Header: Depth=1
	s_sethalt 5
	s_branch .LBB4_6595
.LBB4_6596:
	s_trap 2
	s_sendmsg_rtn_b32 s0, sendmsg(MSG_RTN_GET_DOORBELL)
	s_mov_b32 ttmp2, m0
	s_waitcnt lgkmcnt(0)
	s_and_b32 s0, s0, 0x3ff
	s_delay_alu instid0(SALU_CYCLE_1) | instskip(NEXT) | instid1(SALU_CYCLE_1)
	s_bitset1_b32 s0, 10
	s_mov_b32 m0, s0
	s_sendmsg sendmsg(MSG_INTERRUPT)
	s_mov_b32 m0, ttmp2
.LBB4_6597:                             ; =>This Inner Loop Header: Depth=1
	s_sethalt 5
	s_branch .LBB4_6597
.LBB4_6598:                             ;   in Loop: Header=BB4_6599 Depth=1
	s_or_b32 exec_lo, exec_lo, s12
	s_delay_alu instid0(SALU_CYCLE_1) | instskip(NEXT) | instid1(SALU_CYCLE_1)
	s_and_b32 s10, exec_lo, s11
	s_or_b32 s4, s10, s4
	s_and_not1_b32 s5, s5, exec_lo
	s_and_b32 s10, s6, exec_lo
	s_delay_alu instid0(SALU_CYCLE_1)
	s_or_b32 s5, s5, s10
	s_and_not1_b32 exec_lo, exec_lo, s4
	s_cbranch_execz .LBB4_6709
.LBB4_6599:                             ; =>This Inner Loop Header: Depth=1
	s_add_i32 s7, s7, 1
                                        ; implicit-def: $sgpr11
	s_delay_alu instid0(SALU_CYCLE_1) | instskip(SKIP_1) | instid1(SALU_CYCLE_1)
	s_cmpk_lg_i32 s7, 0x2710
	s_cselect_b32 s10, -1, 0
	s_and_b32 vcc_lo, exec_lo, s10
	s_cbranch_vccz .LBB4_6603
.LBB4_6600:                             ;   in Loop: Header=BB4_6599 Depth=1
	s_and_not1_b32 s6, s6, exec_lo
	s_and_b32 s12, s11, exec_lo
	s_mov_b32 s11, -1
	s_or_b32 s6, s6, s12
	s_and_saveexec_b32 s12, s10
	s_cbranch_execz .LBB4_6598
; %bb.6601:                             ;   in Loop: Header=BB4_6599 Depth=1
	s_sleep 1
	s_cbranch_execnz .LBB4_6625
; %bb.6602:                             ;   in Loop: Header=BB4_6599 Depth=1
	ds_load_b64 v[2:3], v0
	s_and_not1_b32 s6, s6, exec_lo
	s_waitcnt lgkmcnt(0)
	v_cmp_ge_u64_e32 vcc_lo, v[2:3], v[0:1]
	s_or_not1_b32 s11, vcc_lo, exec_lo
	s_branch .LBB4_6598
.LBB4_6603:                             ;   in Loop: Header=BB4_6599 Depth=1
	s_cbranch_execnz .LBB4_6633
; %bb.6604:                             ;   in Loop: Header=BB4_6599 Depth=1
	ds_load_b64 v[2:3], v0
	s_and_not1_b32 s10, s10, exec_lo
	s_mov_b32 s7, 0
	s_mov_b32 s11, -1
	s_waitcnt lgkmcnt(0)
	flat_load_b32 v2, v[2:3] glc
	s_waitcnt vmcnt(0) lgkmcnt(0)
	buffer_gl1_inv
	buffer_gl0_inv
	v_cmp_eq_u32_e32 vcc_lo, 0, v2
	s_and_b32 s12, vcc_lo, exec_lo
	s_delay_alu instid0(SALU_CYCLE_1)
	s_or_b32 s10, s10, s12
	s_branch .LBB4_6600
.LBB4_6605:
	s_trap 2
	s_sendmsg_rtn_b32 s0, sendmsg(MSG_RTN_GET_DOORBELL)
	s_mov_b32 ttmp2, m0
	s_waitcnt lgkmcnt(0)
	s_and_b32 s0, s0, 0x3ff
	s_delay_alu instid0(SALU_CYCLE_1) | instskip(NEXT) | instid1(SALU_CYCLE_1)
	s_bitset1_b32 s0, 10
	s_mov_b32 m0, s0
	s_sendmsg sendmsg(MSG_INTERRUPT)
	s_mov_b32 m0, ttmp2
.LBB4_6606:                             ; =>This Inner Loop Header: Depth=1
	s_sethalt 5
	s_branch .LBB4_6606
.LBB4_6607:
	s_trap 2
	s_sendmsg_rtn_b32 s0, sendmsg(MSG_RTN_GET_DOORBELL)
	s_mov_b32 ttmp2, m0
	s_waitcnt lgkmcnt(0)
	s_and_b32 s0, s0, 0x3ff
	s_delay_alu instid0(SALU_CYCLE_1) | instskip(NEXT) | instid1(SALU_CYCLE_1)
	s_bitset1_b32 s0, 10
	s_mov_b32 m0, s0
	s_sendmsg sendmsg(MSG_INTERRUPT)
	s_mov_b32 m0, ttmp2
.LBB4_6608:                             ; =>This Inner Loop Header: Depth=1
	s_sethalt 5
	s_branch .LBB4_6608
.LBB4_6609:
	s_trap 2
	s_sendmsg_rtn_b32 s0, sendmsg(MSG_RTN_GET_DOORBELL)
	s_mov_b32 ttmp2, m0
	s_waitcnt lgkmcnt(0)
	s_and_b32 s0, s0, 0x3ff
	s_delay_alu instid0(SALU_CYCLE_1) | instskip(NEXT) | instid1(SALU_CYCLE_1)
	s_bitset1_b32 s0, 10
	s_mov_b32 m0, s0
	s_sendmsg sendmsg(MSG_INTERRUPT)
	s_mov_b32 m0, ttmp2
.LBB4_6610:                             ; =>This Inner Loop Header: Depth=1
	s_sethalt 5
	s_branch .LBB4_6610
.LBB4_6611:
	s_trap 2
	s_sendmsg_rtn_b32 s0, sendmsg(MSG_RTN_GET_DOORBELL)
	s_mov_b32 ttmp2, m0
	s_waitcnt lgkmcnt(0)
	s_and_b32 s0, s0, 0x3ff
	s_delay_alu instid0(SALU_CYCLE_1) | instskip(NEXT) | instid1(SALU_CYCLE_1)
	s_bitset1_b32 s0, 10
	s_mov_b32 m0, s0
	s_sendmsg sendmsg(MSG_INTERRUPT)
	s_mov_b32 m0, ttmp2
.LBB4_6612:                             ; =>This Inner Loop Header: Depth=1
	s_sethalt 5
	s_branch .LBB4_6612
.LBB4_6613:
	s_trap 2
	s_sendmsg_rtn_b32 s0, sendmsg(MSG_RTN_GET_DOORBELL)
	s_mov_b32 ttmp2, m0
	s_waitcnt lgkmcnt(0)
	s_and_b32 s0, s0, 0x3ff
	s_delay_alu instid0(SALU_CYCLE_1) | instskip(NEXT) | instid1(SALU_CYCLE_1)
	s_bitset1_b32 s0, 10
	s_mov_b32 m0, s0
	s_sendmsg sendmsg(MSG_INTERRUPT)
	s_mov_b32 m0, ttmp2
.LBB4_6614:                             ; =>This Inner Loop Header: Depth=1
	s_sethalt 5
	s_branch .LBB4_6614
.LBB4_6615:
	s_trap 2
	s_sendmsg_rtn_b32 s0, sendmsg(MSG_RTN_GET_DOORBELL)
	s_mov_b32 ttmp2, m0
	s_waitcnt lgkmcnt(0)
	s_and_b32 s0, s0, 0x3ff
	s_delay_alu instid0(SALU_CYCLE_1) | instskip(NEXT) | instid1(SALU_CYCLE_1)
	s_bitset1_b32 s0, 10
	s_mov_b32 m0, s0
	s_sendmsg sendmsg(MSG_INTERRUPT)
	s_mov_b32 m0, ttmp2
.LBB4_6616:                             ; =>This Inner Loop Header: Depth=1
	s_sethalt 5
	s_branch .LBB4_6616
.LBB4_6617:
	s_trap 2
	s_sendmsg_rtn_b32 s0, sendmsg(MSG_RTN_GET_DOORBELL)
	s_mov_b32 ttmp2, m0
	s_waitcnt lgkmcnt(0)
	s_and_b32 s0, s0, 0x3ff
	s_delay_alu instid0(SALU_CYCLE_1) | instskip(NEXT) | instid1(SALU_CYCLE_1)
	s_bitset1_b32 s0, 10
	s_mov_b32 m0, s0
	s_sendmsg sendmsg(MSG_INTERRUPT)
	s_mov_b32 m0, ttmp2
.LBB4_6618:                             ; =>This Inner Loop Header: Depth=1
	s_sethalt 5
	s_branch .LBB4_6618
.LBB4_6619:
	s_trap 2
	s_sendmsg_rtn_b32 s0, sendmsg(MSG_RTN_GET_DOORBELL)
	s_mov_b32 ttmp2, m0
	s_waitcnt lgkmcnt(0)
	s_and_b32 s0, s0, 0x3ff
	s_delay_alu instid0(SALU_CYCLE_1) | instskip(NEXT) | instid1(SALU_CYCLE_1)
	s_bitset1_b32 s0, 10
	s_mov_b32 m0, s0
	s_sendmsg sendmsg(MSG_INTERRUPT)
	s_mov_b32 m0, ttmp2
.LBB4_6620:                             ; =>This Inner Loop Header: Depth=1
	s_sethalt 5
	s_branch .LBB4_6620
.LBB4_6621:
	s_trap 2
	s_sendmsg_rtn_b32 s0, sendmsg(MSG_RTN_GET_DOORBELL)
	s_mov_b32 ttmp2, m0
	s_waitcnt lgkmcnt(0)
	s_and_b32 s0, s0, 0x3ff
	s_delay_alu instid0(SALU_CYCLE_1) | instskip(NEXT) | instid1(SALU_CYCLE_1)
	s_bitset1_b32 s0, 10
	s_mov_b32 m0, s0
	s_sendmsg sendmsg(MSG_INTERRUPT)
	s_mov_b32 m0, ttmp2
.LBB4_6622:                             ; =>This Inner Loop Header: Depth=1
	s_sethalt 5
	s_branch .LBB4_6622
.LBB4_6623:
	s_trap 2
	s_sendmsg_rtn_b32 s0, sendmsg(MSG_RTN_GET_DOORBELL)
	s_mov_b32 ttmp2, m0
	s_waitcnt lgkmcnt(0)
	s_and_b32 s0, s0, 0x3ff
	s_delay_alu instid0(SALU_CYCLE_1) | instskip(NEXT) | instid1(SALU_CYCLE_1)
	s_bitset1_b32 s0, 10
	s_mov_b32 m0, s0
	s_sendmsg sendmsg(MSG_INTERRUPT)
	s_mov_b32 m0, ttmp2
.LBB4_6624:                             ; =>This Inner Loop Header: Depth=1
	s_sethalt 5
	s_branch .LBB4_6624
.LBB4_6625:
	s_trap 2
	s_sendmsg_rtn_b32 s0, sendmsg(MSG_RTN_GET_DOORBELL)
	s_mov_b32 ttmp2, m0
	s_waitcnt lgkmcnt(0)
	s_and_b32 s0, s0, 0x3ff
	s_delay_alu instid0(SALU_CYCLE_1) | instskip(NEXT) | instid1(SALU_CYCLE_1)
	s_bitset1_b32 s0, 10
	s_mov_b32 m0, s0
	s_sendmsg sendmsg(MSG_INTERRUPT)
	s_mov_b32 m0, ttmp2
.LBB4_6626:                             ; =>This Inner Loop Header: Depth=1
	s_sethalt 5
	s_branch .LBB4_6626
.LBB4_6627:
	s_trap 2
	s_sendmsg_rtn_b32 s0, sendmsg(MSG_RTN_GET_DOORBELL)
	s_mov_b32 ttmp2, m0
	s_waitcnt lgkmcnt(0)
	s_and_b32 s0, s0, 0x3ff
	s_delay_alu instid0(SALU_CYCLE_1) | instskip(NEXT) | instid1(SALU_CYCLE_1)
	s_bitset1_b32 s0, 10
	s_mov_b32 m0, s0
	s_sendmsg sendmsg(MSG_INTERRUPT)
	s_mov_b32 m0, ttmp2
.LBB4_6628:                             ; =>This Inner Loop Header: Depth=1
	s_sethalt 5
	s_branch .LBB4_6628
.LBB4_6629:
	s_trap 2
	s_sendmsg_rtn_b32 s0, sendmsg(MSG_RTN_GET_DOORBELL)
	s_mov_b32 ttmp2, m0
	s_waitcnt lgkmcnt(0)
	s_and_b32 s0, s0, 0x3ff
	s_delay_alu instid0(SALU_CYCLE_1) | instskip(NEXT) | instid1(SALU_CYCLE_1)
	s_bitset1_b32 s0, 10
	s_mov_b32 m0, s0
	s_sendmsg sendmsg(MSG_INTERRUPT)
	s_mov_b32 m0, ttmp2
.LBB4_6630:                             ; =>This Inner Loop Header: Depth=1
	s_sethalt 5
	s_branch .LBB4_6630
.LBB4_6631:
	s_trap 2
	s_sendmsg_rtn_b32 s0, sendmsg(MSG_RTN_GET_DOORBELL)
	s_mov_b32 ttmp2, m0
	s_waitcnt lgkmcnt(0)
	s_and_b32 s0, s0, 0x3ff
	s_delay_alu instid0(SALU_CYCLE_1) | instskip(NEXT) | instid1(SALU_CYCLE_1)
	s_bitset1_b32 s0, 10
	s_mov_b32 m0, s0
	s_sendmsg sendmsg(MSG_INTERRUPT)
	s_mov_b32 m0, ttmp2
.LBB4_6632:                             ; =>This Inner Loop Header: Depth=1
	s_sethalt 5
	s_branch .LBB4_6632
.LBB4_6633:
	s_trap 2
	s_sendmsg_rtn_b32 s0, sendmsg(MSG_RTN_GET_DOORBELL)
	s_mov_b32 ttmp2, m0
	s_waitcnt lgkmcnt(0)
	s_and_b32 s0, s0, 0x3ff
	s_delay_alu instid0(SALU_CYCLE_1) | instskip(NEXT) | instid1(SALU_CYCLE_1)
	s_bitset1_b32 s0, 10
	s_mov_b32 m0, s0
	s_sendmsg sendmsg(MSG_INTERRUPT)
	s_mov_b32 m0, ttmp2
.LBB4_6634:                             ; =>This Inner Loop Header: Depth=1
	s_sethalt 5
	s_branch .LBB4_6634
.LBB4_6635:
	s_trap 2
	s_sendmsg_rtn_b32 s0, sendmsg(MSG_RTN_GET_DOORBELL)
	s_mov_b32 ttmp2, m0
	s_waitcnt lgkmcnt(0)
	s_and_b32 s0, s0, 0x3ff
	s_delay_alu instid0(SALU_CYCLE_1) | instskip(NEXT) | instid1(SALU_CYCLE_1)
	s_bitset1_b32 s0, 10
	s_mov_b32 m0, s0
	s_sendmsg sendmsg(MSG_INTERRUPT)
	s_mov_b32 m0, ttmp2
.LBB4_6636:                             ; =>This Inner Loop Header: Depth=1
	s_sethalt 5
	s_branch .LBB4_6636
.LBB4_6637:
	s_trap 2
	s_sendmsg_rtn_b32 s0, sendmsg(MSG_RTN_GET_DOORBELL)
	s_mov_b32 ttmp2, m0
	s_waitcnt lgkmcnt(0)
	s_and_b32 s0, s0, 0x3ff
	s_delay_alu instid0(SALU_CYCLE_1) | instskip(NEXT) | instid1(SALU_CYCLE_1)
	s_bitset1_b32 s0, 10
	s_mov_b32 m0, s0
	s_sendmsg sendmsg(MSG_INTERRUPT)
	s_mov_b32 m0, ttmp2
.LBB4_6638:                             ; =>This Inner Loop Header: Depth=1
	s_sethalt 5
	s_branch .LBB4_6638
.LBB4_6639:
	s_trap 2
	s_sendmsg_rtn_b32 s0, sendmsg(MSG_RTN_GET_DOORBELL)
	s_mov_b32 ttmp2, m0
	s_waitcnt lgkmcnt(0)
	s_and_b32 s0, s0, 0x3ff
	s_delay_alu instid0(SALU_CYCLE_1) | instskip(NEXT) | instid1(SALU_CYCLE_1)
	s_bitset1_b32 s0, 10
	s_mov_b32 m0, s0
	s_sendmsg sendmsg(MSG_INTERRUPT)
	s_mov_b32 m0, ttmp2
.LBB4_6640:                             ; =>This Inner Loop Header: Depth=1
	s_sethalt 5
	s_branch .LBB4_6640
.LBB4_6641:
	s_trap 2
	s_sendmsg_rtn_b32 s0, sendmsg(MSG_RTN_GET_DOORBELL)
	s_mov_b32 ttmp2, m0
	s_waitcnt lgkmcnt(0)
	s_and_b32 s0, s0, 0x3ff
	s_delay_alu instid0(SALU_CYCLE_1) | instskip(NEXT) | instid1(SALU_CYCLE_1)
	s_bitset1_b32 s0, 10
	s_mov_b32 m0, s0
	s_sendmsg sendmsg(MSG_INTERRUPT)
	s_mov_b32 m0, ttmp2
.LBB4_6642:                             ; =>This Inner Loop Header: Depth=1
	s_sethalt 5
	s_branch .LBB4_6642
.LBB4_6643:
	s_trap 2
	s_sendmsg_rtn_b32 s0, sendmsg(MSG_RTN_GET_DOORBELL)
	s_mov_b32 ttmp2, m0
	s_waitcnt lgkmcnt(0)
	s_and_b32 s0, s0, 0x3ff
	s_delay_alu instid0(SALU_CYCLE_1) | instskip(NEXT) | instid1(SALU_CYCLE_1)
	s_bitset1_b32 s0, 10
	s_mov_b32 m0, s0
	s_sendmsg sendmsg(MSG_INTERRUPT)
	s_mov_b32 m0, ttmp2
.LBB4_6644:                             ; =>This Inner Loop Header: Depth=1
	s_sethalt 5
	s_branch .LBB4_6644
.LBB4_6645:
	s_trap 2
	s_sendmsg_rtn_b32 s0, sendmsg(MSG_RTN_GET_DOORBELL)
	s_mov_b32 ttmp2, m0
	s_waitcnt lgkmcnt(0)
	s_and_b32 s0, s0, 0x3ff
	s_delay_alu instid0(SALU_CYCLE_1) | instskip(NEXT) | instid1(SALU_CYCLE_1)
	s_bitset1_b32 s0, 10
	s_mov_b32 m0, s0
	s_sendmsg sendmsg(MSG_INTERRUPT)
	s_mov_b32 m0, ttmp2
.LBB4_6646:                             ; =>This Inner Loop Header: Depth=1
	s_sethalt 5
	s_branch .LBB4_6646
.LBB4_6647:
	s_trap 2
	s_sendmsg_rtn_b32 s0, sendmsg(MSG_RTN_GET_DOORBELL)
	s_mov_b32 ttmp2, m0
	s_waitcnt lgkmcnt(0)
	s_and_b32 s0, s0, 0x3ff
	s_delay_alu instid0(SALU_CYCLE_1) | instskip(NEXT) | instid1(SALU_CYCLE_1)
	s_bitset1_b32 s0, 10
	s_mov_b32 m0, s0
	s_sendmsg sendmsg(MSG_INTERRUPT)
	s_mov_b32 m0, ttmp2
.LBB4_6648:                             ; =>This Inner Loop Header: Depth=1
	s_sethalt 5
	s_branch .LBB4_6648
.LBB4_6649:
	s_trap 2
	s_sendmsg_rtn_b32 s0, sendmsg(MSG_RTN_GET_DOORBELL)
	s_mov_b32 ttmp2, m0
	s_waitcnt lgkmcnt(0)
	s_and_b32 s0, s0, 0x3ff
	s_delay_alu instid0(SALU_CYCLE_1) | instskip(NEXT) | instid1(SALU_CYCLE_1)
	s_bitset1_b32 s0, 10
	s_mov_b32 m0, s0
	s_sendmsg sendmsg(MSG_INTERRUPT)
	s_mov_b32 m0, ttmp2
.LBB4_6650:                             ; =>This Inner Loop Header: Depth=1
	s_sethalt 5
	s_branch .LBB4_6650
.LBB4_6651:
	s_trap 2
	s_sendmsg_rtn_b32 s0, sendmsg(MSG_RTN_GET_DOORBELL)
	s_mov_b32 ttmp2, m0
	s_waitcnt lgkmcnt(0)
	s_and_b32 s0, s0, 0x3ff
	s_delay_alu instid0(SALU_CYCLE_1) | instskip(NEXT) | instid1(SALU_CYCLE_1)
	s_bitset1_b32 s0, 10
	s_mov_b32 m0, s0
	s_sendmsg sendmsg(MSG_INTERRUPT)
	s_mov_b32 m0, ttmp2
.LBB4_6652:                             ; =>This Inner Loop Header: Depth=1
	s_sethalt 5
	s_branch .LBB4_6652
.LBB4_6653:
	s_trap 2
	s_sendmsg_rtn_b32 s0, sendmsg(MSG_RTN_GET_DOORBELL)
	s_mov_b32 ttmp2, m0
	s_waitcnt lgkmcnt(0)
	s_and_b32 s0, s0, 0x3ff
	s_delay_alu instid0(SALU_CYCLE_1) | instskip(NEXT) | instid1(SALU_CYCLE_1)
	s_bitset1_b32 s0, 10
	s_mov_b32 m0, s0
	s_sendmsg sendmsg(MSG_INTERRUPT)
	s_mov_b32 m0, ttmp2
.LBB4_6654:                             ; =>This Inner Loop Header: Depth=1
	s_sethalt 5
	s_branch .LBB4_6654
.LBB4_6655:
	s_trap 2
	s_sendmsg_rtn_b32 s0, sendmsg(MSG_RTN_GET_DOORBELL)
	s_mov_b32 ttmp2, m0
	s_waitcnt lgkmcnt(0)
	s_and_b32 s0, s0, 0x3ff
	s_delay_alu instid0(SALU_CYCLE_1) | instskip(NEXT) | instid1(SALU_CYCLE_1)
	s_bitset1_b32 s0, 10
	s_mov_b32 m0, s0
	s_sendmsg sendmsg(MSG_INTERRUPT)
	s_mov_b32 m0, ttmp2
.LBB4_6656:                             ; =>This Inner Loop Header: Depth=1
	s_sethalt 5
	s_branch .LBB4_6656
.LBB4_6657:
	s_trap 2
	s_sendmsg_rtn_b32 s0, sendmsg(MSG_RTN_GET_DOORBELL)
	s_mov_b32 ttmp2, m0
	s_waitcnt lgkmcnt(0)
	s_and_b32 s0, s0, 0x3ff
	s_delay_alu instid0(SALU_CYCLE_1) | instskip(NEXT) | instid1(SALU_CYCLE_1)
	s_bitset1_b32 s0, 10
	s_mov_b32 m0, s0
	s_sendmsg sendmsg(MSG_INTERRUPT)
	s_mov_b32 m0, ttmp2
.LBB4_6658:                             ; =>This Inner Loop Header: Depth=1
	s_sethalt 5
	s_branch .LBB4_6658
.LBB4_6659:
	s_trap 2
	s_sendmsg_rtn_b32 s0, sendmsg(MSG_RTN_GET_DOORBELL)
	s_mov_b32 ttmp2, m0
	s_waitcnt lgkmcnt(0)
	s_and_b32 s0, s0, 0x3ff
	s_delay_alu instid0(SALU_CYCLE_1) | instskip(NEXT) | instid1(SALU_CYCLE_1)
	s_bitset1_b32 s0, 10
	s_mov_b32 m0, s0
	s_sendmsg sendmsg(MSG_INTERRUPT)
	s_mov_b32 m0, ttmp2
.LBB4_6660:                             ; =>This Inner Loop Header: Depth=1
	s_sethalt 5
	s_branch .LBB4_6660
.LBB4_6661:
	s_trap 2
	s_sendmsg_rtn_b32 s0, sendmsg(MSG_RTN_GET_DOORBELL)
	s_mov_b32 ttmp2, m0
	s_waitcnt lgkmcnt(0)
	s_and_b32 s0, s0, 0x3ff
	s_delay_alu instid0(SALU_CYCLE_1) | instskip(NEXT) | instid1(SALU_CYCLE_1)
	s_bitset1_b32 s0, 10
	s_mov_b32 m0, s0
	s_sendmsg sendmsg(MSG_INTERRUPT)
	s_mov_b32 m0, ttmp2
.LBB4_6662:                             ; =>This Inner Loop Header: Depth=1
	s_sethalt 5
	s_branch .LBB4_6662
.LBB4_6663:
	s_trap 2
	s_sendmsg_rtn_b32 s0, sendmsg(MSG_RTN_GET_DOORBELL)
	s_mov_b32 ttmp2, m0
	s_waitcnt lgkmcnt(0)
	s_and_b32 s0, s0, 0x3ff
	s_delay_alu instid0(SALU_CYCLE_1) | instskip(NEXT) | instid1(SALU_CYCLE_1)
	s_bitset1_b32 s0, 10
	s_mov_b32 m0, s0
	s_sendmsg sendmsg(MSG_INTERRUPT)
	s_mov_b32 m0, ttmp2
.LBB4_6664:                             ; =>This Inner Loop Header: Depth=1
	s_sethalt 5
	s_branch .LBB4_6664
.LBB4_6665:
	s_trap 2
	s_sendmsg_rtn_b32 s0, sendmsg(MSG_RTN_GET_DOORBELL)
	s_mov_b32 ttmp2, m0
	s_waitcnt lgkmcnt(0)
	s_and_b32 s0, s0, 0x3ff
	s_delay_alu instid0(SALU_CYCLE_1) | instskip(NEXT) | instid1(SALU_CYCLE_1)
	s_bitset1_b32 s0, 10
	s_mov_b32 m0, s0
	s_sendmsg sendmsg(MSG_INTERRUPT)
	s_mov_b32 m0, ttmp2
.LBB4_6666:                             ; =>This Inner Loop Header: Depth=1
	s_sethalt 5
	s_branch .LBB4_6666
.LBB4_6667:
	s_trap 2
	s_sendmsg_rtn_b32 s0, sendmsg(MSG_RTN_GET_DOORBELL)
	s_mov_b32 ttmp2, m0
	s_waitcnt lgkmcnt(0)
	s_and_b32 s0, s0, 0x3ff
	s_delay_alu instid0(SALU_CYCLE_1) | instskip(NEXT) | instid1(SALU_CYCLE_1)
	s_bitset1_b32 s0, 10
	s_mov_b32 m0, s0
	s_sendmsg sendmsg(MSG_INTERRUPT)
	s_mov_b32 m0, ttmp2
.LBB4_6668:                             ; =>This Inner Loop Header: Depth=1
	s_sethalt 5
	s_branch .LBB4_6668
.LBB4_6669:
	s_trap 2
	s_sendmsg_rtn_b32 s0, sendmsg(MSG_RTN_GET_DOORBELL)
	s_mov_b32 ttmp2, m0
	s_waitcnt lgkmcnt(0)
	s_and_b32 s0, s0, 0x3ff
	s_delay_alu instid0(SALU_CYCLE_1) | instskip(NEXT) | instid1(SALU_CYCLE_1)
	s_bitset1_b32 s0, 10
	s_mov_b32 m0, s0
	s_sendmsg sendmsg(MSG_INTERRUPT)
	s_mov_b32 m0, ttmp2
.LBB4_6670:                             ; =>This Inner Loop Header: Depth=1
	s_sethalt 5
	s_branch .LBB4_6670
.LBB4_6671:
	s_trap 2
	s_sendmsg_rtn_b32 s0, sendmsg(MSG_RTN_GET_DOORBELL)
	s_mov_b32 ttmp2, m0
	s_waitcnt lgkmcnt(0)
	s_and_b32 s0, s0, 0x3ff
	s_delay_alu instid0(SALU_CYCLE_1) | instskip(NEXT) | instid1(SALU_CYCLE_1)
	s_bitset1_b32 s0, 10
	s_mov_b32 m0, s0
	s_sendmsg sendmsg(MSG_INTERRUPT)
	s_mov_b32 m0, ttmp2
.LBB4_6672:                             ; =>This Inner Loop Header: Depth=1
	s_sethalt 5
	s_branch .LBB4_6672
.LBB4_6673:
	s_trap 2
	s_sendmsg_rtn_b32 s0, sendmsg(MSG_RTN_GET_DOORBELL)
	s_mov_b32 ttmp2, m0
	s_waitcnt lgkmcnt(0)
	s_and_b32 s0, s0, 0x3ff
	s_delay_alu instid0(SALU_CYCLE_1) | instskip(NEXT) | instid1(SALU_CYCLE_1)
	s_bitset1_b32 s0, 10
	s_mov_b32 m0, s0
	s_sendmsg sendmsg(MSG_INTERRUPT)
	s_mov_b32 m0, ttmp2
.LBB4_6674:                             ; =>This Inner Loop Header: Depth=1
	s_sethalt 5
	s_branch .LBB4_6674
.LBB4_6675:
	s_trap 2
	s_sendmsg_rtn_b32 s0, sendmsg(MSG_RTN_GET_DOORBELL)
	s_mov_b32 ttmp2, m0
	s_waitcnt lgkmcnt(0)
	s_and_b32 s0, s0, 0x3ff
	s_delay_alu instid0(SALU_CYCLE_1) | instskip(NEXT) | instid1(SALU_CYCLE_1)
	s_bitset1_b32 s0, 10
	s_mov_b32 m0, s0
	s_sendmsg sendmsg(MSG_INTERRUPT)
	s_mov_b32 m0, ttmp2
.LBB4_6676:                             ; =>This Inner Loop Header: Depth=1
	s_sethalt 5
	s_branch .LBB4_6676
.LBB4_6677:
	s_trap 2
	s_sendmsg_rtn_b32 s0, sendmsg(MSG_RTN_GET_DOORBELL)
	s_mov_b32 ttmp2, m0
	s_waitcnt lgkmcnt(0)
	s_and_b32 s0, s0, 0x3ff
	s_delay_alu instid0(SALU_CYCLE_1) | instskip(NEXT) | instid1(SALU_CYCLE_1)
	s_bitset1_b32 s0, 10
	s_mov_b32 m0, s0
	s_sendmsg sendmsg(MSG_INTERRUPT)
	s_mov_b32 m0, ttmp2
.LBB4_6678:                             ; =>This Inner Loop Header: Depth=1
	s_sethalt 5
	s_branch .LBB4_6678
.LBB4_6679:
	s_trap 2
	s_sendmsg_rtn_b32 s0, sendmsg(MSG_RTN_GET_DOORBELL)
	s_mov_b32 ttmp2, m0
	s_waitcnt lgkmcnt(0)
	s_and_b32 s0, s0, 0x3ff
	s_delay_alu instid0(SALU_CYCLE_1) | instskip(NEXT) | instid1(SALU_CYCLE_1)
	s_bitset1_b32 s0, 10
	s_mov_b32 m0, s0
	s_sendmsg sendmsg(MSG_INTERRUPT)
	s_mov_b32 m0, ttmp2
.LBB4_6680:                             ; =>This Inner Loop Header: Depth=1
	s_sethalt 5
	s_branch .LBB4_6680
.LBB4_6681:
	s_trap 2
	s_sendmsg_rtn_b32 s0, sendmsg(MSG_RTN_GET_DOORBELL)
	s_mov_b32 ttmp2, m0
	s_waitcnt lgkmcnt(0)
	s_and_b32 s0, s0, 0x3ff
	s_delay_alu instid0(SALU_CYCLE_1) | instskip(NEXT) | instid1(SALU_CYCLE_1)
	s_bitset1_b32 s0, 10
	s_mov_b32 m0, s0
	s_sendmsg sendmsg(MSG_INTERRUPT)
	s_mov_b32 m0, ttmp2
.LBB4_6682:                             ; =>This Inner Loop Header: Depth=1
	s_sethalt 5
	s_branch .LBB4_6682
.LBB4_6683:
	s_trap 2
	s_sendmsg_rtn_b32 s0, sendmsg(MSG_RTN_GET_DOORBELL)
	s_mov_b32 ttmp2, m0
	s_waitcnt lgkmcnt(0)
	s_and_b32 s0, s0, 0x3ff
	s_delay_alu instid0(SALU_CYCLE_1) | instskip(NEXT) | instid1(SALU_CYCLE_1)
	s_bitset1_b32 s0, 10
	s_mov_b32 m0, s0
	s_sendmsg sendmsg(MSG_INTERRUPT)
	s_mov_b32 m0, ttmp2
.LBB4_6684:                             ; =>This Inner Loop Header: Depth=1
	s_sethalt 5
	s_branch .LBB4_6684
.LBB4_6685:
	s_trap 2
	s_sendmsg_rtn_b32 s0, sendmsg(MSG_RTN_GET_DOORBELL)
	s_mov_b32 ttmp2, m0
	s_waitcnt lgkmcnt(0)
	s_and_b32 s0, s0, 0x3ff
	s_delay_alu instid0(SALU_CYCLE_1) | instskip(NEXT) | instid1(SALU_CYCLE_1)
	s_bitset1_b32 s0, 10
	s_mov_b32 m0, s0
	s_sendmsg sendmsg(MSG_INTERRUPT)
	s_mov_b32 m0, ttmp2
.LBB4_6686:                             ; =>This Inner Loop Header: Depth=1
	s_sethalt 5
	s_branch .LBB4_6686
.LBB4_6687:
	s_trap 2
	s_sendmsg_rtn_b32 s0, sendmsg(MSG_RTN_GET_DOORBELL)
	s_mov_b32 ttmp2, m0
	s_waitcnt lgkmcnt(0)
	s_and_b32 s0, s0, 0x3ff
	s_delay_alu instid0(SALU_CYCLE_1) | instskip(NEXT) | instid1(SALU_CYCLE_1)
	s_bitset1_b32 s0, 10
	s_mov_b32 m0, s0
	s_sendmsg sendmsg(MSG_INTERRUPT)
	s_mov_b32 m0, ttmp2
.LBB4_6688:                             ; =>This Inner Loop Header: Depth=1
	s_sethalt 5
	s_branch .LBB4_6688
.LBB4_6689:
	s_trap 2
	s_sendmsg_rtn_b32 s0, sendmsg(MSG_RTN_GET_DOORBELL)
	s_mov_b32 ttmp2, m0
	s_waitcnt lgkmcnt(0)
	s_and_b32 s0, s0, 0x3ff
	s_delay_alu instid0(SALU_CYCLE_1) | instskip(NEXT) | instid1(SALU_CYCLE_1)
	s_bitset1_b32 s0, 10
	s_mov_b32 m0, s0
	s_sendmsg sendmsg(MSG_INTERRUPT)
	s_mov_b32 m0, ttmp2
.LBB4_6690:                             ; =>This Inner Loop Header: Depth=1
	s_sethalt 5
	s_branch .LBB4_6690
.LBB4_6691:
	s_trap 2
	s_sendmsg_rtn_b32 s0, sendmsg(MSG_RTN_GET_DOORBELL)
	s_mov_b32 ttmp2, m0
	s_waitcnt lgkmcnt(0)
	s_and_b32 s0, s0, 0x3ff
	s_delay_alu instid0(SALU_CYCLE_1) | instskip(NEXT) | instid1(SALU_CYCLE_1)
	s_bitset1_b32 s0, 10
	s_mov_b32 m0, s0
	s_sendmsg sendmsg(MSG_INTERRUPT)
	s_mov_b32 m0, ttmp2
.LBB4_6692:                             ; =>This Inner Loop Header: Depth=1
	s_sethalt 5
	s_branch .LBB4_6692
.LBB4_6693:
	s_trap 2
	s_sendmsg_rtn_b32 s0, sendmsg(MSG_RTN_GET_DOORBELL)
	s_mov_b32 ttmp2, m0
	s_waitcnt lgkmcnt(0)
	s_and_b32 s0, s0, 0x3ff
	s_delay_alu instid0(SALU_CYCLE_1) | instskip(NEXT) | instid1(SALU_CYCLE_1)
	s_bitset1_b32 s0, 10
	s_mov_b32 m0, s0
	s_sendmsg sendmsg(MSG_INTERRUPT)
	s_mov_b32 m0, ttmp2
.LBB4_6694:                             ; =>This Inner Loop Header: Depth=1
	s_sethalt 5
	s_branch .LBB4_6694
.LBB4_6695:
	s_trap 2
	s_sendmsg_rtn_b32 s0, sendmsg(MSG_RTN_GET_DOORBELL)
	s_mov_b32 ttmp2, m0
	s_waitcnt lgkmcnt(0)
	s_and_b32 s0, s0, 0x3ff
	s_delay_alu instid0(SALU_CYCLE_1) | instskip(NEXT) | instid1(SALU_CYCLE_1)
	s_bitset1_b32 s0, 10
	s_mov_b32 m0, s0
	s_sendmsg sendmsg(MSG_INTERRUPT)
	s_mov_b32 m0, ttmp2
.LBB4_6696:                             ; =>This Inner Loop Header: Depth=1
	s_sethalt 5
	s_branch .LBB4_6696
.LBB4_6697:
	s_trap 2
	s_sendmsg_rtn_b32 s0, sendmsg(MSG_RTN_GET_DOORBELL)
	s_mov_b32 ttmp2, m0
	s_waitcnt lgkmcnt(0)
	s_and_b32 s0, s0, 0x3ff
	s_delay_alu instid0(SALU_CYCLE_1) | instskip(NEXT) | instid1(SALU_CYCLE_1)
	s_bitset1_b32 s0, 10
	s_mov_b32 m0, s0
	s_sendmsg sendmsg(MSG_INTERRUPT)
	s_mov_b32 m0, ttmp2
.LBB4_6698:                             ; =>This Inner Loop Header: Depth=1
	s_sethalt 5
	s_branch .LBB4_6698
.LBB4_6699:
	s_trap 2
	s_sendmsg_rtn_b32 s0, sendmsg(MSG_RTN_GET_DOORBELL)
	s_mov_b32 ttmp2, m0
	s_waitcnt lgkmcnt(0)
	s_and_b32 s0, s0, 0x3ff
	s_delay_alu instid0(SALU_CYCLE_1) | instskip(NEXT) | instid1(SALU_CYCLE_1)
	s_bitset1_b32 s0, 10
	s_mov_b32 m0, s0
	s_sendmsg sendmsg(MSG_INTERRUPT)
	s_mov_b32 m0, ttmp2
.LBB4_6700:                             ; =>This Inner Loop Header: Depth=1
	s_sethalt 5
	s_branch .LBB4_6700
.LBB4_6701:
	s_trap 2
	s_sendmsg_rtn_b32 s0, sendmsg(MSG_RTN_GET_DOORBELL)
	s_mov_b32 ttmp2, m0
	s_waitcnt lgkmcnt(0)
	s_and_b32 s0, s0, 0x3ff
	s_delay_alu instid0(SALU_CYCLE_1) | instskip(NEXT) | instid1(SALU_CYCLE_1)
	s_bitset1_b32 s0, 10
	s_mov_b32 m0, s0
	s_sendmsg sendmsg(MSG_INTERRUPT)
	s_mov_b32 m0, ttmp2
.LBB4_6702:                             ; =>This Inner Loop Header: Depth=1
	s_sethalt 5
	s_branch .LBB4_6702
.LBB4_6703:
	s_trap 2
	s_sendmsg_rtn_b32 s0, sendmsg(MSG_RTN_GET_DOORBELL)
	s_mov_b32 ttmp2, m0
	s_waitcnt lgkmcnt(0)
	s_and_b32 s0, s0, 0x3ff
	s_delay_alu instid0(SALU_CYCLE_1) | instskip(NEXT) | instid1(SALU_CYCLE_1)
	s_bitset1_b32 s0, 10
	s_mov_b32 m0, s0
	s_sendmsg sendmsg(MSG_INTERRUPT)
	s_mov_b32 m0, ttmp2
.LBB4_6704:                             ; =>This Inner Loop Header: Depth=1
	s_sethalt 5
	s_branch .LBB4_6704
.LBB4_6705:
	s_trap 2
	s_sendmsg_rtn_b32 s0, sendmsg(MSG_RTN_GET_DOORBELL)
	s_mov_b32 ttmp2, m0
	s_waitcnt lgkmcnt(0)
	s_and_b32 s0, s0, 0x3ff
	s_delay_alu instid0(SALU_CYCLE_1) | instskip(NEXT) | instid1(SALU_CYCLE_1)
	s_bitset1_b32 s0, 10
	s_mov_b32 m0, s0
	s_sendmsg sendmsg(MSG_INTERRUPT)
	s_mov_b32 m0, ttmp2
.LBB4_6706:                             ; =>This Inner Loop Header: Depth=1
	s_sethalt 5
	s_branch .LBB4_6706
.LBB4_6707:
	s_trap 2
	s_sendmsg_rtn_b32 s0, sendmsg(MSG_RTN_GET_DOORBELL)
	s_mov_b32 ttmp2, m0
	s_waitcnt lgkmcnt(0)
	s_and_b32 s0, s0, 0x3ff
	s_delay_alu instid0(SALU_CYCLE_1) | instskip(NEXT) | instid1(SALU_CYCLE_1)
	s_bitset1_b32 s0, 10
	s_mov_b32 m0, s0
	s_sendmsg sendmsg(MSG_INTERRUPT)
	s_mov_b32 m0, ttmp2
.LBB4_6708:                             ; =>This Inner Loop Header: Depth=1
	s_sethalt 5
	s_branch .LBB4_6708
.LBB4_6709:
	s_or_b32 exec_lo, exec_lo, s4
	s_and_saveexec_b32 s4, s5
	s_delay_alu instid0(SALU_CYCLE_1)
	s_xor_b32 s4, exec_lo, s4
	s_cbranch_execz .LBB4_6711
; %bb.6710:
	v_mov_b32_e32 v0, 1
	ds_store_b32 v0, v0
	s_cbranch_execnz .LBB4_6757
.LBB4_6711:
	s_or_b32 exec_lo, exec_lo, s3
	;;#ASMSTART
	s_wakeup
	;;#ASMEND
.LBB4_6712:
	s_or_b32 exec_lo, exec_lo, s2
.LBB4_6713:
	s_and_not1_saveexec_b32 s1, s1
	s_cbranch_execz .LBB4_6715
; %bb.6714:
	s_waitcnt vmcnt(0) lgkmcnt(0)
	s_waitcnt_vscnt null, 0x0
	buffer_gl1_inv
	buffer_gl0_inv
	s_barrier
.LBB4_6715:
	s_or_b32 exec_lo, exec_lo, s0
.LBB4_6716:
	s_and_not1_saveexec_b32 s21, s13
	s_cbranch_execz .LBB4_6718
; %bb.6717:
	s_getpc_b64 s[0:1]
	s_add_u32 s0, s0, __PRETTY_FUNCTION__._ZN10PrimitivesI11rccl_float810FuncMinMaxIS0_E12FanSymmetricILi1EELi0E11ProtoSimpleILi1ELi1ELi0ELi2ELi0ELi0EELi0ELb0ELi0ELi0ELi0EEC2EiiPKiS9_PKvPvmhhhP15ncclDevWorkCollP14ncclDevWorkP2pii@rel32@lo+4
	s_addc_u32 s1, s1, __PRETTY_FUNCTION__._ZN10PrimitivesI11rccl_float810FuncMinMaxIS0_E12FanSymmetricILi1EELi0E11ProtoSimpleILi1ELi1ELi0ELi2ELi0ELi0EELi0ELb0ELi0ELi0ELi0EEC2EiiPKiS9_PKvPvmhhhP15ncclDevWorkCollP14ncclDevWorkP2pii@rel32@hi+12
	s_delay_alu instid0(SALU_CYCLE_1) | instskip(SKIP_3) | instid1(SALU_CYCLE_1)
	v_dual_mov_b32 v0, s0 :: v_dual_mov_b32 v1, s1
	s_getpc_b64 s[2:3]
	s_add_u32 s2, s2, __assert_fail@rel32@lo+4
	s_addc_u32 s3, s3, __assert_fail@rel32@hi+12
	s_swappc_b64 s[30:31], s[2:3]
	; divergent unreachable
.LBB4_6718:
	s_or_b32 exec_lo, exec_lo, s21
	scratch_load_b32 v40, off, s33          ; 4-byte Folded Reload
	v_readlane_b32 s30, v41, 0
	v_readlane_b32 s31, v41, 1
	;; [unrolled: 1-line block ×3, first 2 shown]
	s_or_saveexec_b32 s1, -1
	scratch_load_b32 v41, off, s33 offset:4 ; 4-byte Folded Reload
	s_mov_b32 exec_lo, s1
	s_add_i32 s32, s32, -16
	s_mov_b32 s33, s0
	s_waitcnt vmcnt(0) lgkmcnt(0)
	s_setpc_b64 s[30:31]
.LBB4_6719:
	s_trap 2
	s_sendmsg_rtn_b32 s0, sendmsg(MSG_RTN_GET_DOORBELL)
	s_mov_b32 ttmp2, m0
	s_waitcnt lgkmcnt(0)
	s_and_b32 s0, s0, 0x3ff
	s_delay_alu instid0(SALU_CYCLE_1) | instskip(NEXT) | instid1(SALU_CYCLE_1)
	s_bitset1_b32 s0, 10
	s_mov_b32 m0, s0
	s_sendmsg sendmsg(MSG_INTERRUPT)
	s_mov_b32 m0, ttmp2
.LBB4_6720:                             ; =>This Inner Loop Header: Depth=1
	s_sethalt 5
	s_branch .LBB4_6720
.LBB4_6721:
	s_trap 2
	s_sendmsg_rtn_b32 s0, sendmsg(MSG_RTN_GET_DOORBELL)
	s_mov_b32 ttmp2, m0
	s_waitcnt lgkmcnt(0)
	s_and_b32 s0, s0, 0x3ff
	s_delay_alu instid0(SALU_CYCLE_1) | instskip(NEXT) | instid1(SALU_CYCLE_1)
	s_bitset1_b32 s0, 10
	s_mov_b32 m0, s0
	s_sendmsg sendmsg(MSG_INTERRUPT)
	s_mov_b32 m0, ttmp2
.LBB4_6722:                             ; =>This Inner Loop Header: Depth=1
	s_sethalt 5
	s_branch .LBB4_6722
.LBB4_6723:
	s_trap 2
	s_sendmsg_rtn_b32 s0, sendmsg(MSG_RTN_GET_DOORBELL)
	s_mov_b32 ttmp2, m0
	s_waitcnt lgkmcnt(0)
	s_and_b32 s0, s0, 0x3ff
	s_delay_alu instid0(SALU_CYCLE_1) | instskip(NEXT) | instid1(SALU_CYCLE_1)
	s_bitset1_b32 s0, 10
	s_mov_b32 m0, s0
	s_sendmsg sendmsg(MSG_INTERRUPT)
	s_mov_b32 m0, ttmp2
.LBB4_6724:                             ; =>This Inner Loop Header: Depth=1
	s_sethalt 5
	s_branch .LBB4_6724
.LBB4_6725:
	s_trap 2
	s_sendmsg_rtn_b32 s0, sendmsg(MSG_RTN_GET_DOORBELL)
	s_mov_b32 ttmp2, m0
	s_waitcnt lgkmcnt(0)
	s_and_b32 s0, s0, 0x3ff
	s_delay_alu instid0(SALU_CYCLE_1) | instskip(NEXT) | instid1(SALU_CYCLE_1)
	s_bitset1_b32 s0, 10
	s_mov_b32 m0, s0
	s_sendmsg sendmsg(MSG_INTERRUPT)
	s_mov_b32 m0, ttmp2
.LBB4_6726:                             ; =>This Inner Loop Header: Depth=1
	s_sethalt 5
	s_branch .LBB4_6726
.LBB4_6727:
	s_trap 2
	s_sendmsg_rtn_b32 s0, sendmsg(MSG_RTN_GET_DOORBELL)
	s_mov_b32 ttmp2, m0
	s_waitcnt lgkmcnt(0)
	s_and_b32 s0, s0, 0x3ff
	s_delay_alu instid0(SALU_CYCLE_1) | instskip(NEXT) | instid1(SALU_CYCLE_1)
	s_bitset1_b32 s0, 10
	s_mov_b32 m0, s0
	s_sendmsg sendmsg(MSG_INTERRUPT)
	s_mov_b32 m0, ttmp2
.LBB4_6728:                             ; =>This Inner Loop Header: Depth=1
	s_sethalt 5
	s_branch .LBB4_6728
.LBB4_6729:
	s_trap 2
	s_sendmsg_rtn_b32 s0, sendmsg(MSG_RTN_GET_DOORBELL)
	s_mov_b32 ttmp2, m0
	s_waitcnt lgkmcnt(0)
	s_and_b32 s0, s0, 0x3ff
	s_delay_alu instid0(SALU_CYCLE_1) | instskip(NEXT) | instid1(SALU_CYCLE_1)
	s_bitset1_b32 s0, 10
	s_mov_b32 m0, s0
	s_sendmsg sendmsg(MSG_INTERRUPT)
	s_mov_b32 m0, ttmp2
.LBB4_6730:                             ; =>This Inner Loop Header: Depth=1
	s_sethalt 5
	s_branch .LBB4_6730
.LBB4_6731:
	s_trap 2
	s_sendmsg_rtn_b32 s0, sendmsg(MSG_RTN_GET_DOORBELL)
	s_mov_b32 ttmp2, m0
	s_waitcnt lgkmcnt(0)
	s_and_b32 s0, s0, 0x3ff
	s_delay_alu instid0(SALU_CYCLE_1) | instskip(NEXT) | instid1(SALU_CYCLE_1)
	s_bitset1_b32 s0, 10
	s_mov_b32 m0, s0
	s_sendmsg sendmsg(MSG_INTERRUPT)
	s_mov_b32 m0, ttmp2
.LBB4_6732:                             ; =>This Inner Loop Header: Depth=1
	s_sethalt 5
	s_branch .LBB4_6732
.LBB4_6733:
	s_trap 2
	s_sendmsg_rtn_b32 s0, sendmsg(MSG_RTN_GET_DOORBELL)
	s_mov_b32 ttmp2, m0
	s_waitcnt lgkmcnt(0)
	s_and_b32 s0, s0, 0x3ff
	s_delay_alu instid0(SALU_CYCLE_1) | instskip(NEXT) | instid1(SALU_CYCLE_1)
	s_bitset1_b32 s0, 10
	s_mov_b32 m0, s0
	s_sendmsg sendmsg(MSG_INTERRUPT)
	s_mov_b32 m0, ttmp2
.LBB4_6734:                             ; =>This Inner Loop Header: Depth=1
	s_sethalt 5
	s_branch .LBB4_6734
.LBB4_6735:
	s_trap 2
	s_sendmsg_rtn_b32 s0, sendmsg(MSG_RTN_GET_DOORBELL)
	s_mov_b32 ttmp2, m0
	s_waitcnt lgkmcnt(0)
	s_and_b32 s0, s0, 0x3ff
	s_delay_alu instid0(SALU_CYCLE_1) | instskip(NEXT) | instid1(SALU_CYCLE_1)
	s_bitset1_b32 s0, 10
	s_mov_b32 m0, s0
	s_sendmsg sendmsg(MSG_INTERRUPT)
	s_mov_b32 m0, ttmp2
.LBB4_6736:                             ; =>This Inner Loop Header: Depth=1
	s_sethalt 5
	s_branch .LBB4_6736
.LBB4_6737:
	s_trap 2
	s_sendmsg_rtn_b32 s0, sendmsg(MSG_RTN_GET_DOORBELL)
	s_mov_b32 ttmp2, m0
	s_waitcnt lgkmcnt(0)
	s_and_b32 s0, s0, 0x3ff
	s_delay_alu instid0(SALU_CYCLE_1) | instskip(NEXT) | instid1(SALU_CYCLE_1)
	s_bitset1_b32 s0, 10
	s_mov_b32 m0, s0
	s_sendmsg sendmsg(MSG_INTERRUPT)
	s_mov_b32 m0, ttmp2
.LBB4_6738:                             ; =>This Inner Loop Header: Depth=1
	s_sethalt 5
	s_branch .LBB4_6738
.LBB4_6739:
	s_trap 2
	s_sendmsg_rtn_b32 s0, sendmsg(MSG_RTN_GET_DOORBELL)
	s_mov_b32 ttmp2, m0
	s_waitcnt lgkmcnt(0)
	s_and_b32 s0, s0, 0x3ff
	s_delay_alu instid0(SALU_CYCLE_1) | instskip(NEXT) | instid1(SALU_CYCLE_1)
	s_bitset1_b32 s0, 10
	s_mov_b32 m0, s0
	s_sendmsg sendmsg(MSG_INTERRUPT)
	s_mov_b32 m0, ttmp2
.LBB4_6740:                             ; =>This Inner Loop Header: Depth=1
	s_sethalt 5
	s_branch .LBB4_6740
.LBB4_6741:
	s_trap 2
	s_sendmsg_rtn_b32 s0, sendmsg(MSG_RTN_GET_DOORBELL)
	s_mov_b32 ttmp2, m0
	s_waitcnt lgkmcnt(0)
	s_and_b32 s0, s0, 0x3ff
	s_delay_alu instid0(SALU_CYCLE_1) | instskip(NEXT) | instid1(SALU_CYCLE_1)
	s_bitset1_b32 s0, 10
	s_mov_b32 m0, s0
	s_sendmsg sendmsg(MSG_INTERRUPT)
	s_mov_b32 m0, ttmp2
.LBB4_6742:                             ; =>This Inner Loop Header: Depth=1
	s_sethalt 5
	s_branch .LBB4_6742
.LBB4_6743:
	s_trap 2
	s_sendmsg_rtn_b32 s0, sendmsg(MSG_RTN_GET_DOORBELL)
	s_mov_b32 ttmp2, m0
	s_waitcnt lgkmcnt(0)
	s_and_b32 s0, s0, 0x3ff
	s_delay_alu instid0(SALU_CYCLE_1) | instskip(NEXT) | instid1(SALU_CYCLE_1)
	s_bitset1_b32 s0, 10
	s_mov_b32 m0, s0
	s_sendmsg sendmsg(MSG_INTERRUPT)
	s_mov_b32 m0, ttmp2
.LBB4_6744:                             ; =>This Inner Loop Header: Depth=1
	s_sethalt 5
	s_branch .LBB4_6744
.LBB4_6745:
	s_trap 2
	s_sendmsg_rtn_b32 s0, sendmsg(MSG_RTN_GET_DOORBELL)
	s_mov_b32 ttmp2, m0
	s_waitcnt lgkmcnt(0)
	s_and_b32 s0, s0, 0x3ff
	s_delay_alu instid0(SALU_CYCLE_1) | instskip(NEXT) | instid1(SALU_CYCLE_1)
	s_bitset1_b32 s0, 10
	s_mov_b32 m0, s0
	s_sendmsg sendmsg(MSG_INTERRUPT)
	s_mov_b32 m0, ttmp2
.LBB4_6746:                             ; =>This Inner Loop Header: Depth=1
	s_sethalt 5
	s_branch .LBB4_6746
.LBB4_6747:
	s_trap 2
	s_sendmsg_rtn_b32 s0, sendmsg(MSG_RTN_GET_DOORBELL)
	s_mov_b32 ttmp2, m0
	s_waitcnt lgkmcnt(0)
	s_and_b32 s0, s0, 0x3ff
	s_delay_alu instid0(SALU_CYCLE_1) | instskip(NEXT) | instid1(SALU_CYCLE_1)
	s_bitset1_b32 s0, 10
	s_mov_b32 m0, s0
	s_sendmsg sendmsg(MSG_INTERRUPT)
	s_mov_b32 m0, ttmp2
.LBB4_6748:                             ; =>This Inner Loop Header: Depth=1
	s_sethalt 5
	s_branch .LBB4_6748
.LBB4_6749:
	s_trap 2
	s_sendmsg_rtn_b32 s0, sendmsg(MSG_RTN_GET_DOORBELL)
	s_mov_b32 ttmp2, m0
	s_waitcnt lgkmcnt(0)
	s_and_b32 s0, s0, 0x3ff
	s_delay_alu instid0(SALU_CYCLE_1) | instskip(NEXT) | instid1(SALU_CYCLE_1)
	s_bitset1_b32 s0, 10
	s_mov_b32 m0, s0
	s_sendmsg sendmsg(MSG_INTERRUPT)
	s_mov_b32 m0, ttmp2
.LBB4_6750:                             ; =>This Inner Loop Header: Depth=1
	s_sethalt 5
	s_branch .LBB4_6750
.LBB4_6751:
	s_trap 2
	s_sendmsg_rtn_b32 s0, sendmsg(MSG_RTN_GET_DOORBELL)
	s_mov_b32 ttmp2, m0
	s_waitcnt lgkmcnt(0)
	s_and_b32 s0, s0, 0x3ff
	s_delay_alu instid0(SALU_CYCLE_1) | instskip(NEXT) | instid1(SALU_CYCLE_1)
	s_bitset1_b32 s0, 10
	s_mov_b32 m0, s0
	s_sendmsg sendmsg(MSG_INTERRUPT)
	s_mov_b32 m0, ttmp2
.LBB4_6752:                             ; =>This Inner Loop Header: Depth=1
	s_sethalt 5
	s_branch .LBB4_6752
.LBB4_6753:
	s_trap 2
	s_sendmsg_rtn_b32 s0, sendmsg(MSG_RTN_GET_DOORBELL)
	s_mov_b32 ttmp2, m0
	s_waitcnt lgkmcnt(0)
	s_and_b32 s0, s0, 0x3ff
	s_delay_alu instid0(SALU_CYCLE_1) | instskip(NEXT) | instid1(SALU_CYCLE_1)
	s_bitset1_b32 s0, 10
	s_mov_b32 m0, s0
	s_sendmsg sendmsg(MSG_INTERRUPT)
	s_mov_b32 m0, ttmp2
.LBB4_6754:                             ; =>This Inner Loop Header: Depth=1
	s_sethalt 5
	s_branch .LBB4_6754
.LBB4_6755:
	s_trap 2
	s_sendmsg_rtn_b32 s0, sendmsg(MSG_RTN_GET_DOORBELL)
	s_mov_b32 ttmp2, m0
	s_waitcnt lgkmcnt(0)
	s_and_b32 s0, s0, 0x3ff
	s_delay_alu instid0(SALU_CYCLE_1) | instskip(NEXT) | instid1(SALU_CYCLE_1)
	s_bitset1_b32 s0, 10
	s_mov_b32 m0, s0
	s_sendmsg sendmsg(MSG_INTERRUPT)
	s_mov_b32 m0, ttmp2
.LBB4_6756:                             ; =>This Inner Loop Header: Depth=1
	s_sethalt 5
	s_branch .LBB4_6756
.LBB4_6757:
	s_trap 2
	s_sendmsg_rtn_b32 s0, sendmsg(MSG_RTN_GET_DOORBELL)
	s_mov_b32 ttmp2, m0
	s_waitcnt lgkmcnt(0)
	s_and_b32 s0, s0, 0x3ff
	s_delay_alu instid0(SALU_CYCLE_1) | instskip(NEXT) | instid1(SALU_CYCLE_1)
	s_bitset1_b32 s0, 10
	s_mov_b32 m0, s0
	s_sendmsg sendmsg(MSG_INTERRUPT)
	s_mov_b32 m0, ttmp2
.LBB4_6758:                             ; =>This Inner Loop Header: Depth=1
	s_sethalt 5
	s_branch .LBB4_6758
.LBB4_6759:
	s_trap 2
	s_sendmsg_rtn_b32 s0, sendmsg(MSG_RTN_GET_DOORBELL)
	s_mov_b32 ttmp2, m0
	s_waitcnt lgkmcnt(0)
	s_and_b32 s0, s0, 0x3ff
	s_delay_alu instid0(SALU_CYCLE_1) | instskip(NEXT) | instid1(SALU_CYCLE_1)
	s_bitset1_b32 s0, 10
	s_mov_b32 m0, s0
	s_sendmsg sendmsg(MSG_INTERRUPT)
	s_mov_b32 m0, ttmp2
.LBB4_6760:                             ; =>This Inner Loop Header: Depth=1
	s_sethalt 5
	s_branch .LBB4_6760
.LBB4_6761:
	s_trap 2
	s_sendmsg_rtn_b32 s0, sendmsg(MSG_RTN_GET_DOORBELL)
	s_mov_b32 ttmp2, m0
	s_waitcnt lgkmcnt(0)
	s_and_b32 s0, s0, 0x3ff
	s_delay_alu instid0(SALU_CYCLE_1) | instskip(NEXT) | instid1(SALU_CYCLE_1)
	s_bitset1_b32 s0, 10
	s_mov_b32 m0, s0
	s_sendmsg sendmsg(MSG_INTERRUPT)
	s_mov_b32 m0, ttmp2
.LBB4_6762:                             ; =>This Inner Loop Header: Depth=1
	s_sethalt 5
	s_branch .LBB4_6762
.LBB4_6763:
	s_trap 2
	s_sendmsg_rtn_b32 s0, sendmsg(MSG_RTN_GET_DOORBELL)
	s_mov_b32 ttmp2, m0
	s_waitcnt lgkmcnt(0)
	s_and_b32 s0, s0, 0x3ff
	s_delay_alu instid0(SALU_CYCLE_1) | instskip(NEXT) | instid1(SALU_CYCLE_1)
	s_bitset1_b32 s0, 10
	s_mov_b32 m0, s0
	s_sendmsg sendmsg(MSG_INTERRUPT)
	s_mov_b32 m0, ttmp2
.LBB4_6764:                             ; =>This Inner Loop Header: Depth=1
	s_sethalt 5
	s_branch .LBB4_6764
.LBB4_6765:
	s_trap 2
	s_sendmsg_rtn_b32 s0, sendmsg(MSG_RTN_GET_DOORBELL)
	s_mov_b32 ttmp2, m0
	s_waitcnt lgkmcnt(0)
	s_and_b32 s0, s0, 0x3ff
	s_delay_alu instid0(SALU_CYCLE_1) | instskip(NEXT) | instid1(SALU_CYCLE_1)
	s_bitset1_b32 s0, 10
	s_mov_b32 m0, s0
	s_sendmsg sendmsg(MSG_INTERRUPT)
	s_mov_b32 m0, ttmp2
.LBB4_6766:                             ; =>This Inner Loop Header: Depth=1
	s_sethalt 5
	s_branch .LBB4_6766
.LBB4_6767:
	s_trap 2
	s_sendmsg_rtn_b32 s0, sendmsg(MSG_RTN_GET_DOORBELL)
	s_mov_b32 ttmp2, m0
	s_waitcnt lgkmcnt(0)
	s_and_b32 s0, s0, 0x3ff
	s_delay_alu instid0(SALU_CYCLE_1) | instskip(NEXT) | instid1(SALU_CYCLE_1)
	s_bitset1_b32 s0, 10
	s_mov_b32 m0, s0
	s_sendmsg sendmsg(MSG_INTERRUPT)
	s_mov_b32 m0, ttmp2
.LBB4_6768:                             ; =>This Inner Loop Header: Depth=1
	s_sethalt 5
	s_branch .LBB4_6768
.LBB4_6769:
	s_trap 2
	s_sendmsg_rtn_b32 s0, sendmsg(MSG_RTN_GET_DOORBELL)
	s_mov_b32 ttmp2, m0
	s_waitcnt lgkmcnt(0)
	s_and_b32 s0, s0, 0x3ff
	s_delay_alu instid0(SALU_CYCLE_1) | instskip(NEXT) | instid1(SALU_CYCLE_1)
	s_bitset1_b32 s0, 10
	s_mov_b32 m0, s0
	s_sendmsg sendmsg(MSG_INTERRUPT)
	s_mov_b32 m0, ttmp2
.LBB4_6770:                             ; =>This Inner Loop Header: Depth=1
	s_sethalt 5
	s_branch .LBB4_6770
.LBB4_6771:
	s_trap 2
	s_sendmsg_rtn_b32 s0, sendmsg(MSG_RTN_GET_DOORBELL)
	s_mov_b32 ttmp2, m0
	s_waitcnt lgkmcnt(0)
	s_and_b32 s0, s0, 0x3ff
	s_delay_alu instid0(SALU_CYCLE_1) | instskip(NEXT) | instid1(SALU_CYCLE_1)
	s_bitset1_b32 s0, 10
	s_mov_b32 m0, s0
	s_sendmsg sendmsg(MSG_INTERRUPT)
	s_mov_b32 m0, ttmp2
.LBB4_6772:                             ; =>This Inner Loop Header: Depth=1
	s_sethalt 5
	s_branch .LBB4_6772
.LBB4_6773:
	s_trap 2
	s_sendmsg_rtn_b32 s0, sendmsg(MSG_RTN_GET_DOORBELL)
	s_mov_b32 ttmp2, m0
	s_waitcnt lgkmcnt(0)
	s_and_b32 s0, s0, 0x3ff
	s_delay_alu instid0(SALU_CYCLE_1) | instskip(NEXT) | instid1(SALU_CYCLE_1)
	s_bitset1_b32 s0, 10
	s_mov_b32 m0, s0
	s_sendmsg sendmsg(MSG_INTERRUPT)
	s_mov_b32 m0, ttmp2
.LBB4_6774:                             ; =>This Inner Loop Header: Depth=1
	s_sethalt 5
	s_branch .LBB4_6774
.LBB4_6775:
	s_trap 2
	s_sendmsg_rtn_b32 s0, sendmsg(MSG_RTN_GET_DOORBELL)
	s_mov_b32 ttmp2, m0
	s_waitcnt lgkmcnt(0)
	s_and_b32 s0, s0, 0x3ff
	s_delay_alu instid0(SALU_CYCLE_1) | instskip(NEXT) | instid1(SALU_CYCLE_1)
	s_bitset1_b32 s0, 10
	s_mov_b32 m0, s0
	s_sendmsg sendmsg(MSG_INTERRUPT)
	s_mov_b32 m0, ttmp2
.LBB4_6776:                             ; =>This Inner Loop Header: Depth=1
	s_sethalt 5
	s_branch .LBB4_6776
.LBB4_6777:
	s_trap 2
	s_sendmsg_rtn_b32 s0, sendmsg(MSG_RTN_GET_DOORBELL)
	s_mov_b32 ttmp2, m0
	s_waitcnt lgkmcnt(0)
	s_and_b32 s0, s0, 0x3ff
	s_delay_alu instid0(SALU_CYCLE_1) | instskip(NEXT) | instid1(SALU_CYCLE_1)
	s_bitset1_b32 s0, 10
	s_mov_b32 m0, s0
	s_sendmsg sendmsg(MSG_INTERRUPT)
	s_mov_b32 m0, ttmp2
.LBB4_6778:                             ; =>This Inner Loop Header: Depth=1
	s_sethalt 5
	s_branch .LBB4_6778
.LBB4_6779:
	s_trap 2
	s_sendmsg_rtn_b32 s0, sendmsg(MSG_RTN_GET_DOORBELL)
	s_mov_b32 ttmp2, m0
	s_waitcnt lgkmcnt(0)
	s_and_b32 s0, s0, 0x3ff
	s_delay_alu instid0(SALU_CYCLE_1) | instskip(NEXT) | instid1(SALU_CYCLE_1)
	s_bitset1_b32 s0, 10
	s_mov_b32 m0, s0
	s_sendmsg sendmsg(MSG_INTERRUPT)
	s_mov_b32 m0, ttmp2
.LBB4_6780:                             ; =>This Inner Loop Header: Depth=1
	s_sethalt 5
	s_branch .LBB4_6780
.LBB4_6781:
	s_trap 2
	s_sendmsg_rtn_b32 s0, sendmsg(MSG_RTN_GET_DOORBELL)
	s_mov_b32 ttmp2, m0
	s_waitcnt lgkmcnt(0)
	s_and_b32 s0, s0, 0x3ff
	s_delay_alu instid0(SALU_CYCLE_1) | instskip(NEXT) | instid1(SALU_CYCLE_1)
	s_bitset1_b32 s0, 10
	s_mov_b32 m0, s0
	s_sendmsg sendmsg(MSG_INTERRUPT)
	s_mov_b32 m0, ttmp2
.LBB4_6782:                             ; =>This Inner Loop Header: Depth=1
	s_sethalt 5
	s_branch .LBB4_6782
.LBB4_6783:
	s_trap 2
	s_sendmsg_rtn_b32 s0, sendmsg(MSG_RTN_GET_DOORBELL)
	s_mov_b32 ttmp2, m0
	s_waitcnt lgkmcnt(0)
	s_and_b32 s0, s0, 0x3ff
	s_delay_alu instid0(SALU_CYCLE_1) | instskip(NEXT) | instid1(SALU_CYCLE_1)
	s_bitset1_b32 s0, 10
	s_mov_b32 m0, s0
	s_sendmsg sendmsg(MSG_INTERRUPT)
	s_mov_b32 m0, ttmp2
.LBB4_6784:                             ; =>This Inner Loop Header: Depth=1
	s_sethalt 5
	s_branch .LBB4_6784
.LBB4_6785:
	s_trap 2
	s_sendmsg_rtn_b32 s0, sendmsg(MSG_RTN_GET_DOORBELL)
	s_mov_b32 ttmp2, m0
	s_waitcnt lgkmcnt(0)
	s_and_b32 s0, s0, 0x3ff
	s_delay_alu instid0(SALU_CYCLE_1) | instskip(NEXT) | instid1(SALU_CYCLE_1)
	s_bitset1_b32 s0, 10
	s_mov_b32 m0, s0
	s_sendmsg sendmsg(MSG_INTERRUPT)
	s_mov_b32 m0, ttmp2
.LBB4_6786:                             ; =>This Inner Loop Header: Depth=1
	s_sethalt 5
	s_branch .LBB4_6786
.LBB4_6787:
	s_trap 2
	s_sendmsg_rtn_b32 s0, sendmsg(MSG_RTN_GET_DOORBELL)
	s_mov_b32 ttmp2, m0
	s_waitcnt lgkmcnt(0)
	s_and_b32 s0, s0, 0x3ff
	s_delay_alu instid0(SALU_CYCLE_1) | instskip(NEXT) | instid1(SALU_CYCLE_1)
	s_bitset1_b32 s0, 10
	s_mov_b32 m0, s0
	s_sendmsg sendmsg(MSG_INTERRUPT)
	s_mov_b32 m0, ttmp2
.LBB4_6788:                             ; =>This Inner Loop Header: Depth=1
	s_sethalt 5
	s_branch .LBB4_6788
.LBB4_6789:
	s_trap 2
	s_sendmsg_rtn_b32 s0, sendmsg(MSG_RTN_GET_DOORBELL)
	s_mov_b32 ttmp2, m0
	s_waitcnt lgkmcnt(0)
	s_and_b32 s0, s0, 0x3ff
	s_delay_alu instid0(SALU_CYCLE_1) | instskip(NEXT) | instid1(SALU_CYCLE_1)
	s_bitset1_b32 s0, 10
	s_mov_b32 m0, s0
	s_sendmsg sendmsg(MSG_INTERRUPT)
	s_mov_b32 m0, ttmp2
.LBB4_6790:                             ; =>This Inner Loop Header: Depth=1
	s_sethalt 5
	s_branch .LBB4_6790
.LBB4_6791:
	s_trap 2
	s_sendmsg_rtn_b32 s0, sendmsg(MSG_RTN_GET_DOORBELL)
	s_mov_b32 ttmp2, m0
	s_waitcnt lgkmcnt(0)
	s_and_b32 s0, s0, 0x3ff
	s_delay_alu instid0(SALU_CYCLE_1) | instskip(NEXT) | instid1(SALU_CYCLE_1)
	s_bitset1_b32 s0, 10
	s_mov_b32 m0, s0
	s_sendmsg sendmsg(MSG_INTERRUPT)
	s_mov_b32 m0, ttmp2
.LBB4_6792:                             ; =>This Inner Loop Header: Depth=1
	s_sethalt 5
	s_branch .LBB4_6792
.LBB4_6793:
	s_trap 2
	s_sendmsg_rtn_b32 s0, sendmsg(MSG_RTN_GET_DOORBELL)
	s_mov_b32 ttmp2, m0
	s_waitcnt lgkmcnt(0)
	s_and_b32 s0, s0, 0x3ff
	s_delay_alu instid0(SALU_CYCLE_1) | instskip(NEXT) | instid1(SALU_CYCLE_1)
	s_bitset1_b32 s0, 10
	s_mov_b32 m0, s0
	s_sendmsg sendmsg(MSG_INTERRUPT)
	s_mov_b32 m0, ttmp2
.LBB4_6794:                             ; =>This Inner Loop Header: Depth=1
	s_sethalt 5
	s_branch .LBB4_6794
.Lfunc_end4:
	.size	_ZN12_GLOBAL__N_17runRingI11rccl_float810FuncMinMaxIS1_E11ProtoSimpleILi1ELi1ELi0ELi2ELi0ELi0EELi0ELi2ELi0EEEviiP15ncclDevWorkColl, .Lfunc_end4-_ZN12_GLOBAL__N_17runRingI11rccl_float810FuncMinMaxIS1_E11ProtoSimpleILi1ELi1ELi0ELi2ELi0ELi0EELi0ELi2ELi0EEEviiP15ncclDevWorkColl
                                        ; -- End function
	.section	.AMDGPU.csdata,"",@progbits
; Function info:
; codeLenInByte = 235588
; NumSgprs: 38
; NumVgprs: 163
; ScratchSize: 80
; MemoryBound: 1
	.text
	.p2align	2                               ; -- Begin function _Z50ncclDevFunc_Reduce_RING_SIMPLE_MinMax_f8e4m3_0_0_2v
	.type	_Z50ncclDevFunc_Reduce_RING_SIMPLE_MinMax_f8e4m3_0_0_2v,@function
_Z50ncclDevFunc_Reduce_RING_SIMPLE_MinMax_f8e4m3_0_0_2v: ; @_Z50ncclDevFunc_Reduce_RING_SIMPLE_MinMax_f8e4m3_0_0_2v
; %bb.0:
	s_waitcnt vmcnt(0) expcnt(0) lgkmcnt(0)
	s_mov_b32 s0, s33
	s_mov_b32 s33, s32
	s_or_saveexec_b32 s1, -1
	scratch_store_b32 off, v40, s33 offset:4 ; 4-byte Folded Spill
	s_mov_b32 exec_lo, s1
	v_writelane_b32 v40, s0, 10
	s_add_i32 s32, s32, 16
	scratch_store_b32 off, v41, s33         ; 4-byte Folded Spill
	v_writelane_b32 v40, s34, 0
	v_writelane_b32 v40, s35, 1
	;; [unrolled: 1-line block ×10, first 2 shown]
	s_cbranch_execnz .LBB5_7
; %bb.1:
	ds_load_b32 v0, v0
	v_and_b32_e32 v163, 0x3ff, v31
	s_mov_b32 s0, exec_lo
	s_waitcnt lgkmcnt(0)
	s_delay_alu instid0(VALU_DEP_1)
	v_cmpx_lt_i32_e64 v163, v0
	s_cbranch_execz .LBB5_9
; %bb.2:
	s_load_b32 s1, s[8:9], 0x0
	v_mov_b32_e32 v1, 0
	s_waitcnt lgkmcnt(0)
	s_cmp_lt_u32 s12, s1
	s_cselect_b32 s1, 12, 18
	s_delay_alu instid0(SALU_CYCLE_1)
	s_add_u32 s2, s8, s1
	s_addc_u32 s3, s9, 0
	s_mov_b32 s1, 0
	global_load_u16 v1, v1, s[2:3]
	s_cbranch_execnz .LBB5_24
; %bb.3:
	ds_load_b32 v2, v0
	v_mov_b32_e32 v3, v163
	s_mov_b32 s2, 0
                                        ; implicit-def: $vgpr4
	s_waitcnt vmcnt(0) lgkmcnt(0)
	v_mul_lo_u32 v2, v2, v1
	s_branch .LBB5_5
	.p2align	6
.LBB5_4:                                ;   in Loop: Header=BB5_5 Depth=1
	s_or_b32 exec_lo, exec_lo, s3
	v_add_nc_u32_e32 v3, v3, v1
	v_add_nc_u32_e32 v4, v4, v2
	s_delay_alu instid0(VALU_DEP_2) | instskip(SKIP_1) | instid1(SALU_CYCLE_1)
	v_cmp_ge_i32_e32 vcc_lo, v3, v0
	s_or_b32 s1, vcc_lo, s1
	s_and_not1_b32 exec_lo, exec_lo, s1
	s_cbranch_execz .LBB5_9
.LBB5_5:                                ; =>This Inner Loop Header: Depth=1
	ds_load_b32 v5, v4
	s_mov_b32 s3, exec_lo
	s_waitcnt lgkmcnt(0)
	v_and_b32_e32 v5, 0x1000000, v5
	s_delay_alu instid0(VALU_DEP_1)
	v_cmpx_ne_u32_e32 0, v5
	s_cbranch_execz .LBB5_4
; %bb.6:                                ;   in Loop: Header=BB5_5 Depth=1
	ds_load_b64 v[5:6], v4 offset:104
	s_waitcnt lgkmcnt(0)
	flat_load_u8 v5, v[5:6]
	s_waitcnt vmcnt(0) lgkmcnt(0)
	v_dual_mov_b32 v6, s2 :: v_dual_and_b32 v5, 0xffff, v5
	ds_store_b64 v4, v[5:6] offset:104
	s_branch .LBB5_4
.LBB5_7:
	s_trap 2
	s_sendmsg_rtn_b32 s0, sendmsg(MSG_RTN_GET_DOORBELL)
	s_mov_b32 ttmp2, m0
	s_waitcnt lgkmcnt(0)
	s_and_b32 s0, s0, 0x3ff
	s_delay_alu instid0(SALU_CYCLE_1) | instskip(NEXT) | instid1(SALU_CYCLE_1)
	s_bitset1_b32 s0, 10
	s_mov_b32 m0, s0
	s_sendmsg sendmsg(MSG_INTERRUPT)
	s_mov_b32 m0, ttmp2
.LBB5_8:                                ; =>This Inner Loop Header: Depth=1
	s_sethalt 5
	s_branch .LBB5_8
.LBB5_9:
	s_or_b32 exec_lo, exec_lo, s0
	s_waitcnt lgkmcnt(0)
	s_waitcnt_vscnt null, 0x0
	s_barrier
	buffer_gl0_inv
	s_cbranch_execnz .LBB5_22
; %bb.10:
	ds_load_b32 v0, v0
	s_waitcnt lgkmcnt(0)
	v_cmp_gt_i32_e32 vcc_lo, 1, v0
	s_cbranch_vccnz .LBB5_21
; %bb.11:
	s_mov_b32 s40, 0
	s_mov_b64 s[38:39], src_shared_base
.LBB5_12:                               ; =>This Inner Loop Header: Depth=1
	s_cbranch_execnz .LBB5_26
; %bb.13:                               ;   in Loop: Header=BB5_12 Depth=1
	ds_load_b32 v0, v0
	s_cmp_eq_u32 s40, 0
	s_cbranch_scc1 .LBB5_17
; %bb.14:                               ;   in Loop: Header=BB5_12 Depth=1
	s_cbranch_execnz .LBB5_30
; %bb.15:                               ;   in Loop: Header=BB5_12 Depth=1
	s_waitcnt lgkmcnt(0)
	ds_load_b32 v1, v0
	s_waitcnt lgkmcnt(0)
	v_xor_b32_e32 v1, v1, v0
	s_delay_alu instid0(VALU_DEP_1) | instskip(NEXT) | instid1(VALU_DEP_1)
	v_and_b32_e32 v1, 0xff0000, v1
	v_cmp_eq_u32_e32 vcc_lo, 0, v1
	s_cbranch_vccnz .LBB5_17
; %bb.16:                               ;   in Loop: Header=BB5_12 Depth=1
	s_waitcnt_vscnt null, 0x0
	s_barrier
	buffer_gl0_inv
	ds_load_b32 v0, v0
.LBB5_17:                               ;   in Loop: Header=BB5_12 Depth=1
	s_waitcnt lgkmcnt(0)
	v_lshrrev_b32_e32 v0, 11, v0
	s_mov_b32 s41, exec_lo
	s_delay_alu instid0(VALU_DEP_1) | instskip(NEXT) | instid1(VALU_DEP_1)
	v_and_b32_e32 v1, 0x1fe0, v0
	v_cmpx_lt_u32_e64 v163, v1
	s_cbranch_execz .LBB5_19
; %bb.18:                               ;   in Loop: Header=BB5_12 Depth=1
	v_dual_mov_b32 v164, v31 :: v_dual_mov_b32 v3, s39
	v_mov_b32_e32 v0, v163
	s_getpc_b64 s[0:1]
	s_add_u32 s0, s0, _ZN12_GLOBAL__N_17runRingI11rccl_float810FuncMinMaxIS1_E11ProtoSimpleILi1ELi1ELi0ELi2ELi0ELi0EELi0ELi2ELi0EEEviiP15ncclDevWorkColl@rel32@lo+4
	s_addc_u32 s1, s1, _ZN12_GLOBAL__N_17runRingI11rccl_float810FuncMinMaxIS1_E11ProtoSimpleILi1ELi1ELi0ELi2ELi0ELi0EELi0ELi2ELi0EEEviiP15ncclDevWorkColl@rel32@hi+12
	s_mov_b64 s[36:37], s[8:9]
	s_mov_b32 s38, s12
	s_swappc_b64 s[30:31], s[0:1]
	v_mov_b32_e32 v31, v164
	s_mov_b32 s12, s38
	s_mov_b64 s[8:9], s[36:37]
.LBB5_19:                               ;   in Loop: Header=BB5_12 Depth=1
	s_or_b32 exec_lo, exec_lo, s41
	s_cbranch_execnz .LBB5_28
; %bb.20:                               ;   in Loop: Header=BB5_12 Depth=1
	ds_load_b32 v0, v0
	s_add_i32 s40, s40, 1
	s_waitcnt lgkmcnt(0)
	v_cmp_lt_i32_e32 vcc_lo, s40, v0
	s_cbranch_vccnz .LBB5_12
.LBB5_21:
	scratch_load_b32 v41, off, s33          ; 4-byte Folded Reload
	v_readlane_b32 s30, v40, 8
	v_readlane_b32 s31, v40, 9
	;; [unrolled: 1-line block ×11, first 2 shown]
	s_or_saveexec_b32 s1, -1
	scratch_load_b32 v40, off, s33 offset:4 ; 4-byte Folded Reload
	s_mov_b32 exec_lo, s1
	s_add_i32 s32, s32, -16
	s_mov_b32 s33, s0
	s_waitcnt vmcnt(0)
	s_setpc_b64 s[30:31]
.LBB5_22:
	s_trap 2
	s_sendmsg_rtn_b32 s0, sendmsg(MSG_RTN_GET_DOORBELL)
	s_mov_b32 ttmp2, m0
	s_waitcnt lgkmcnt(0)
	s_and_b32 s0, s0, 0x3ff
	s_delay_alu instid0(SALU_CYCLE_1) | instskip(NEXT) | instid1(SALU_CYCLE_1)
	s_bitset1_b32 s0, 10
	s_mov_b32 m0, s0
	s_sendmsg sendmsg(MSG_INTERRUPT)
	s_mov_b32 m0, ttmp2
.LBB5_23:                               ; =>This Inner Loop Header: Depth=1
	s_sethalt 5
	s_branch .LBB5_23
.LBB5_24:
	s_trap 2
	s_sendmsg_rtn_b32 s0, sendmsg(MSG_RTN_GET_DOORBELL)
	s_mov_b32 ttmp2, m0
	s_waitcnt lgkmcnt(0)
	s_and_b32 s0, s0, 0x3ff
	s_delay_alu instid0(SALU_CYCLE_1) | instskip(NEXT) | instid1(SALU_CYCLE_1)
	s_bitset1_b32 s0, 10
	s_mov_b32 m0, s0
	s_sendmsg sendmsg(MSG_INTERRUPT)
	s_mov_b32 m0, ttmp2
.LBB5_25:                               ; =>This Inner Loop Header: Depth=1
	s_sethalt 5
	s_branch .LBB5_25
.LBB5_26:
	s_trap 2
	s_sendmsg_rtn_b32 s0, sendmsg(MSG_RTN_GET_DOORBELL)
	s_mov_b32 ttmp2, m0
	s_waitcnt lgkmcnt(0)
	s_and_b32 s0, s0, 0x3ff
	s_delay_alu instid0(SALU_CYCLE_1) | instskip(NEXT) | instid1(SALU_CYCLE_1)
	s_bitset1_b32 s0, 10
	s_mov_b32 m0, s0
	s_sendmsg sendmsg(MSG_INTERRUPT)
	s_mov_b32 m0, ttmp2
.LBB5_27:                               ; =>This Inner Loop Header: Depth=1
	s_sethalt 5
	s_branch .LBB5_27
.LBB5_28:
	s_trap 2
	s_sendmsg_rtn_b32 s0, sendmsg(MSG_RTN_GET_DOORBELL)
	s_mov_b32 ttmp2, m0
	s_waitcnt lgkmcnt(0)
	s_and_b32 s0, s0, 0x3ff
	s_delay_alu instid0(SALU_CYCLE_1) | instskip(NEXT) | instid1(SALU_CYCLE_1)
	s_bitset1_b32 s0, 10
	s_mov_b32 m0, s0
	s_sendmsg sendmsg(MSG_INTERRUPT)
	s_mov_b32 m0, ttmp2
.LBB5_29:                               ; =>This Inner Loop Header: Depth=1
	s_sethalt 5
	s_branch .LBB5_29
.LBB5_30:
	s_trap 2
	s_sendmsg_rtn_b32 s0, sendmsg(MSG_RTN_GET_DOORBELL)
	s_mov_b32 ttmp2, m0
	s_waitcnt lgkmcnt(0)
	s_and_b32 s0, s0, 0x3ff
	s_delay_alu instid0(SALU_CYCLE_1) | instskip(NEXT) | instid1(SALU_CYCLE_1)
	s_bitset1_b32 s0, 10
	s_mov_b32 m0, s0
	s_sendmsg sendmsg(MSG_INTERRUPT)
	s_mov_b32 m0, ttmp2
.LBB5_31:                               ; =>This Inner Loop Header: Depth=1
	s_sethalt 5
	s_branch .LBB5_31
.Lfunc_end5:
	.size	_Z50ncclDevFunc_Reduce_RING_SIMPLE_MinMax_f8e4m3_0_0_2v, .Lfunc_end5-_Z50ncclDevFunc_Reduce_RING_SIMPLE_MinMax_f8e4m3_0_0_2v
                                        ; -- End function
	.section	.AMDGPU.csdata,"",@progbits
; Function info:
; codeLenInByte = 1080
; NumSgprs: 44
; NumVgprs: 165
; ScratchSize: 96
; MemoryBound: 0
	.text
	.p2align	2                               ; -- Begin function _ZN12_GLOBAL__N_17runRingI11rccl_float810FuncMinMaxIS1_E11ProtoSimpleILi1ELi1ELi0ELi4ELi0ELi0EELi0ELi4ELi0EEEviiP15ncclDevWorkColl
	.type	_ZN12_GLOBAL__N_17runRingI11rccl_float810FuncMinMaxIS1_E11ProtoSimpleILi1ELi1ELi0ELi4ELi0ELi0EELi0ELi4ELi0EEEviiP15ncclDevWorkColl,@function
_ZN12_GLOBAL__N_17runRingI11rccl_float810FuncMinMaxIS1_E11ProtoSimpleILi1ELi1ELi0ELi4ELi0ELi0EELi0ELi4ELi0EEEviiP15ncclDevWorkColl: ; @_ZN12_GLOBAL__N_17runRingI11rccl_float810FuncMinMaxIS1_E11ProtoSimpleILi1ELi1ELi0ELi4ELi0ELi0EELi0ELi4ELi0EEEviiP15ncclDevWorkColl
; %bb.0:
	s_waitcnt vmcnt(0) expcnt(0) lgkmcnt(0)
	s_mov_b32 s0, s33
	s_mov_b32 s33, s32
	s_or_saveexec_b32 s1, -1
	scratch_store_b32 off, v77, s33 offset:84 ; 4-byte Folded Spill
	s_mov_b32 exec_lo, s1
	v_writelane_b32 v77, s0, 2
	s_addk_i32 s32, 0x60
	s_clause 0x14
	scratch_store_b32 off, v40, s33 offset:80
	; meta instruction
	scratch_store_b32 off, v41, s33 offset:76
	; meta instruction
	scratch_store_b32 off, v42, s33 offset:72
	; meta instruction
	scratch_store_b32 off, v43, s33 offset:68
	; meta instruction
	scratch_store_b32 off, v44, s33 offset:64
	; meta instruction
	scratch_store_b32 off, v45, s33 offset:60
	; meta instruction
	scratch_store_b32 off, v46, s33 offset:56
	; meta instruction
	scratch_store_b32 off, v47, s33 offset:52
	; meta instruction
	scratch_store_b32 off, v56, s33 offset:48
	; meta instruction
	scratch_store_b32 off, v57, s33 offset:44
	; meta instruction
	scratch_store_b32 off, v58, s33 offset:40
	; meta instruction
	scratch_store_b32 off, v59, s33 offset:36
	; meta instruction
	scratch_store_b32 off, v60, s33 offset:32
	; meta instruction
	scratch_store_b32 off, v61, s33 offset:28
	; meta instruction
	scratch_store_b32 off, v62, s33 offset:24
	; meta instruction
	scratch_store_b32 off, v63, s33 offset:20
	; meta instruction
	scratch_store_b32 off, v72, s33 offset:16
	; meta instruction
	scratch_store_b32 off, v73, s33 offset:12
	; meta instruction
	scratch_store_b32 off, v74, s33 offset:8
	; meta instruction
	scratch_store_b32 off, v75, s33 offset:4
	; meta instruction
	scratch_store_b32 off, v76, s33
	v_writelane_b32 v77, s30, 0
	v_writelane_b32 v77, s31, 1
	s_cbranch_execz .LBB6_1
; %bb.11115:
	s_getpc_b64 s[34:35]
.Lpost_getpc76:
	s_add_u32 s34, s34, (.LBB6_10825-.Lpost_getpc76)&4294967295
	s_addc_u32 s35, s35, (.LBB6_10825-.Lpost_getpc76)>>32
	s_setpc_b64 s[34:35]
.LBB6_1:
	ds_load_b64 v[14:15], v0
	ds_load_b32 v9, v0
	flat_load_b64 v[6:7], v[2:3]
	s_mov_b32 s0, exec_lo
                                        ; implicit-def: $vgpr17_vgpr18
                                        ; implicit-def: $vgpr52_vgpr53
	s_waitcnt lgkmcnt(2)
	v_ashrrev_i32_e32 v5, 31, v15
	v_mov_b32_e32 v4, v15
	s_delay_alu instid0(VALU_DEP_1) | instskip(NEXT) | instid1(VALU_DEP_1)
	v_lshlrev_b64 v[4:5], 2, v[4:5]
	v_add_co_u32 v4, vcc_lo, v14, v4
	s_delay_alu instid0(VALU_DEP_2) | instskip(NEXT) | instid1(VALU_DEP_2)
	v_add_co_ci_u32_e32 v5, vcc_lo, v15, v5, vcc_lo
	v_add_co_u32 v4, vcc_lo, -4, v4
	s_delay_alu instid0(VALU_DEP_2) | instskip(SKIP_4) | instid1(VALU_DEP_1)
	v_add_co_ci_u32_e32 v5, vcc_lo, -1, v5, vcc_lo
	flat_load_u16 v16, v[2:3] offset:8
	flat_load_b32 v22, v[4:5]
                                        ; implicit-def: $vgpr4_vgpr5
	s_waitcnt vmcnt(2) lgkmcnt(2)
	v_dual_mov_b32 v15, v7 :: v_dual_and_b32 v8, 0xff, v6
	v_cmpx_ne_u32_e64 v8, v9
	s_xor_b32 s0, exec_lo, s0
	s_cbranch_execz .LBB6_2
; %bb.11117:
	s_getpc_b64 s[34:35]
.Lpost_getpc77:
	s_add_u32 s34, s34, (.LBB6_10827-.Lpost_getpc77)&4294967295
	s_addc_u32 s35, s35, (.LBB6_10827-.Lpost_getpc77)>>32
	s_setpc_b64 s[34:35]
.LBB6_2:
	s_and_not1_saveexec_b32 s0, s0
	s_cbranch_execz .LBB6_3
; %bb.11119:
	s_getpc_b64 s[34:35]
.Lpost_getpc78:
	s_add_u32 s34, s34, (.LBB6_10832-.Lpost_getpc78)&4294967295
	s_addc_u32 s35, s35, (.LBB6_10832-.Lpost_getpc78)>>32
	s_setpc_b64 s[34:35]
.LBB6_3:
	s_or_b32 exec_lo, exec_lo, s0
	s_cbranch_execz .LBB6_4
; %bb.11121:
	s_getpc_b64 s[34:35]
.Lpost_getpc79:
	s_add_u32 s34, s34, (.LBB6_10833-.Lpost_getpc79)&4294967295
	s_addc_u32 s35, s35, (.LBB6_10833-.Lpost_getpc79)>>32
	s_setpc_b64 s[34:35]
.LBB6_4:
	ds_load_b64 v[6:7], v0
	s_mov_b32 s1, exec_lo
	s_waitcnt lgkmcnt(0)
	v_cmp_ne_u32_e32 vcc_lo, -1, v6
	v_cndmask_b32_e64 v26, 0, 1, vcc_lo
	v_cmp_ne_u32_e32 vcc_lo, -1, v7
	s_delay_alu instid0(VALU_DEP_2) | instskip(NEXT) | instid1(VALU_DEP_1)
	v_add_co_ci_u32_e64 v6, s0, 0, v26, vcc_lo
	v_lshlrev_b32_e32 v7, 1, v6
	s_delay_alu instid0(VALU_DEP_1)
	v_cmpx_le_i32_e64 v7, v1
	s_xor_b32 s13, exec_lo, s1
	s_cbranch_execnz .LBB6_5
; %bb.11123:
	s_getpc_b64 s[34:35]
.Lpost_getpc80:
	s_add_u32 s34, s34, (.LBB6_11036-.Lpost_getpc80)&4294967295
	s_addc_u32 s35, s35, (.LBB6_11036-.Lpost_getpc80)>>32
	s_setpc_b64 s[34:35]
.LBB6_5:
	s_clause 0x1
	flat_load_b128 v[10:13], v[2:3] offset:16
	flat_load_b64 v[18:19], v[2:3] offset:104
	s_cbranch_execz .LBB6_6
; %bb.11125:
	s_getpc_b64 s[34:35]
.Lpost_getpc81:
	s_add_u32 s34, s34, (.LBB6_10835-.Lpost_getpc81)&4294967295
	s_addc_u32 s35, s35, (.LBB6_10835-.Lpost_getpc81)>>32
	s_setpc_b64 s[34:35]
.LBB6_6:
	s_load_b32 s0, s[8:9], 0x0
	v_dual_mov_b32 v2, 0 :: v_dual_mov_b32 v103, 4
	s_waitcnt lgkmcnt(0)
	s_cmp_lt_u32 s12, s0
	s_cselect_b32 s0, 12, 18
	s_delay_alu instid0(SALU_CYCLE_1)
	s_add_u32 s0, s8, s0
	s_addc_u32 s1, s9, 0
	global_load_u16 v23, v2, s[0:1]
	ds_load_b32 v2, v0
	s_mov_b32 s1, exec_lo
	s_waitcnt lgkmcnt(0)
	v_readfirstlane_b32 s14, v2
	v_cmpx_ge_i32_e64 v0, v26
	s_cbranch_execz .LBB6_16
; %bb.7:
	v_cmp_le_u32_e64 s0, v6, v0
                                        ; implicit-def: $vgpr103
	s_delay_alu instid0(VALU_DEP_1) | instskip(NEXT) | instid1(SALU_CYCLE_1)
	s_and_saveexec_b32 s2, s0
	s_xor_b32 s0, exec_lo, s2
	s_cbranch_execz .LBB6_13
; %bb.8:
	v_cndmask_b32_e64 v2, 0, 1, vcc_lo
	s_mov_b32 s2, exec_lo
                                        ; implicit-def: $sgpr3
	s_delay_alu instid0(VALU_DEP_1) | instskip(NEXT) | instid1(VALU_DEP_1)
	v_sub_nc_u32_e32 v2, v1, v2
	v_cmpx_ge_u32_e64 v0, v2
	s_xor_b32 s2, exec_lo, s2
; %bb.9:
	s_mov_b32 s3, 16
                                        ; implicit-def: $vgpr6
; %bb.10:
	s_or_saveexec_b32 s2, s2
	v_mov_b32_e32 v103, s3
	s_xor_b32 exec_lo, exec_lo, s2
; %bb.11:
	v_sub_nc_u32_e32 v2, v1, v6
	s_delay_alu instid0(VALU_DEP_1) | instskip(SKIP_1) | instid1(VALU_DEP_1)
	v_cmp_ge_i32_e32 vcc_lo, v0, v2
	v_cndmask_b32_e64 v2, 0, 1, vcc_lo
	v_lshlrev_b32_e32 v103, 5, v2
; %bb.12:
	s_or_b32 exec_lo, exec_lo, s2
.LBB6_13:
	s_and_not1_saveexec_b32 s0, s0
; %bb.14:
	v_mov_b32_e32 v103, 8
; %bb.15:
	s_or_b32 exec_lo, exec_lo, s0
.LBB6_16:
	s_delay_alu instid0(SALU_CYCLE_1) | instskip(NEXT) | instid1(VALU_DEP_1)
	s_or_b32 exec_lo, exec_lo, s1
	v_and_b32_e32 v2, 36, v103
	v_mov_b32_e32 v20, -1
	s_delay_alu instid0(VALU_DEP_2)
	v_cmp_ne_u32_e32 vcc_lo, 0, v2
	s_and_saveexec_b32 s0, vcc_lo
	s_cbranch_execz .LBB6_19
; %bb.17:
	s_cbranch_execz .LBB6_18
; %bb.11127:
	s_getpc_b64 s[34:35]
.Lpost_getpc82:
	s_add_u32 s34, s34, (.LBB6_10837-.Lpost_getpc82)&4294967295
	s_addc_u32 s35, s35, (.LBB6_10837-.Lpost_getpc82)>>32
	s_setpc_b64 s[34:35]
.LBB6_18:
	ds_load_b32 v20, v0
.LBB6_19:
	s_or_b32 exec_lo, exec_lo, s0
	v_and_b32_e32 v2, 24, v103
	s_mov_b32 s1, exec_lo
	s_delay_alu instid0(VALU_DEP_1)
	v_cmpx_ne_u32_e32 0, v2
	s_cbranch_execz .LBB6_22
; %bb.20:
	s_cbranch_execz .LBB6_21
; %bb.11129:
	s_getpc_b64 s[34:35]
.Lpost_getpc83:
	s_add_u32 s34, s34, (.LBB6_10839-.Lpost_getpc83)&4294967295
	s_addc_u32 s35, s35, (.LBB6_10839-.Lpost_getpc83)>>32
	s_setpc_b64 s[34:35]
.LBB6_21:
	s_waitcnt lgkmcnt(0)
	ds_load_b32 v20, v0
.LBB6_22:
	s_or_b32 exec_lo, exec_lo, s1
	s_waitcnt vmcnt(4)
	v_lshrrev_b64 v[2:3], 31, v[15:16]
	v_mov_b32_e32 v54, 0
	v_mov_b32_e32 v55, 0
                                        ; implicit-def: $vgpr113
                                        ; implicit-def: $vgpr68_vgpr69
                                        ; implicit-def: $vgpr66_vgpr67
                                        ; implicit-def: $vgpr64_vgpr65
	s_delay_alu instid0(VALU_DEP_3) | instskip(NEXT) | instid1(VALU_DEP_2)
	v_and_b32_e32 v16, 3, v2
	v_dual_mov_b32 v6, v54 :: v_dual_mov_b32 v7, v55
                                        ; implicit-def: $vgpr2_vgpr3
	s_and_saveexec_b32 s0, vcc_lo
	s_cbranch_execz .LBB6_35
; %bb.23:
	s_cbranch_execz .LBB6_24
; %bb.11131:
	s_getpc_b64 s[34:35]
.Lpost_getpc84:
	s_add_u32 s34, s34, (.LBB6_10841-.Lpost_getpc84)&4294967295
	s_addc_u32 s35, s35, (.LBB6_10841-.Lpost_getpc84)>>32
	s_setpc_b64 s[34:35]
.LBB6_24:
	ds_load_b64 v[2:3], v0
	s_waitcnt lgkmcnt(1)
	v_ashrrev_i32_e32 v21, 31, v20
	v_and_b32_e32 v8, 0xffff, v16
	s_delay_alu instid0(VALU_DEP_2) | instskip(SKIP_1) | instid1(VALU_DEP_1)
	v_lshlrev_b64 v[6:7], 3, v[20:21]
	s_waitcnt lgkmcnt(0)
	v_add_co_u32 v2, vcc_lo, v2, v6
	s_delay_alu instid0(VALU_DEP_2)
	v_add_co_ci_u32_e32 v3, vcc_lo, v3, v7, vcc_lo
	flat_load_b64 v[2:3], v[2:3]
	s_waitcnt vmcnt(0) lgkmcnt(0)
	v_mad_u64_u32 v[6:7], null, 0xa8, v8, v[2:3]
	flat_load_b32 v2, v[6:7] offset:640
	v_add_co_u32 v54, vcc_lo, 0x1f8, v6
	v_add_co_ci_u32_e32 v55, vcc_lo, 0, v7, vcc_lo
	s_waitcnt vmcnt(0) lgkmcnt(0)
	v_cmp_eq_u32_e32 vcc_lo, 1, v2
                                        ; implicit-def: $vgpr2_vgpr3
	s_and_saveexec_b32 s1, vcc_lo
	s_cbranch_execz .LBB6_27
; %bb.25:
	flat_load_b64 v[2:3], v[54:55] offset:144
	s_waitcnt vmcnt(0) lgkmcnt(0)
	flat_load_b64 v[6:7], v[2:3]
	s_cbranch_execz .LBB6_26
; %bb.11133:
	s_getpc_b64 s[34:35]
.Lpost_getpc85:
	s_add_u32 s34, s34, (.LBB6_10847-.Lpost_getpc85)&4294967295
	s_addc_u32 s35, s35, (.LBB6_10847-.Lpost_getpc85)>>32
	s_setpc_b64 s[34:35]
.LBB6_26:
	s_waitcnt vmcnt(0) lgkmcnt(0)
	ds_store_b64 v0, v[6:7]
	flat_load_b64 v[6:7], v[2:3] offset:8
	v_or_b32_e32 v103, 0x2000, v103
	s_waitcnt vmcnt(0) lgkmcnt(0)
	ds_store_b64 v0, v[6:7]
	flat_load_b64 v[6:7], v[2:3] offset:16
	s_waitcnt vmcnt(0) lgkmcnt(0)
	ds_store_b64 v0, v[6:7]
.LBB6_27:
	s_or_b32 exec_lo, exec_lo, s1
	flat_load_b64 v[8:9], v[54:55] offset:104
	v_and_b32_e32 v6, 32, v103
	s_mov_b32 s1, exec_lo
                                        ; implicit-def: $vgpr64_vgpr65
	s_delay_alu instid0(VALU_DEP_1)
	v_cmpx_ne_u32_e32 0, v6
	s_cbranch_execz .LBB6_29
; %bb.28:
	flat_load_b64 v[64:65], v[54:55] offset:56
	s_waitcnt vmcnt(0) lgkmcnt(0)
	s_waitcnt_vscnt null, 0x0
	flat_store_b64 v[64:65], v[8:9]
.LBB6_29:
	s_or_b32 exec_lo, exec_lo, s1
	v_dual_mov_b32 v6, 0 :: v_dual_and_b32 v21, 4, v103
	v_mov_b32_e32 v7, 0
	s_mov_b32 s1, exec_lo
                                        ; implicit-def: $vgpr113
                                        ; implicit-def: $vgpr68_vgpr69
                                        ; implicit-def: $vgpr66_vgpr67
	s_delay_alu instid0(VALU_DEP_2)
	v_cmpx_ne_u32_e32 0, v21
	s_cbranch_execz .LBB6_34
; %bb.30:
	v_and_b32_e32 v6, 0x800, v103
	s_mov_b32 s2, exec_lo
	s_delay_alu instid0(VALU_DEP_1)
	v_cmpx_eq_u32_e32 0, v6
	s_cbranch_execz .LBB6_33
; %bb.31:
	s_cbranch_execz .LBB6_32
; %bb.11135:
	s_getpc_b64 s[34:35]
.Lpost_getpc86:
	s_add_u32 s34, s34, (.LBB6_10851-.Lpost_getpc86)&4294967295
	s_addc_u32 s35, s35, (.LBB6_10851-.Lpost_getpc86)>>32
	s_setpc_b64 s[34:35]
.LBB6_32:
	ds_store_b64 v0, v[54:55]
.LBB6_33:
	s_or_b32 exec_lo, exec_lo, s2
	flat_load_b64 v[64:65], v[54:55] offset:48
	v_or_b32_e32 v21, 0x100, v103
	s_waitcnt vmcnt(0) lgkmcnt(0)
	flat_load_b64 v[68:69], v[64:65] glc
	s_clause 0x2
	flat_load_b64 v[6:7], v[54:55] offset:96
	flat_load_b32 v113, v[54:55] offset:72
	flat_load_b64 v[66:67], v[54:55] offset:16
	s_waitcnt vmcnt(2) lgkmcnt(2)
	v_cmp_eq_u64_e32 vcc_lo, 0, v[6:7]
	v_cndmask_b32_e32 v103, v21, v103, vcc_lo
.LBB6_34:
	s_or_b32 exec_lo, exec_lo, s1
.LBB6_35:
	s_delay_alu instid0(SALU_CYCLE_1) | instskip(NEXT) | instid1(VALU_DEP_1)
	s_or_b32 exec_lo, exec_lo, s0
	v_and_b32_e32 v21, 24, v103
	s_mov_b32 s0, exec_lo
                                        ; implicit-def: $vgpr82_vgpr83
	s_delay_alu instid0(VALU_DEP_1)
	v_cmpx_ne_u32_e32 0, v21
	s_cbranch_execz .LBB6_45
; %bb.36:
	s_cbranch_execz .LBB6_37
; %bb.11137:
	s_getpc_b64 s[34:35]
.Lpost_getpc87:
	s_add_u32 s34, s34, (.LBB6_10843-.Lpost_getpc87)&4294967295
	s_addc_u32 s35, s35, (.LBB6_10843-.Lpost_getpc87)>>32
	s_setpc_b64 s[34:35]
.LBB6_37:
	ds_load_b64 v[6:7], v0
	s_waitcnt lgkmcnt(1)
	v_ashrrev_i32_e32 v21, 31, v20
	s_mov_b32 s1, exec_lo
                                        ; implicit-def: $vgpr82_vgpr83
	s_waitcnt vmcnt(0)
	s_delay_alu instid0(VALU_DEP_1) | instskip(SKIP_1) | instid1(VALU_DEP_1)
	v_lshlrev_b64 v[8:9], 3, v[20:21]
	s_waitcnt lgkmcnt(0)
	v_add_co_u32 v6, vcc_lo, v6, v8
	s_delay_alu instid0(VALU_DEP_2)
	v_add_co_ci_u32_e32 v7, vcc_lo, v7, v9, vcc_lo
	v_and_b32_e32 v8, 0xffff, v16
	v_or_b32_e32 v16, 0x100, v103
	flat_load_b64 v[6:7], v[6:7]
	s_waitcnt vmcnt(0) lgkmcnt(0)
	v_mad_u64_u32 v[54:55], null, 0xa8, v8, v[6:7]
	flat_load_b128 v[6:9], v[54:55] offset:96
	s_waitcnt vmcnt(0) lgkmcnt(0)
	v_cmp_eq_u64_e32 vcc_lo, 0, v[6:7]
	v_cndmask_b32_e32 v103, v16, v103, vcc_lo
	s_delay_alu instid0(VALU_DEP_1) | instskip(NEXT) | instid1(VALU_DEP_1)
	v_and_b32_e32 v16, 16, v103
	v_cmpx_ne_u32_e32 0, v16
; %bb.38:
	s_clause 0x2
	flat_load_b64 v[82:83], v[54:55] offset:120
	flat_load_b64 v[64:65], v[54:55] offset:48
	;; [unrolled: 1-line block ×3, first 2 shown]
; %bb.39:
	s_or_b32 exec_lo, exec_lo, s1
	v_and_b32_e32 v16, 8, v103
	s_mov_b32 s1, exec_lo
	s_delay_alu instid0(VALU_DEP_1)
	v_cmpx_ne_u32_e32 0, v16
	s_cbranch_execz .LBB6_44
; %bb.40:
	v_and_b32_e32 v16, 0x800, v103
	s_mov_b32 s2, exec_lo
	s_delay_alu instid0(VALU_DEP_1)
	v_cmpx_eq_u32_e32 0, v16
	s_cbranch_execz .LBB6_43
; %bb.41:
	s_cbranch_execz .LBB6_42
; %bb.11139:
	s_getpc_b64 s[34:35]
.Lpost_getpc88:
	s_add_u32 s34, s34, (.LBB6_10868-.Lpost_getpc88)&4294967295
	s_addc_u32 s35, s35, (.LBB6_10868-.Lpost_getpc88)>>32
	s_setpc_b64 s[34:35]
.LBB6_42:
	ds_store_b64 v0, v[54:55]
.LBB6_43:
	s_or_b32 exec_lo, exec_lo, s2
	s_waitcnt vmcnt(1) lgkmcnt(1)
	flat_load_b64 v[64:65], v[54:55] offset:56
	s_waitcnt vmcnt(0) lgkmcnt(0)
	flat_load_b64 v[68:69], v[64:65] glc
	s_clause 0x1
	flat_load_b32 v113, v[54:55] offset:72
	flat_load_b64 v[66:67], v[54:55] offset:16
.LBB6_44:
	s_or_b32 exec_lo, exec_lo, s1
.LBB6_45:
	s_delay_alu instid0(SALU_CYCLE_1) | instskip(SKIP_1) | instid1(VALU_DEP_1)
	s_or_b32 exec_lo, exec_lo, s0
	v_cmp_eq_u32_e64 s0, 0, v0
	s_and_saveexec_b32 s1, s0
	s_cbranch_execz .LBB6_48
; %bb.46:
	s_waitcnt vmcnt(2)
	ds_store_2addr_b64 v0, v[12:13], v[10:11] offset1:1
	s_cbranch_execz .LBB6_47
; %bb.11141:
	s_getpc_b64 s[34:35]
.Lpost_getpc89:
	s_add_u32 s34, s34, (.LBB6_10845-.Lpost_getpc89)&4294967295
	s_addc_u32 s35, s35, (.LBB6_10845-.Lpost_getpc89)>>32
	s_setpc_b64 s[34:35]
.LBB6_47:
	v_mov_b32_e32 v10, 0
	s_delay_alu instid0(VALU_DEP_1)
	v_mov_b32_e32 v11, v10
	ds_store_b64 v0, v[10:11]
	s_waitcnt vmcnt(1)
	ds_store_b64 v0, v[18:19]
.LBB6_48:
	s_or_b32 exec_lo, exec_lo, s1
	s_waitcnt vmcnt(2)
	v_bfe_u32 v10, v15, 1, 30
	v_dual_mov_b32 v81, 0 :: v_dual_and_b32 v80, 0x3ffffe00, v17
	s_waitcnt vmcnt(0)
	v_and_b32_e32 v112, 0xffff, v23
                                        ; implicit-def: $vgpr70_vgpr71
	s_mov_b32 s1, exec_lo
	v_cmpx_ne_u32_e64 v22, v10
	s_xor_b32 s15, exec_lo, s1
	s_cbranch_execnz .LBB6_49
; %bb.11143:
	s_getpc_b64 s[34:35]
.Lpost_getpc90:
	s_add_u32 s34, s34, (.LBB6_10622-.Lpost_getpc90)&4294967295
	s_addc_u32 s35, s35, (.LBB6_10622-.Lpost_getpc90)>>32
	s_setpc_b64 s[34:35]
.LBB6_49:
	v_cmp_ne_u64_e64 s1, 0, v[4:5]
                                        ; implicit-def: $vgpr70_vgpr71
	s_mov_b32 s2, exec_lo
	v_cmpx_ne_u32_e64 v14, v10
	s_xor_b32 s16, exec_lo, s2
	s_cbranch_execnz .LBB6_50
; %bb.11145:
	s_getpc_b64 s[34:35]
.Lpost_getpc91:
	s_add_u32 s34, s34, (.LBB6_5341-.Lpost_getpc91)&4294967295
	s_addc_u32 s35, s35, (.LBB6_5341-.Lpost_getpc91)>>32
	s_setpc_b64 s[34:35]
.LBB6_50:
	v_mov_b32_e32 v70, 0
	v_mov_b32_e32 v71, 0
	s_and_saveexec_b32 s17, s1
	s_cbranch_execnz .LBB6_51
; %bb.11147:
	s_getpc_b64 s[34:35]
.Lpost_getpc92:
	s_add_u32 s34, s34, (.LBB6_5340-.Lpost_getpc92)&4294967295
	s_addc_u32 s35, s35, (.LBB6_5340-.Lpost_getpc92)>>32
	s_setpc_b64 s[34:35]
.LBB6_51:
	v_cmp_ge_i32_e64 s2, v0, v1
	s_cbranch_execz .LBB6_52
; %bb.11149:
	s_getpc_b64 s[34:35]
.Lpost_getpc93:
	s_add_u32 s34, s34, (.LBB6_10866-.Lpost_getpc93)&4294967295
	s_addc_u32 s35, s35, (.LBB6_10866-.Lpost_getpc93)>>32
	s_setpc_b64 s[34:35]
.LBB6_52:
	v_ashrrev_i32_e32 v10, 31, v0
	v_lshrrev_b32_e32 v115, 5, v1
	v_dual_mov_b32 v30, 0 :: v_dual_and_b32 v11, 31, v31
	s_ashr_i32 s5, s14, 31
	s_delay_alu instid0(VALU_DEP_3) | instskip(NEXT) | instid1(VALU_DEP_3)
	v_lshrrev_b32_e32 v10, 27, v10
	v_dual_mov_b32 v84, 0 :: v_dual_lshlrev_b32 v117, 9, v115
	s_lshr_b32 s5, s5, 24
	v_and_b32_e32 v133, 0xffffffe0, v1
	s_delay_alu instid0(VALU_DEP_3) | instskip(SKIP_3) | instid1(VALU_DEP_3)
	v_dual_mov_b32 v85, 0 :: v_dual_add_nc_u32 v10, v0, v10
	s_add_i32 s11, s14, s5
	v_cmp_eq_u32_e64 s5, 0, v11
	v_dual_mov_b32 v70, v84 :: v_dual_add_nc_u32 v13, 0xfffffe00, v117
	v_dual_mov_b32 v145, 1 :: v_dual_and_b32 v12, 0xffffffe0, v10
	v_ashrrev_i32_e32 v116, 5, v10
	v_lshl_add_u32 v10, v115, 11, 0xfffff800
	s_delay_alu instid0(VALU_DEP_4) | instskip(NEXT) | instid1(VALU_DEP_4)
	v_add_co_u32 v131, s10, 0x200, v13
	v_sub_nc_u32_e32 v118, v0, v12
	s_delay_alu instid0(VALU_DEP_4) | instskip(NEXT) | instid1(VALU_DEP_4)
	v_dual_mov_b32 v71, v85 :: v_dual_lshlrev_b32 v12, 11, v116
	v_ashrrev_i32_e32 v11, 31, v10
	v_add_co_u32 v128, s6, 0x800, v10
	v_ashrrev_i32_e32 v10, 31, v13
	s_delay_alu instid0(VALU_DEP_4) | instskip(NEXT) | instid1(VALU_DEP_4)
	v_lshl_add_u32 v119, v118, 4, v12
	v_add_co_ci_u32_e64 v129, s6, 0, v11, s6
	v_lshl_add_u32 v11, v115, 10, 0xfffffc00
	s_delay_alu instid0(VALU_DEP_4)
	v_add_co_ci_u32_e64 v132, s10, 0, v10, s10
	v_cmp_eq_u32_e32 vcc_lo, 32, v1
	s_waitcnt lgkmcnt(1)
	v_ashrrev_i32_e32 v114, 31, v113
	v_ashrrev_i32_e32 v10, 31, v11
	v_add_co_u32 v134, s10, 0x400, v11
	v_cmp_ne_u32_e64 s3, 32, v1
	v_cmp_ne_u32_e64 s4, v112, v1
	s_delay_alu instid0(VALU_DEP_4)
	v_add_co_ci_u32_e64 v135, s10, 0, v10, s10
	v_cmp_eq_u64_e64 s10, 0, v[82:83]
	v_cmp_le_i32_e64 s6, v118, v26
	v_cmp_lt_i32_e64 s7, v118, v26
	v_ashrrev_i32_e32 v130, 31, v119
	v_ashrrev_i32_e32 v144, 31, v133
	s_ashr_i32 s19, s11, 8
	s_mov_b32 s18, 0
	s_xor_b32 s20, vcc_lo, -1
.LBB6_53:                               ; =>This Loop Header: Depth=1
                                        ;     Child Loop BB6_63 Depth 2
                                        ;     Child Loop BB6_93 Depth 2
	;; [unrolled: 1-line block ×10, first 2 shown]
	v_sub_co_u32 v10, vcc_lo, v4, v84
	v_sub_co_ci_u32_e32 v11, vcc_lo, v5, v85, vcc_lo
	v_mov_b32_e32 v12, 0
	s_delay_alu instid0(VALU_DEP_2) | instskip(SKIP_2) | instid1(VALU_DEP_2)
	v_cmp_lt_u64_e32 vcc_lo, v[80:81], v[10:11]
	v_cndmask_b32_e32 v86, v10, v80, vcc_lo
	v_cndmask_b32_e64 v87, v11, 0, vcc_lo
	v_add_nc_u32_e32 v10, 15, v86
	s_delay_alu instid0(VALU_DEP_2) | instskip(NEXT) | instid1(VALU_DEP_2)
	v_cmp_eq_u64_e32 vcc_lo, 0, v[86:87]
	v_and_b32_e32 v10, 0x7ffffff0, v10
	s_or_b32 s21, s2, vcc_lo
	s_delay_alu instid0(SALU_CYCLE_1) | instskip(NEXT) | instid1(VALU_DEP_1)
	s_xor_b32 s11, s21, -1
	v_max_i32_e32 v96, s19, v10
	s_and_saveexec_b32 s22, s11
	s_cbranch_execnz .LBB6_54
; %bb.11151:                            ;   in Loop: Header=BB6_53 Depth=1
	s_getpc_b64 s[34:35]
.Lpost_getpc94:
	s_add_u32 s34, s34, (.LBB6_5278-.Lpost_getpc94)&4294967295
	s_addc_u32 s35, s35, (.LBB6_5278-.Lpost_getpc94)>>32
	s_setpc_b64 s[34:35]
.LBB6_54:                               ;   in Loop: Header=BB6_53 Depth=1
	s_and_saveexec_b32 s11, s0
	s_cbranch_execz .LBB6_57
; %bb.55:                               ;   in Loop: Header=BB6_53 Depth=1
	s_cbranch_execz .LBB6_56
; %bb.11153:
	s_getpc_b64 s[34:35]
.Lpost_getpc95:
	s_add_u32 s34, s34, (.LBB6_10894-.Lpost_getpc95)&4294967295
	s_addc_u32 s35, s35, (.LBB6_10894-.Lpost_getpc95)>>32
	s_setpc_b64 s[34:35]
.LBB6_56:                               ;   in Loop: Header=BB6_53 Depth=1
	ds_load_b64 v[10:11], v0
	v_mov_b32_e32 v29, v30
	s_waitcnt lgkmcnt(0)
	v_add_co_u32 v10, vcc_lo, v10, v52
	v_add_co_ci_u32_e32 v11, vcc_lo, v11, v53, vcc_lo
	s_delay_alu instid0(VALU_DEP_2) | instskip(NEXT) | instid1(VALU_DEP_2)
	v_add_co_u32 v10, vcc_lo, v10, v84
	v_add_co_ci_u32_e32 v11, vcc_lo, v11, v85, vcc_lo
	ds_store_b64 v0, v[10:11]
	ds_store_b64 v0, v[29:30]
.LBB6_57:                               ;   in Loop: Header=BB6_53 Depth=1
	s_or_b32 exec_lo, exec_lo, s11
	v_and_b32_e32 v10, 12, v103
	s_mov_b32 s12, -1
	s_mov_b32 s11, exec_lo
	s_delay_alu instid0(VALU_DEP_1)
	v_cmpx_ne_u32_e32 0, v10
	s_cbranch_execz .LBB6_71
; %bb.58:                               ;   in Loop: Header=BB6_53 Depth=1
	v_and_b32_e32 v12, 8, v103
	s_delay_alu instid0(VALU_DEP_1) | instskip(SKIP_4) | instid1(VALU_DEP_1)
	v_add_co_u32 v13, vcc_lo, v68, v12
	v_add_co_ci_u32_e32 v14, vcc_lo, 0, v69, vcc_lo
	s_waitcnt lgkmcnt(0)
	v_add_co_u32 v10, vcc_lo, v8, 1
	v_add_co_ci_u32_e32 v11, vcc_lo, 0, v9, vcc_lo
	v_cmp_lt_u64_e32 vcc_lo, v[13:14], v[10:11]
	v_mov_b32_e32 v13, 1
	s_and_saveexec_b32 s12, vcc_lo
	s_cbranch_execz .LBB6_70
; %bb.59:                               ;   in Loop: Header=BB6_53 Depth=1
	v_mov_b32_e32 v13, 0
	s_mov_b32 s23, 0
                                        ; implicit-def: $sgpr24
	s_branch .LBB6_63
.LBB6_60:                               ;   in Loop: Header=BB6_63 Depth=2
	s_or_b32 exec_lo, exec_lo, s28
	v_mov_b32_e32 v14, 0
	s_or_not1_b32 s27, s27, exec_lo
.LBB6_61:                               ;   in Loop: Header=BB6_63 Depth=2
	s_or_b32 exec_lo, exec_lo, s26
	s_delay_alu instid0(VALU_DEP_1) | instskip(SKIP_2) | instid1(SALU_CYCLE_1)
	v_mov_b32_e32 v13, v14
	s_and_not1_b32 s24, s24, exec_lo
	s_and_b32 s26, s27, exec_lo
	s_or_b32 s24, s24, s26
.LBB6_62:                               ;   in Loop: Header=BB6_63 Depth=2
	s_or_b32 exec_lo, exec_lo, s25
	s_waitcnt vmcnt(0) lgkmcnt(0)
	v_add_co_u32 v14, vcc_lo, v68, v12
	v_add_co_ci_u32_e32 v15, vcc_lo, 0, v69, vcc_lo
	s_xor_b32 s25, s24, -1
	s_delay_alu instid0(VALU_DEP_1) | instskip(SKIP_1) | instid1(SALU_CYCLE_1)
	v_cmp_ge_u64_e32 vcc_lo, v[14:15], v[10:11]
	s_or_b32 s25, s25, vcc_lo
	s_and_b32 s25, exec_lo, s25
	s_delay_alu instid0(SALU_CYCLE_1) | instskip(NEXT) | instid1(SALU_CYCLE_1)
	s_or_b32 s23, s25, s23
	s_and_not1_b32 exec_lo, exec_lo, s23
	s_cbranch_execz .LBB6_69
.LBB6_63:                               ;   Parent Loop BB6_53 Depth=1
                                        ; =>  This Inner Loop Header: Depth=2
	s_sleep 1
	flat_load_b64 v[68:69], v[64:65] glc
	v_and_b32_e32 v14, 64, v103
	s_and_not1_b32 s24, s24, exec_lo
	s_mov_b32 s25, exec_lo
	s_delay_alu instid0(VALU_DEP_1)
	v_cmpx_eq_u32_e32 0, v14
	s_cbranch_execz .LBB6_62
; %bb.64:                               ;   in Loop: Header=BB6_63 Depth=2
	v_add_nc_u32_e32 v14, 1, v13
	s_mov_b32 s27, -1
	s_mov_b32 s26, exec_lo
	v_cmpx_lt_i32_e32 0x270e, v13
	s_cbranch_execz .LBB6_61
; %bb.65:                               ;   in Loop: Header=BB6_63 Depth=2
	s_cbranch_execz .LBB6_66
; %bb.11155:
	s_getpc_b64 s[34:35]
.Lpost_getpc96:
	s_add_u32 s34, s34, (.LBB6_10916-.Lpost_getpc96)&4294967295
	s_addc_u32 s35, s35, (.LBB6_10916-.Lpost_getpc96)>>32
	s_setpc_b64 s[34:35]
.LBB6_66:                               ;   in Loop: Header=BB6_63 Depth=2
	ds_load_b64 v[13:14], v0
	s_mov_b32 s28, exec_lo
	s_waitcnt vmcnt(0) lgkmcnt(0)
	s_waitcnt_vscnt null, 0x0
	flat_load_b32 v13, v[13:14] glc
	s_waitcnt vmcnt(0) lgkmcnt(0)
	buffer_gl1_inv
	buffer_gl0_inv
	v_cmpx_ne_u32_e32 0, v13
	s_cbranch_execz .LBB6_60
; %bb.67:                               ;   in Loop: Header=BB6_63 Depth=2
	ds_store_b32 v0, v13
	s_cbranch_execz .LBB6_68
; %bb.11157:
	s_getpc_b64 s[34:35]
.Lpost_getpc97:
	s_add_u32 s34, s34, (.LBB6_10949-.Lpost_getpc97)&4294967295
	s_addc_u32 s35, s35, (.LBB6_10949-.Lpost_getpc97)>>32
	s_setpc_b64 s[34:35]
.LBB6_68:                               ;   in Loop: Header=BB6_63 Depth=2
	v_or_b32_e32 v103, 64, v103
	s_xor_b32 s27, exec_lo, -1
	s_branch .LBB6_60
.LBB6_69:                               ;   in Loop: Header=BB6_53 Depth=1
	s_or_b32 exec_lo, exec_lo, s23
	v_and_b32_e32 v13, 12, v103
.LBB6_70:                               ;   in Loop: Header=BB6_53 Depth=1
	s_or_b32 exec_lo, exec_lo, s12
	s_delay_alu instid0(VALU_DEP_1)
	v_cmp_eq_u32_e32 vcc_lo, 0, v13
	;;#ASMSTART
	s_wakeup
	;;#ASMEND
	s_or_not1_b32 s12, vcc_lo, exec_lo
.LBB6_71:                               ;   in Loop: Header=BB6_53 Depth=1
	s_or_b32 exec_lo, exec_lo, s11
	v_min_u32_e32 v96, v96, v86
	s_xor_b32 s11, s12, -1
	s_delay_alu instid0(SALU_CYCLE_1)
	s_and_saveexec_b32 s12, s11
	s_cbranch_execz .LBB6_84
; %bb.72:                               ;   in Loop: Header=BB6_53 Depth=1
	v_and_b32_e32 v10, 0x108, v103
	s_waitcnt lgkmcnt(0)
	v_and_b32_e32 v14, 7, v8
	s_mov_b32 s11, exec_lo
	s_delay_alu instid0(VALU_DEP_2) | instskip(SKIP_1) | instid1(SALU_CYCLE_1)
	v_cmpx_ne_u32_e32 0x108, v10
	s_xor_b32 s11, exec_lo, s11
	s_and_not1_saveexec_b32 s11, s11
	s_cbranch_execz .LBB6_74
; %bb.73:                               ;   in Loop: Header=BB6_53 Depth=1
	v_mad_u64_u32 v[10:11], null, v14, 24, v[6:7]
	v_mov_b32_e32 v97, v30
	flat_store_b64 v[10:11], v[96:97] offset:8
.LBB6_74:                               ;   in Loop: Header=BB6_53 Depth=1
	s_or_b32 exec_lo, exec_lo, s11
	v_and_b32_e32 v10, 0x100, v103
	s_mov_b32 s11, -1
	s_delay_alu instid0(VALU_DEP_1)
	v_cmp_ne_u32_e32 vcc_lo, 0, v10
                                        ; implicit-def: $vgpr10_vgpr11
	s_and_saveexec_b32 s23, vcc_lo
	s_cbranch_execnz .LBB6_77
; %bb.75:                               ;   in Loop: Header=BB6_53 Depth=1
	s_or_b32 exec_lo, exec_lo, s23
	s_and_saveexec_b32 s23, s11
	s_cbranch_execnz .LBB6_80
.LBB6_76:                               ;   in Loop: Header=BB6_53 Depth=1
	s_or_b32 exec_lo, exec_lo, s23
	s_cbranch_execz .LBB6_81
; %bb.11159:
	s_getpc_b64 s[34:35]
.Lpost_getpc98:
	s_add_u32 s34, s34, (.LBB6_10910-.Lpost_getpc98)&4294967295
	s_addc_u32 s35, s35, (.LBB6_10910-.Lpost_getpc98)>>32
	s_setpc_b64 s[34:35]
.LBB6_77:                               ;   in Loop: Header=BB6_53 Depth=1
	v_mad_u64_u32 v[12:13], null, v14, 24, v[6:7]
	s_delay_alu instid0(VALU_DEP_1) | instskip(NEXT) | instid1(VALU_DEP_1)
	v_mov_b32_e32 v10, v13
	v_mad_u64_u32 v[15:16], null, v30, 24, v[10:11]
	s_delay_alu instid0(VALU_DEP_1) | instskip(SKIP_4) | instid1(VALU_DEP_1)
	v_mov_b32_e32 v13, v15
	flat_load_b32 v10, v[12:13]
	s_waitcnt vmcnt(0) lgkmcnt(0)
	v_cmp_ne_u32_e32 vcc_lo, 1, v10
	v_cmp_eq_u32_e64 s11, 1, v10
                                        ; implicit-def: $vgpr10_vgpr11
	s_and_saveexec_b32 s24, s11
	s_cbranch_execz .LBB6_79
; %bb.78:                               ;   in Loop: Header=BB6_53 Depth=1
	flat_load_b32 v10, v[12:13] offset:4 glc
	s_waitcnt vmcnt(0) lgkmcnt(0)
	v_ashrrev_i32_e32 v11, 31, v10
.LBB6_79:                               ;   in Loop: Header=BB6_53 Depth=1
	s_or_b32 exec_lo, exec_lo, s24
	s_delay_alu instid0(SALU_CYCLE_1)
	s_or_not1_b32 s11, vcc_lo, exec_lo
	s_or_b32 exec_lo, exec_lo, s23
	s_and_saveexec_b32 s23, s11
	s_cbranch_execz .LBB6_76
.LBB6_80:                               ;   in Loop: Header=BB6_53 Depth=1
	v_mul_lo_u32 v12, v30, v113
	v_mul_lo_u32 v13, v14, v114
	v_mad_u64_u32 v[10:11], null, v14, v113, 0
	s_delay_alu instid0(VALU_DEP_1)
	v_add3_u32 v11, v11, v13, v12
	s_or_b32 exec_lo, exec_lo, s23
	s_cbranch_execz .LBB6_81
; %bb.11161:
	s_getpc_b64 s[34:35]
.Lpost_getpc99:
	s_add_u32 s34, s34, (.LBB6_10910-.Lpost_getpc99)&4294967295
	s_addc_u32 s35, s35, (.LBB6_10910-.Lpost_getpc99)>>32
	s_setpc_b64 s[34:35]
.LBB6_81:                               ;   in Loop: Header=BB6_53 Depth=1
	s_delay_alu instid0(VALU_DEP_2)
	v_add_co_u32 v10, vcc_lo, v66, v10
	v_and_b32_e32 v12, 0x2000, v103
	v_add_co_ci_u32_e32 v11, vcc_lo, v67, v11, vcc_lo
	s_mov_b32 s11, exec_lo
	ds_store_b64 v0, v[10:11]
	v_cmpx_ne_u32_e32 0, v12
	s_cbranch_execz .LBB6_83
; %bb.82:                               ;   in Loop: Header=BB6_53 Depth=1
	ds_load_b64 v[10:11], v0 offset:584
	s_waitcnt lgkmcnt(0)
	v_add_co_u32 v10, vcc_lo, v10, 1
	v_add_co_ci_u32_e32 v11, vcc_lo, 0, v11, vcc_lo
	ds_store_b64 v0, v[10:11] offset:584
.LBB6_83:                               ;   in Loop: Header=BB6_53 Depth=1
	s_or_b32 exec_lo, exec_lo, s11
	v_add_co_u32 v8, vcc_lo, v8, 1
	v_add_co_ci_u32_e32 v9, vcc_lo, 0, v9, vcc_lo
.LBB6_84:                               ;   in Loop: Header=BB6_53 Depth=1
	s_or_b32 exec_lo, exec_lo, s12
	s_and_saveexec_b32 s11, s3
	s_cbranch_execz .LBB6_106
; %bb.85:                               ;   in Loop: Header=BB6_53 Depth=1
	s_and_saveexec_b32 s12, s4
	s_delay_alu instid0(SALU_CYCLE_1)
	s_xor_b32 s12, exec_lo, s12
	s_cbranch_execz .LBB6_103
; %bb.86:                               ;   in Loop: Header=BB6_53 Depth=1
	s_and_saveexec_b32 s23, s5
	s_cbranch_execz .LBB6_102
; %bb.87:                               ;   in Loop: Header=BB6_53 Depth=1
	s_mov_b32 s25, exec_lo
	s_mov_b32 s24, exec_lo
	v_mbcnt_lo_u32_b32 v10, s25, 0
	s_waitcnt vmcnt(0) lgkmcnt(0)
	s_waitcnt_vscnt null, 0x0
	buffer_gl1_inv
	buffer_gl0_inv
	v_cmpx_eq_u32_e32 0, v10
	s_cbranch_execz .LBB6_89
; %bb.88:                               ;   in Loop: Header=BB6_53 Depth=1
	s_bcnt1_i32_b32 s25, s25
	s_delay_alu instid0(SALU_CYCLE_1)
	v_mov_b32_e32 v29, s25
	ds_add_u64 v0, v[29:30]
	s_cbranch_execz .LBB6_89
; %bb.11163:
	s_getpc_b64 s[34:35]
.Lpost_getpc100:
	s_add_u32 s34, s34, (.LBB6_10979-.Lpost_getpc100)&4294967295
	s_addc_u32 s35, s35, (.LBB6_10979-.Lpost_getpc100)>>32
	s_setpc_b64 s[34:35]
.LBB6_89:                               ;   in Loop: Header=BB6_53 Depth=1
	s_or_b32 exec_lo, exec_lo, s24
	s_cbranch_execz .LBB6_90
; %bb.11165:
	s_getpc_b64 s[34:35]
.Lpost_getpc101:
	s_add_u32 s34, s34, (.LBB6_10967-.Lpost_getpc101)&4294967295
	s_addc_u32 s35, s35, (.LBB6_10967-.Lpost_getpc101)>>32
	s_setpc_b64 s[34:35]
.LBB6_90:                               ;   in Loop: Header=BB6_53 Depth=1
	ds_load_b64 v[10:11], v0
	v_add_co_u32 v70, vcc_lo, v70, v115
	v_add_co_ci_u32_e32 v71, vcc_lo, 0, v71, vcc_lo
	s_mov_b32 s24, exec_lo
	s_waitcnt lgkmcnt(0)
	s_delay_alu instid0(VALU_DEP_1)
	v_cmpx_lt_u64_e64 v[10:11], v[70:71]
	s_cbranch_execz .LBB6_101
; %bb.91:                               ;   in Loop: Header=BB6_53 Depth=1
	s_mov_b32 s25, 0
	s_mov_b32 s28, 0
                                        ; implicit-def: $sgpr26
                                        ; implicit-def: $sgpr27
	s_branch .LBB6_93
.LBB6_92:                               ;   in Loop: Header=BB6_93 Depth=2
	s_or_b32 exec_lo, exec_lo, vcc_hi
	s_delay_alu instid0(SALU_CYCLE_1) | instskip(NEXT) | instid1(SALU_CYCLE_1)
	s_and_b32 s29, exec_lo, vcc_lo
	s_or_b32 s25, s29, s25
	s_and_not1_b32 s26, s26, exec_lo
	s_and_b32 s29, s27, exec_lo
	s_delay_alu instid0(SALU_CYCLE_1)
	s_or_b32 s26, s26, s29
	s_and_not1_b32 exec_lo, exec_lo, s25
	s_cbranch_execz .LBB6_99
.LBB6_93:                               ;   Parent Loop BB6_53 Depth=1
                                        ; =>  This Inner Loop Header: Depth=2
	s_add_i32 s28, s28, 1
                                        ; implicit-def: $vcc_hi
	s_delay_alu instid0(SALU_CYCLE_1) | instskip(SKIP_1) | instid1(SALU_CYCLE_1)
	s_cmpk_lg_i32 s28, 0x2710
	s_cselect_b32 s29, -1, 0
	s_and_b32 vcc_lo, exec_lo, s29
	s_cbranch_vccz .LBB6_97
.LBB6_94:                               ;   in Loop: Header=BB6_93 Depth=2
	s_and_not1_b32 s27, s27, exec_lo
	s_and_b32 vcc_hi, vcc_hi, exec_lo
	s_mov_b32 vcc_lo, -1
	s_or_b32 s27, s27, vcc_hi
	s_and_saveexec_b32 vcc_hi, s29
	s_cbranch_execz .LBB6_92
; %bb.95:                               ;   in Loop: Header=BB6_93 Depth=2
	s_sleep 1
	s_cbranch_execz .LBB6_96
; %bb.11167:
	s_getpc_b64 s[34:35]
.Lpost_getpc102:
	s_add_u32 s34, s34, (.LBB6_11011-.Lpost_getpc102)&4294967295
	s_addc_u32 s35, s35, (.LBB6_11011-.Lpost_getpc102)>>32
	s_setpc_b64 s[34:35]
.LBB6_96:                               ;   in Loop: Header=BB6_93 Depth=2
	ds_load_b64 v[10:11], v0
	s_and_not1_b32 s27, s27, exec_lo
	s_waitcnt lgkmcnt(0)
	v_cmp_ge_u64_e32 vcc_lo, v[10:11], v[70:71]
	s_or_not1_b32 vcc_lo, vcc_lo, exec_lo
	s_branch .LBB6_92
.LBB6_97:                               ;   in Loop: Header=BB6_93 Depth=2
	s_cbranch_execz .LBB6_98
; %bb.11169:
	s_getpc_b64 s[34:35]
.Lpost_getpc103:
	s_add_u32 s34, s34, (.LBB6_11019-.Lpost_getpc103)&4294967295
	s_addc_u32 s35, s35, (.LBB6_11019-.Lpost_getpc103)>>32
	s_setpc_b64 s[34:35]
.LBB6_98:                               ;   in Loop: Header=BB6_93 Depth=2
	ds_load_b64 v[10:11], v0
	s_and_not1_b32 s29, s29, exec_lo
	s_mov_b32 s28, 0
	s_waitcnt lgkmcnt(0)
	flat_load_b32 v10, v[10:11] glc
	s_waitcnt vmcnt(0) lgkmcnt(0)
	buffer_gl1_inv
	buffer_gl0_inv
	v_cmp_eq_u32_e32 vcc_lo, 0, v10
	s_mov_b32 vcc_hi, -1
	s_and_b32 vcc_lo, vcc_lo, exec_lo
	s_delay_alu instid0(SALU_CYCLE_1)
	s_or_b32 s29, s29, vcc_lo
	s_branch .LBB6_94
.LBB6_99:                               ;   in Loop: Header=BB6_53 Depth=1
	s_or_b32 exec_lo, exec_lo, s25
	s_and_saveexec_b32 s25, s26
	s_delay_alu instid0(SALU_CYCLE_1)
	s_xor_b32 s25, exec_lo, s25
	s_cbranch_execz .LBB6_101
; %bb.100:                              ;   in Loop: Header=BB6_53 Depth=1
	ds_store_b32 v0, v145
	s_cbranch_execz .LBB6_101
; %bb.11171:
	s_getpc_b64 s[34:35]
.Lpost_getpc104:
	s_add_u32 s34, s34, (.LBB6_11097-.Lpost_getpc104)&4294967295
	s_addc_u32 s35, s35, (.LBB6_11097-.Lpost_getpc104)>>32
	s_setpc_b64 s[34:35]
.LBB6_101:                              ;   in Loop: Header=BB6_53 Depth=1
	s_or_b32 exec_lo, exec_lo, s24
	;;#ASMSTART
	s_wakeup
	;;#ASMEND
.LBB6_102:                              ;   in Loop: Header=BB6_53 Depth=1
	s_or_b32 exec_lo, exec_lo, s23
.LBB6_103:                              ;   in Loop: Header=BB6_53 Depth=1
	s_and_not1_saveexec_b32 s12, s12
	s_cbranch_execz .LBB6_105
; %bb.104:                              ;   in Loop: Header=BB6_53 Depth=1
	s_waitcnt vmcnt(0) lgkmcnt(0)
	s_waitcnt_vscnt null, 0x0
	buffer_gl1_inv
	buffer_gl0_inv
	s_barrier
.LBB6_105:                              ;   in Loop: Header=BB6_53 Depth=1
	s_or_b32 exec_lo, exec_lo, s12
.LBB6_106:                              ;   in Loop: Header=BB6_53 Depth=1
	s_delay_alu instid0(SALU_CYCLE_1)
	s_or_b32 exec_lo, exec_lo, s11
	s_cbranch_execz .LBB6_107
; %bb.11173:
	s_getpc_b64 s[34:35]
.Lpost_getpc105:
	s_add_u32 s34, s34, (.LBB6_10900-.Lpost_getpc105)&4294967295
	s_addc_u32 s35, s35, (.LBB6_10900-.Lpost_getpc105)>>32
	s_setpc_b64 s[34:35]
.LBB6_107:                              ;   in Loop: Header=BB6_53 Depth=1
	ds_load_b32 v10, v0
	v_and_b32_e32 v11, 0x4000, v103
	s_delay_alu instid0(VALU_DEP_1) | instskip(SKIP_1) | instid1(SALU_CYCLE_1)
	v_cmp_ne_u32_e32 vcc_lo, 0, v11
	s_and_b32 s12, s20, vcc_lo
	s_and_saveexec_b32 s11, s12
	s_cbranch_execz .LBB6_129
; %bb.108:                              ;   in Loop: Header=BB6_53 Depth=1
	s_and_saveexec_b32 s12, s4
	s_delay_alu instid0(SALU_CYCLE_1)
	s_xor_b32 s12, exec_lo, s12
	s_cbranch_execz .LBB6_126
; %bb.109:                              ;   in Loop: Header=BB6_53 Depth=1
	s_and_saveexec_b32 s23, s5
	s_cbranch_execz .LBB6_125
; %bb.110:                              ;   in Loop: Header=BB6_53 Depth=1
	s_mov_b32 s25, exec_lo
	s_mov_b32 s24, exec_lo
	v_mbcnt_lo_u32_b32 v11, s25, 0
	s_waitcnt vmcnt(0) lgkmcnt(0)
	s_waitcnt_vscnt null, 0x0
	buffer_gl1_inv
	buffer_gl0_inv
	v_cmpx_eq_u32_e32 0, v11
	s_cbranch_execz .LBB6_112
; %bb.111:                              ;   in Loop: Header=BB6_53 Depth=1
	s_bcnt1_i32_b32 s25, s25
	s_delay_alu instid0(SALU_CYCLE_1)
	v_mov_b32_e32 v29, s25
	ds_add_u64 v0, v[29:30]
	s_cbranch_execz .LBB6_112
; %bb.11175:
	s_getpc_b64 s[34:35]
.Lpost_getpc106:
	s_add_u32 s34, s34, (.LBB6_11007-.Lpost_getpc106)&4294967295
	s_addc_u32 s35, s35, (.LBB6_11007-.Lpost_getpc106)>>32
	s_setpc_b64 s[34:35]
.LBB6_112:                              ;   in Loop: Header=BB6_53 Depth=1
	s_or_b32 exec_lo, exec_lo, s24
	s_cbranch_execz .LBB6_113
; %bb.11177:
	s_getpc_b64 s[34:35]
.Lpost_getpc107:
	s_add_u32 s34, s34, (.LBB6_10995-.Lpost_getpc107)&4294967295
	s_addc_u32 s35, s35, (.LBB6_10995-.Lpost_getpc107)>>32
	s_setpc_b64 s[34:35]
.LBB6_113:                              ;   in Loop: Header=BB6_53 Depth=1
	ds_load_b64 v[11:12], v0
	v_add_co_u32 v70, vcc_lo, v70, v115
	v_add_co_ci_u32_e32 v71, vcc_lo, 0, v71, vcc_lo
	s_mov_b32 s24, exec_lo
	s_waitcnt lgkmcnt(0)
	s_delay_alu instid0(VALU_DEP_1)
	v_cmpx_lt_u64_e64 v[11:12], v[70:71]
	s_cbranch_execz .LBB6_124
; %bb.114:                              ;   in Loop: Header=BB6_53 Depth=1
	s_mov_b32 s25, 0
	s_mov_b32 s28, 0
                                        ; implicit-def: $sgpr26
                                        ; implicit-def: $sgpr27
	s_branch .LBB6_116
.LBB6_115:                              ;   in Loop: Header=BB6_116 Depth=2
	s_or_b32 exec_lo, exec_lo, vcc_hi
	s_delay_alu instid0(SALU_CYCLE_1) | instskip(NEXT) | instid1(SALU_CYCLE_1)
	s_and_b32 s29, exec_lo, vcc_lo
	s_or_b32 s25, s29, s25
	s_and_not1_b32 s26, s26, exec_lo
	s_and_b32 s29, s27, exec_lo
	s_delay_alu instid0(SALU_CYCLE_1)
	s_or_b32 s26, s26, s29
	s_and_not1_b32 exec_lo, exec_lo, s25
	s_cbranch_execz .LBB6_122
.LBB6_116:                              ;   Parent Loop BB6_53 Depth=1
                                        ; =>  This Inner Loop Header: Depth=2
	s_add_i32 s28, s28, 1
                                        ; implicit-def: $vcc_hi
	s_delay_alu instid0(SALU_CYCLE_1) | instskip(SKIP_1) | instid1(SALU_CYCLE_1)
	s_cmpk_lg_i32 s28, 0x2710
	s_cselect_b32 s29, -1, 0
	s_and_b32 vcc_lo, exec_lo, s29
	s_cbranch_vccz .LBB6_120
.LBB6_117:                              ;   in Loop: Header=BB6_116 Depth=2
	s_and_not1_b32 s27, s27, exec_lo
	s_and_b32 vcc_hi, vcc_hi, exec_lo
	s_mov_b32 vcc_lo, -1
	s_or_b32 s27, s27, vcc_hi
	s_and_saveexec_b32 vcc_hi, s29
	s_cbranch_execz .LBB6_115
; %bb.118:                              ;   in Loop: Header=BB6_116 Depth=2
	s_sleep 1
	s_cbranch_execz .LBB6_119
; %bb.11179:
	s_getpc_b64 s[34:35]
.Lpost_getpc108:
	s_add_u32 s34, s34, (.LBB6_11053-.Lpost_getpc108)&4294967295
	s_addc_u32 s35, s35, (.LBB6_11053-.Lpost_getpc108)>>32
	s_setpc_b64 s[34:35]
.LBB6_119:                              ;   in Loop: Header=BB6_116 Depth=2
	ds_load_b64 v[11:12], v0
	s_and_not1_b32 s27, s27, exec_lo
	s_waitcnt lgkmcnt(0)
	v_cmp_ge_u64_e32 vcc_lo, v[11:12], v[70:71]
	s_or_not1_b32 vcc_lo, vcc_lo, exec_lo
	s_branch .LBB6_115
.LBB6_120:                              ;   in Loop: Header=BB6_116 Depth=2
	s_cbranch_execz .LBB6_121
; %bb.11181:
	s_getpc_b64 s[34:35]
.Lpost_getpc109:
	s_add_u32 s34, s34, (.LBB6_11067-.Lpost_getpc109)&4294967295
	s_addc_u32 s35, s35, (.LBB6_11067-.Lpost_getpc109)>>32
	s_setpc_b64 s[34:35]
.LBB6_121:                              ;   in Loop: Header=BB6_116 Depth=2
	ds_load_b64 v[11:12], v0
	s_and_not1_b32 s29, s29, exec_lo
	s_mov_b32 s28, 0
	s_waitcnt lgkmcnt(0)
	flat_load_b32 v11, v[11:12] glc
	s_waitcnt vmcnt(0) lgkmcnt(0)
	buffer_gl1_inv
	buffer_gl0_inv
	v_cmp_eq_u32_e32 vcc_lo, 0, v11
	s_mov_b32 vcc_hi, -1
	s_and_b32 vcc_lo, vcc_lo, exec_lo
	s_delay_alu instid0(SALU_CYCLE_1)
	s_or_b32 s29, s29, vcc_lo
	s_branch .LBB6_117
.LBB6_122:                              ;   in Loop: Header=BB6_53 Depth=1
	s_or_b32 exec_lo, exec_lo, s25
	s_and_saveexec_b32 s25, s26
	s_delay_alu instid0(SALU_CYCLE_1)
	s_xor_b32 s25, exec_lo, s25
	s_cbranch_execz .LBB6_124
; %bb.123:                              ;   in Loop: Header=BB6_53 Depth=1
	ds_store_b32 v0, v145
	s_cbranch_execz .LBB6_124
; %bb.11183:
	s_getpc_b64 s[34:35]
.Lpost_getpc110:
	s_add_u32 s34, s34, (.LBB6_11107-.Lpost_getpc110)&4294967295
	s_addc_u32 s35, s35, (.LBB6_11107-.Lpost_getpc110)>>32
	s_setpc_b64 s[34:35]
.LBB6_124:                              ;   in Loop: Header=BB6_53 Depth=1
	s_or_b32 exec_lo, exec_lo, s24
	;;#ASMSTART
	s_wakeup
	;;#ASMEND
.LBB6_125:                              ;   in Loop: Header=BB6_53 Depth=1
	s_or_b32 exec_lo, exec_lo, s23
.LBB6_126:                              ;   in Loop: Header=BB6_53 Depth=1
	s_and_not1_saveexec_b32 s12, s12
	s_cbranch_execz .LBB6_128
; %bb.127:                              ;   in Loop: Header=BB6_53 Depth=1
	s_waitcnt vmcnt(0) lgkmcnt(0)
	s_waitcnt_vscnt null, 0x0
	buffer_gl1_inv
	buffer_gl0_inv
	s_barrier
.LBB6_128:                              ;   in Loop: Header=BB6_53 Depth=1
	s_or_b32 exec_lo, exec_lo, s12
.LBB6_129:                              ;   in Loop: Header=BB6_53 Depth=1
	s_delay_alu instid0(SALU_CYCLE_1)
	s_or_b32 exec_lo, exec_lo, s11
	s_cbranch_execz .LBB6_130
; %bb.11185:
	s_getpc_b64 s[34:35]
.Lpost_getpc111:
	s_add_u32 s34, s34, (.LBB6_10935-.Lpost_getpc111)&4294967295
	s_addc_u32 s35, s35, (.LBB6_10935-.Lpost_getpc111)>>32
	s_setpc_b64 s[34:35]
.LBB6_130:                              ;   in Loop: Header=BB6_53 Depth=1
	ds_load_b64 v[11:12], v0
	s_waitcnt lgkmcnt(0)
	v_cmp_eq_u64_e32 vcc_lo, 0, v[11:12]
	s_or_b32 s11, vcc_lo, vcc_lo
	s_delay_alu instid0(SALU_CYCLE_1)
	s_and_b32 vcc_lo, exec_lo, s11
	s_mov_b32 s11, 0
	s_cbranch_vccz .LBB6_131
; %bb.11187:                            ;   in Loop: Header=BB6_53 Depth=1
	s_getpc_b64 s[34:35]
.Lpost_getpc112:
	s_add_u32 s34, s34, (.LBB6_5249-.Lpost_getpc112)&4294967295
	s_addc_u32 s35, s35, (.LBB6_5249-.Lpost_getpc112)>>32
	s_setpc_b64 s[34:35]
.LBB6_131:                              ;   in Loop: Header=BB6_53 Depth=1
	s_cbranch_execz .LBB6_132
; %bb.11189:
	s_getpc_b64 s[34:35]
.Lpost_getpc113:
	s_add_u32 s34, s34, (.LBB6_10961-.Lpost_getpc113)&4294967295
	s_addc_u32 s35, s35, (.LBB6_10961-.Lpost_getpc113)>>32
	s_setpc_b64 s[34:35]
.LBB6_132:                              ;   in Loop: Header=BB6_53 Depth=1
	ds_load_b64 v[11:12], v0
	s_mov_b32 s11, -1
	s_waitcnt lgkmcnt(0)
	v_readfirstlane_b32 s23, v11
	s_and_saveexec_b32 s12, s6
	s_cbranch_execz .LBB6_134
; %bb.133:                              ;   in Loop: Header=BB6_53 Depth=1
	ds_load_b32 v11, v0 offset:720
	s_waitcnt lgkmcnt(0)
	v_and_b32_e32 v11, 15, v11
	s_delay_alu instid0(VALU_DEP_1)
	v_cmp_eq_u32_e32 vcc_lo, 0, v11
	s_or_not1_b32 s11, vcc_lo, exec_lo
.LBB6_134:                              ;   in Loop: Header=BB6_53 Depth=1
	s_or_b32 exec_lo, exec_lo, s12
	s_and_saveexec_b32 s12, s7
	s_cbranch_execz .LBB6_136
; %bb.135:                              ;   in Loop: Header=BB6_53 Depth=1
	ds_load_b32 v11, v0 offset:784
	s_waitcnt lgkmcnt(0)
	v_and_b32_e32 v11, 15, v11
	s_delay_alu instid0(VALU_DEP_1) | instskip(SKIP_3) | instid1(SALU_CYCLE_1)
	v_cmp_eq_u32_e32 vcc_lo, 0, v11
	s_and_b32 s24, s11, vcc_lo
	s_and_not1_b32 s11, s11, exec_lo
	s_and_b32 s24, s24, exec_lo
	s_or_b32 s11, s11, s24
.LBB6_136:                              ;   in Loop: Header=BB6_53 Depth=1
	s_or_b32 exec_lo, exec_lo, s12
	v_cmp_eq_u32_e32 vcc_lo, 0, v10
	s_xor_b32 s11, s11, -1
	v_mov_b32_e32 v10, v116
	v_cndmask_b32_e64 v11, 0, 1, s11
	;;#ASMSTART
	;;#ASMEND
	v_dual_cndmask_b32 v87, 0, v96 :: v_dual_mov_b32 v16, 0
	s_delay_alu instid0(VALU_DEP_2) | instskip(SKIP_1) | instid1(VALU_DEP_2)
	v_cmp_ne_u32_e32 vcc_lo, 0, v11
	s_mov_b32 s11, -1
	v_dual_mov_b32 v18, v0 :: v_dual_mov_b32 v17, v87
	s_cbranch_vccnz .LBB6_3752
; %bb.137:                              ;   in Loop: Header=BB6_53 Depth=1
	v_lshrrev_b32_e32 v10, 11, v87
	s_mov_b32 s12, exec_lo
	s_delay_alu instid0(VALU_DEP_1) | instskip(NEXT) | instid1(VALU_DEP_1)
	v_sub_nc_u32_e32 v146, v10, v116
	v_cmpx_lt_i32_e32 0, v146
	s_cbranch_execz .LBB6_3022
; %bb.138:                              ;   in Loop: Header=BB6_53 Depth=1
	s_cbranch_execz .LBB6_139
; %bb.11191:
	s_getpc_b64 s[34:35]
.Lpost_getpc114:
	s_add_u32 s34, s34, (.LBB6_11061-.Lpost_getpc114)&4294967295
	s_addc_u32 s35, s35, (.LBB6_11061-.Lpost_getpc114)>>32
	s_setpc_b64 s[34:35]
.LBB6_139:                              ;   in Loop: Header=BB6_53 Depth=1
	ds_load_b128 v[10:13], v0
	ds_load_b64 v[14:15], v0
	s_bitcmp1_b32 s23, 0
	s_mov_b32 s24, 0
	s_cselect_b32 s25, -1, 0
	s_waitcnt lgkmcnt(1)
	v_add_co_u32 v97, vcc_lo, v10, v119
	v_add_co_ci_u32_e32 v98, vcc_lo, v11, v130, vcc_lo
	v_add_co_u32 v99, vcc_lo, v12, v119
	v_add_co_ci_u32_e32 v100, vcc_lo, v13, v130, vcc_lo
	s_waitcnt lgkmcnt(0)
	v_add_co_u32 v101, vcc_lo, v14, v119
	v_add_co_ci_u32_e32 v102, vcc_lo, v15, v130, vcc_lo
	s_branch .LBB6_143
.LBB6_140:                              ;   in Loop: Header=BB6_143 Depth=2
	s_or_b32 exec_lo, exec_lo, s11
	s_delay_alu instid0(VALU_DEP_1) | instskip(NEXT) | instid1(VALU_DEP_2)
	v_lshrrev_b32_e32 v17, 20, v17
	v_cmp_gt_i32_e32 vcc_lo, 16, v13
	v_min_i32_e32 v60, 15, v13
	v_lshrrev_b32_e32 v61, 24, v62
	s_delay_alu instid0(VALU_DEP_2) | instskip(NEXT) | instid1(VALU_DEP_2)
	v_dual_cndmask_b32 v17, 7, v17 :: v_dual_lshlrev_b32 v60, 3, v60
	v_and_b32_e32 v61, 0x80, v61
	s_delay_alu instid0(VALU_DEP_2) | instskip(SKIP_1) | instid1(VALU_DEP_2)
	v_or_b32_e32 v13, v13, v17
	v_and_b32_e32 v62, 7, v17
	v_cmp_ne_u32_e32 vcc_lo, 0, v13
	v_and_b32_e32 v60, 0xf8, v60
	s_delay_alu instid0(VALU_DEP_1) | instskip(NEXT) | instid1(VALU_DEP_1)
	v_or3_b32 v60, v61, v60, v62
	v_lshlrev_b32_e32 v17, 8, v60
	s_delay_alu instid0(VALU_DEP_1)
	v_cndmask_b32_e32 v13, 0, v17, vcc_lo
.LBB6_141:                              ;   in Loop: Header=BB6_143 Depth=2
	s_or_b32 exec_lo, exec_lo, s27
.LBB6_142:                              ;   in Loop: Header=BB6_143 Depth=2
	s_delay_alu instid0(SALU_CYCLE_1)
	s_or_b32 exec_lo, exec_lo, s26
	v_lshlrev_b32_e32 v17, 8, v182
	v_and_b32_e32 v181, 0xff, v181
	v_or_b32_e32 v19, v19, v183
	v_lshlrev_b32_e32 v182, 24, v18
	v_lshlrev_b32_e32 v18, 8, v180
	v_perm_b32 v17, v17, v22, 0xc0c0500
	v_lshlrev_b32_e32 v22, 16, v181
	v_and_b32_e32 v180, 0xff, v41
	v_lshlrev_b32_e32 v181, 8, v40
	v_lshlrev_b32_e32 v183, 8, v42
	;; [unrolled: 1-line block ×3, first 2 shown]
	v_or_b32_e32 v21, v21, v43
	v_lshlrev_b32_e32 v180, 16, v180
	v_perm_b32 v23, v181, v23, 0xc0c0500
	v_perm_b32 v24, v183, v24, 0xc0c0500
	;; [unrolled: 1-line block ×3, first 2 shown]
	v_lshl_or_b32 v18, v19, 16, v17
	v_lshlrev_b32_e32 v166, 8, v166
	v_or3_b32 v19, v20, v180, v23
	v_lshl_or_b32 v20, v21, 16, v24
	v_and_b32_e32 v23, 0xff, v165
	v_lshlrev_b32_e32 v24, 8, v164
	v_or3_b32 v17, v182, v22, v35
	v_or_b32_e32 v21, v27, v167
	v_perm_b32 v22, v166, v32, 0xc0c0500
	v_lshlrev_b32_e32 v26, 24, v26
	v_and_b32_e32 v27, 0xff, v177
	v_lshlrev_b32_e32 v32, 8, v176
	v_lshlrev_b32_e32 v23, 16, v23
	v_perm_b32 v24, v24, v51, 0xc0c0500
	v_lshlrev_b32_e32 v28, 24, v28
	v_lshlrev_b32_e32 v27, 16, v27
	v_perm_b32 v32, v32, v33, 0xc0c0500
	v_lshlrev_b32_e32 v33, 8, v178
	v_lshl_or_b32 v22, v21, 16, v22
	v_or3_b32 v21, v26, v23, v24
	v_lshlrev_b32_e32 v24, 8, v150
	v_or3_b32 v23, v28, v27, v32
	v_perm_b32 v26, v33, v34, 0xc0c0500
	v_or_b32_e32 v27, v29, v179
	v_or_b32_e32 v28, v37, v151
	v_perm_b32 v29, v24, v48, 0xc0c0500
	v_and_b32_e32 v24, 0xff, v149
	v_lshlrev_b32_e32 v32, 8, v148
	v_and_b32_e32 v34, 0xff, v161
	v_lshlrev_b32_e32 v35, 8, v160
	v_lshlrev_b32_e32 v33, 24, v36
	;; [unrolled: 1-line block ×3, first 2 shown]
	v_perm_b32 v32, v32, v147, 0xc0c0500
	v_lshlrev_b32_e32 v37, 24, v38
	v_lshlrev_b32_e32 v34, 16, v34
	v_perm_b32 v35, v35, v49, 0xc0c0500
	v_lshl_or_b32 v24, v27, 16, v26
	v_lshl_or_b32 v27, v28, 16, v29
	v_lshlrev_b32_e32 v29, 8, v46
	v_lshlrev_b32_e32 v38, 8, v162
	v_or3_b32 v26, v33, v36, v32
	v_or3_b32 v28, v37, v34, v35
	v_and_b32_e32 v34, 0xff, v45
	v_perm_b32 v14, v29, v14, 0xc0c0500
	v_lshlrev_b32_e32 v29, 8, v44
	v_and_b32_e32 v35, 0xff, v57
	v_lshlrev_b32_e32 v36, 8, v56
	v_lshlrev_b32_e32 v37, 8, v58
	v_perm_b32 v32, v38, v50, 0xc0c0500
	v_or_b32_e32 v33, v39, v163
	v_or_b32_e32 v11, v11, v47
	v_lshlrev_b32_e32 v10, 24, v10
	v_lshlrev_b32_e32 v34, 16, v34
	v_perm_b32 v25, v29, v25, 0xc0c0500
	v_lshlrev_b32_e32 v12, 24, v12
	v_lshlrev_b32_e32 v35, 16, v35
	v_perm_b32 v15, v36, v15, 0xc0c0500
	v_perm_b32 v16, v37, v16, 0xc0c0500
	v_or_b32_e32 v13, v13, v59
	v_add_co_u32 v97, vcc_lo, v97, v128
	v_lshl_or_b32 v29, v33, 16, v32
	v_sub_nc_u32_e32 v146, v146, v115
	v_add_co_ci_u32_e32 v98, vcc_lo, v98, v129, vcc_lo
	v_add_co_u32 v99, vcc_lo, v99, v128
	v_lshl_or_b32 v11, v11, 16, v14
	v_or3_b32 v10, v10, v34, v25
	v_or3_b32 v12, v12, v35, v15
	v_lshl_or_b32 v13, v13, 16, v16
	v_add_co_ci_u32_e32 v100, vcc_lo, v100, v129, vcc_lo
	s_clause 0x3
	global_store_b128 v[101:102], v[26:29], off glc slc dlc
	global_store_b128 v[101:102], v[21:24], off offset:512 glc slc dlc
	global_store_b128 v[101:102], v[17:20], off offset:1024 glc slc dlc
	;; [unrolled: 1-line block ×3, first 2 shown]
	v_cmp_gt_i32_e32 vcc_lo, 1, v146
	v_add_co_u32 v101, s11, v101, v128
	s_delay_alu instid0(VALU_DEP_1) | instskip(SKIP_1) | instid1(SALU_CYCLE_1)
	v_add_co_ci_u32_e64 v102, s11, v102, v129, s11
	s_or_b32 s24, vcc_lo, s24
	s_and_not1_b32 exec_lo, exec_lo, s24
	s_cbranch_execz .LBB6_3021
.LBB6_143:                              ;   Parent Loop BB6_53 Depth=1
                                        ; =>  This Inner Loop Header: Depth=2
	s_clause 0x3
	global_load_b128 v[48:51], v[97:98], off slc dlc
	global_load_b128 v[32:35], v[97:98], off offset:512 slc dlc
	global_load_b128 v[22:25], v[97:98], off offset:1024 slc dlc
	;; [unrolled: 1-line block ×3, first 2 shown]
	s_clause 0x3
	global_load_b128 v[36:39], v[99:100], off slc dlc
	global_load_b128 v[26:29], v[99:100], off offset:512 slc dlc
	global_load_b128 v[18:21], v[99:100], off offset:1024 slc dlc
	global_load_b128 v[10:13], v[99:100], off offset:1536 slc dlc
	s_and_b32 vcc_lo, exec_lo, s25
	s_cbranch_vccz .LBB6_153
; %bb.144:                              ;   in Loop: Header=BB6_143 Depth=2
	s_waitcnt vmcnt(7)
	v_and_b32_e32 v148, 0xff, v48
	s_mov_b32 s11, 0
	s_mov_b32 s27, exec_lo
                                        ; implicit-def: $sgpr26
	s_delay_alu instid0(VALU_DEP_1)
	v_cmpx_lt_i16_e64 0x7f, v148
	s_xor_b32 s27, exec_lo, s27
	s_cbranch_execnz .LBB6_1997
; %bb.145:                              ;   in Loop: Header=BB6_143 Depth=2
	s_or_saveexec_b32 s27, s27
	v_mov_b32_e32 v147, s26
	s_xor_b32 exec_lo, exec_lo, s27
	s_cbranch_execnz .LBB6_2000
.LBB6_146:                              ;   in Loop: Header=BB6_143 Depth=2
	s_or_b32 exec_lo, exec_lo, s27
	s_and_saveexec_b32 s26, s11
	s_cbranch_execz .LBB6_148
.LBB6_147:                              ;   in Loop: Header=BB6_143 Depth=2
	v_and_b32_e32 v147, 7, v48
	v_bfe_u32 v150, v48, 3, 4
	v_lshlrev_b32_e32 v151, 24, v48
	s_delay_alu instid0(VALU_DEP_3) | instskip(NEXT) | instid1(VALU_DEP_3)
	v_clz_i32_u32_e32 v148, v147
	v_cmp_eq_u32_e32 vcc_lo, 0, v150
	s_delay_alu instid0(VALU_DEP_2) | instskip(NEXT) | instid1(VALU_DEP_1)
	v_min_u32_e32 v148, 32, v148
	v_subrev_nc_u32_e32 v149, 28, v148
	v_sub_nc_u32_e32 v148, 29, v148
	s_delay_alu instid0(VALU_DEP_2) | instskip(NEXT) | instid1(VALU_DEP_1)
	v_lshlrev_b32_e32 v149, v149, v48
	v_dual_cndmask_b32 v148, v150, v148 :: v_dual_and_b32 v149, 7, v149
	s_delay_alu instid0(VALU_DEP_1) | instskip(NEXT) | instid1(VALU_DEP_2)
	v_lshl_add_u32 v148, v148, 23, 0x3b800000
	v_cndmask_b32_e32 v147, v147, v149, vcc_lo
	v_and_b32_e32 v149, 0x80000000, v151
	s_delay_alu instid0(VALU_DEP_2) | instskip(NEXT) | instid1(VALU_DEP_1)
	v_lshlrev_b32_e32 v147, 20, v147
	v_or3_b32 v147, v149, v148, v147
.LBB6_148:                              ;   in Loop: Header=BB6_143 Depth=2
	s_or_b32 exec_lo, exec_lo, s26
	s_waitcnt vmcnt(3)
	v_and_b32_e32 v149, 0xff, v36
	s_mov_b32 s11, 0
	s_mov_b32 s27, exec_lo
                                        ; implicit-def: $sgpr26
	s_delay_alu instid0(VALU_DEP_1)
	v_cmpx_lt_i16_e64 0x7f, v149
	s_xor_b32 s27, exec_lo, s27
	s_cbranch_execnz .LBB6_2001
; %bb.149:                              ;   in Loop: Header=BB6_143 Depth=2
	s_or_saveexec_b32 s27, s27
	v_mov_b32_e32 v148, s26
	s_xor_b32 exec_lo, exec_lo, s27
	s_cbranch_execnz .LBB6_2004
.LBB6_150:                              ;   in Loop: Header=BB6_143 Depth=2
	s_or_b32 exec_lo, exec_lo, s27
	s_and_saveexec_b32 s26, s11
	s_cbranch_execz .LBB6_152
.LBB6_151:                              ;   in Loop: Header=BB6_143 Depth=2
	v_bfe_u32 v151, v36, 3, 4
	v_lshlrev_b32_e32 v160, 24, v36
	s_delay_alu instid0(VALU_DEP_2) | instskip(SKIP_1) | instid1(VALU_DEP_1)
	v_cmp_eq_u32_e32 vcc_lo, 0, v151
	v_and_b32_e32 v148, 7, v36
	v_clz_i32_u32_e32 v149, v148
	s_delay_alu instid0(VALU_DEP_1) | instskip(NEXT) | instid1(VALU_DEP_1)
	v_min_u32_e32 v149, 32, v149
	v_subrev_nc_u32_e32 v150, 28, v149
	v_sub_nc_u32_e32 v149, 29, v149
	s_delay_alu instid0(VALU_DEP_1) | instskip(NEXT) | instid1(VALU_DEP_1)
	v_dual_cndmask_b32 v149, v151, v149 :: v_dual_lshlrev_b32 v150, v150, v36
	v_and_b32_e32 v150, 7, v150
	s_delay_alu instid0(VALU_DEP_2) | instskip(NEXT) | instid1(VALU_DEP_2)
	v_lshl_add_u32 v149, v149, 23, 0x3b800000
	v_cndmask_b32_e32 v148, v148, v150, vcc_lo
	v_and_b32_e32 v150, 0x80000000, v160
	s_delay_alu instid0(VALU_DEP_2) | instskip(NEXT) | instid1(VALU_DEP_1)
	v_lshlrev_b32_e32 v148, 20, v148
	v_or3_b32 v148, v150, v149, v148
.LBB6_152:                              ;   in Loop: Header=BB6_143 Depth=2
	s_or_b32 exec_lo, exec_lo, s26
	s_delay_alu instid0(VALU_DEP_1) | instskip(SKIP_1) | instid1(VALU_DEP_1)
	v_dual_max_f32 v148, v148, v148 :: v_dual_max_f32 v147, v147, v147
	s_mov_b32 s11, 0
	v_max_f32_e32 v148, v147, v148
	s_branch .LBB6_154
.LBB6_153:                              ;   in Loop: Header=BB6_143 Depth=2
	s_mov_b32 s11, -1
                                        ; implicit-def: $vgpr148
.LBB6_154:                              ;   in Loop: Header=BB6_143 Depth=2
	s_delay_alu instid0(SALU_CYCLE_1)
	s_and_b32 vcc_lo, exec_lo, s11
	s_cbranch_vccz .LBB6_164
; %bb.155:                              ;   in Loop: Header=BB6_143 Depth=2
	s_waitcnt vmcnt(7)
	v_and_b32_e32 v148, 0xff, v48
	s_mov_b32 s11, 0
	s_mov_b32 s27, exec_lo
                                        ; implicit-def: $sgpr26
	s_delay_alu instid0(VALU_DEP_1)
	v_cmpx_lt_i16_e64 0x7f, v148
	s_xor_b32 s27, exec_lo, s27
	s_cbranch_execnz .LBB6_2005
; %bb.156:                              ;   in Loop: Header=BB6_143 Depth=2
	s_or_saveexec_b32 s27, s27
	v_mov_b32_e32 v147, s26
	s_xor_b32 exec_lo, exec_lo, s27
	s_cbranch_execnz .LBB6_2008
.LBB6_157:                              ;   in Loop: Header=BB6_143 Depth=2
	s_or_b32 exec_lo, exec_lo, s27
	s_and_saveexec_b32 s26, s11
	s_cbranch_execz .LBB6_159
.LBB6_158:                              ;   in Loop: Header=BB6_143 Depth=2
	v_and_b32_e32 v147, 7, v48
	v_bfe_u32 v150, v48, 3, 4
	v_lshlrev_b32_e32 v151, 24, v48
	s_delay_alu instid0(VALU_DEP_3) | instskip(NEXT) | instid1(VALU_DEP_3)
	v_clz_i32_u32_e32 v148, v147
	v_cmp_eq_u32_e32 vcc_lo, 0, v150
	s_delay_alu instid0(VALU_DEP_2) | instskip(NEXT) | instid1(VALU_DEP_1)
	v_min_u32_e32 v148, 32, v148
	v_subrev_nc_u32_e32 v149, 28, v148
	v_sub_nc_u32_e32 v148, 29, v148
	s_delay_alu instid0(VALU_DEP_2) | instskip(NEXT) | instid1(VALU_DEP_1)
	v_lshlrev_b32_e32 v149, v149, v48
	v_dual_cndmask_b32 v148, v150, v148 :: v_dual_and_b32 v149, 7, v149
	s_delay_alu instid0(VALU_DEP_1) | instskip(NEXT) | instid1(VALU_DEP_2)
	v_lshl_add_u32 v148, v148, 23, 0x3b800000
	v_cndmask_b32_e32 v147, v147, v149, vcc_lo
	v_and_b32_e32 v149, 0x80000000, v151
	s_delay_alu instid0(VALU_DEP_2) | instskip(NEXT) | instid1(VALU_DEP_1)
	v_lshlrev_b32_e32 v147, 20, v147
	v_or3_b32 v147, v149, v148, v147
.LBB6_159:                              ;   in Loop: Header=BB6_143 Depth=2
	s_or_b32 exec_lo, exec_lo, s26
	s_waitcnt vmcnt(3)
	v_and_b32_e32 v149, 0xff, v36
	s_mov_b32 s11, 0
	s_mov_b32 s27, exec_lo
                                        ; implicit-def: $sgpr26
	s_delay_alu instid0(VALU_DEP_1)
	v_cmpx_lt_i16_e64 0x7f, v149
	s_xor_b32 s27, exec_lo, s27
	s_cbranch_execnz .LBB6_2009
; %bb.160:                              ;   in Loop: Header=BB6_143 Depth=2
	s_or_saveexec_b32 s27, s27
	v_mov_b32_e32 v148, s26
	s_xor_b32 exec_lo, exec_lo, s27
	s_cbranch_execnz .LBB6_2012
.LBB6_161:                              ;   in Loop: Header=BB6_143 Depth=2
	s_or_b32 exec_lo, exec_lo, s27
	s_and_saveexec_b32 s26, s11
	s_cbranch_execz .LBB6_163
.LBB6_162:                              ;   in Loop: Header=BB6_143 Depth=2
	v_bfe_u32 v151, v36, 3, 4
	v_lshlrev_b32_e32 v160, 24, v36
	s_delay_alu instid0(VALU_DEP_2) | instskip(SKIP_1) | instid1(VALU_DEP_1)
	v_cmp_eq_u32_e32 vcc_lo, 0, v151
	v_and_b32_e32 v148, 7, v36
	v_clz_i32_u32_e32 v149, v148
	s_delay_alu instid0(VALU_DEP_1) | instskip(NEXT) | instid1(VALU_DEP_1)
	v_min_u32_e32 v149, 32, v149
	v_subrev_nc_u32_e32 v150, 28, v149
	v_sub_nc_u32_e32 v149, 29, v149
	s_delay_alu instid0(VALU_DEP_1) | instskip(NEXT) | instid1(VALU_DEP_1)
	v_dual_cndmask_b32 v149, v151, v149 :: v_dual_lshlrev_b32 v150, v150, v36
	v_and_b32_e32 v150, 7, v150
	s_delay_alu instid0(VALU_DEP_2) | instskip(NEXT) | instid1(VALU_DEP_2)
	v_lshl_add_u32 v149, v149, 23, 0x3b800000
	v_cndmask_b32_e32 v148, v148, v150, vcc_lo
	v_and_b32_e32 v150, 0x80000000, v160
	s_delay_alu instid0(VALU_DEP_2) | instskip(NEXT) | instid1(VALU_DEP_1)
	v_lshlrev_b32_e32 v148, 20, v148
	v_or3_b32 v148, v150, v149, v148
.LBB6_163:                              ;   in Loop: Header=BB6_143 Depth=2
	s_or_b32 exec_lo, exec_lo, s26
	s_delay_alu instid0(VALU_DEP_1) | instskip(NEXT) | instid1(VALU_DEP_1)
	v_dual_max_f32 v148, v148, v148 :: v_dual_max_f32 v147, v147, v147
	v_min_f32_e32 v148, v147, v148
.LBB6_164:                              ;   in Loop: Header=BB6_143 Depth=2
	s_delay_alu instid0(VALU_DEP_1) | instskip(NEXT) | instid1(VALU_DEP_1)
	v_and_b32_e32 v147, 0x7f800000, v148
	v_cmp_ne_u32_e32 vcc_lo, 0x7f800000, v147
	v_mov_b32_e32 v147, 0x80
	s_and_saveexec_b32 s26, vcc_lo
	s_cbranch_execz .LBB6_172
; %bb.165:                              ;   in Loop: Header=BB6_143 Depth=2
	v_mov_b32_e32 v147, 0
	s_mov_b32 s27, exec_lo
	v_cmpx_ne_u32_e32 0, v148
	s_cbranch_execz .LBB6_171
; %bb.166:                              ;   in Loop: Header=BB6_143 Depth=2
	v_bfe_u32 v147, v148, 23, 8
	s_delay_alu instid0(VALU_DEP_1) | instskip(SKIP_1) | instid1(VALU_DEP_2)
	v_sub_nc_u32_e32 v150, 0x78, v147
	v_cmp_gt_u32_e32 vcc_lo, 0x79, v147
	v_dual_cndmask_b32 v150, 0, v150 :: v_dual_and_b32 v149, 0x7fffff, v148
	s_delay_alu instid0(VALU_DEP_1) | instskip(SKIP_2) | instid1(VALU_DEP_4)
	v_or_b32_e32 v151, 0x800000, v149
	v_cmp_eq_u32_e32 vcc_lo, 0, v147
	v_add_nc_u32_e32 v147, 0xffffff89, v147
	v_cndmask_b32_e64 v150, v150, 0x77, vcc_lo
	s_delay_alu instid0(VALU_DEP_2) | instskip(SKIP_1) | instid1(VALU_DEP_3)
	v_cndmask_b32_e64 v147, v147, 0xffffff8a, vcc_lo
	v_cndmask_b32_e32 v149, v151, v149, vcc_lo
	v_lshl_add_u32 v151, 0x100000, v150, -1
	v_lshlrev_b32_e64 v162, v150, 0x80000
	s_delay_alu instid0(VALU_DEP_3) | instskip(SKIP_1) | instid1(VALU_DEP_4)
	v_lshrrev_b32_e32 v160, v150, v149
	v_add_nc_u32_e32 v150, v150, v147
	v_and_b32_e32 v149, v151, v149
	s_delay_alu instid0(VALU_DEP_3) | instskip(NEXT) | instid1(VALU_DEP_2)
	v_bfe_u32 v161, v160, 20, 1
	v_cmp_eq_u32_e64 s11, v149, v162
	s_delay_alu instid0(VALU_DEP_2) | instskip(NEXT) | instid1(VALU_DEP_1)
	v_add_nc_u32_e32 v151, -1, v161
	v_cndmask_b32_e64 v149, 0, v151, s11
	v_lshrrev_b32_e32 v151, 23, v160
	s_mov_b32 s11, exec_lo
	s_delay_alu instid0(VALU_DEP_2) | instskip(NEXT) | instid1(VALU_DEP_2)
	v_add_nc_u32_e32 v149, v149, v160
	v_xor_b32_e32 v151, 1, v151
	s_delay_alu instid0(VALU_DEP_2) | instskip(NEXT) | instid1(VALU_DEP_1)
	v_and_b32_e32 v147, 0xfffff, v149
	v_add_nc_u32_e32 v149, v147, v160
                                        ; implicit-def: $vgpr147
	s_delay_alu instid0(VALU_DEP_3)
	v_cmpx_ne_u32_e64 v150, v151
	s_xor_b32 s11, exec_lo, s11
; %bb.167:                              ;   in Loop: Header=BB6_143 Depth=2
	s_delay_alu instid0(VALU_DEP_2) | instskip(SKIP_2) | instid1(VALU_DEP_2)
	v_cmp_lt_u32_e32 vcc_lo, 0xffffff, v149
	v_sub_nc_u32_e32 v147, v150, v151
	v_cndmask_b32_e64 v150, 0, 1, vcc_lo
	v_add_co_ci_u32_e32 v147, vcc_lo, 0, v147, vcc_lo
	s_delay_alu instid0(VALU_DEP_2)
	v_lshrrev_b32_e32 v149, v150, v149
; %bb.168:                              ;   in Loop: Header=BB6_143 Depth=2
	s_and_not1_saveexec_b32 s11, s11
; %bb.169:                              ;   in Loop: Header=BB6_143 Depth=2
	s_delay_alu instid0(VALU_DEP_1)
	v_bfe_u32 v147, v149, 23, 1
; %bb.170:                              ;   in Loop: Header=BB6_143 Depth=2
	s_or_b32 exec_lo, exec_lo, s11
	v_lshrrev_b32_e32 v149, 20, v149
	s_delay_alu instid0(VALU_DEP_2) | instskip(SKIP_2) | instid1(VALU_DEP_2)
	v_cmp_gt_i32_e32 vcc_lo, 16, v147
	v_lshrrev_b32_e32 v148, 24, v148
	v_min_i32_e32 v150, 15, v147
	v_dual_cndmask_b32 v149, 7, v149 :: v_dual_and_b32 v148, 0x80, v148
	s_delay_alu instid0(VALU_DEP_1) | instskip(SKIP_1) | instid1(VALU_DEP_2)
	v_or_b32_e32 v147, v147, v149
	v_and_b32_e32 v151, 7, v149
	v_cmp_ne_u32_e32 vcc_lo, 0, v147
	v_lshlrev_b32_e32 v150, 3, v150
	s_delay_alu instid0(VALU_DEP_1) | instskip(NEXT) | instid1(VALU_DEP_1)
	v_or3_b32 v148, v150, v148, v151
	v_cndmask_b32_e32 v147, 0, v148, vcc_lo
.LBB6_171:                              ;   in Loop: Header=BB6_143 Depth=2
	s_or_b32 exec_lo, exec_lo, s27
.LBB6_172:                              ;   in Loop: Header=BB6_143 Depth=2
	s_delay_alu instid0(SALU_CYCLE_1)
	s_or_b32 exec_lo, exec_lo, s26
	s_waitcnt vmcnt(7)
	v_lshrrev_b16 v149, 8, v48
	s_waitcnt vmcnt(3)
	v_lshrrev_b16 v148, 8, v36
	s_and_b32 vcc_lo, exec_lo, s25
	s_cbranch_vccz .LBB6_182
; %bb.173:                              ;   in Loop: Header=BB6_143 Depth=2
	s_mov_b32 s11, 0
	s_mov_b32 s27, exec_lo
                                        ; implicit-def: $sgpr26
	v_cmpx_lt_i16_e64 0x7f, v149
	s_xor_b32 s27, exec_lo, s27
	s_cbranch_execnz .LBB6_2013
; %bb.174:                              ;   in Loop: Header=BB6_143 Depth=2
	s_or_saveexec_b32 s27, s27
	v_mov_b32_e32 v150, s26
	s_xor_b32 exec_lo, exec_lo, s27
	s_cbranch_execnz .LBB6_2016
.LBB6_175:                              ;   in Loop: Header=BB6_143 Depth=2
	s_or_b32 exec_lo, exec_lo, s27
	s_and_saveexec_b32 s26, s11
	s_cbranch_execz .LBB6_177
.LBB6_176:                              ;   in Loop: Header=BB6_143 Depth=2
	v_and_b32_e32 v150, 0xffff, v149
	s_delay_alu instid0(VALU_DEP_1) | instskip(NEXT) | instid1(VALU_DEP_1)
	v_and_b32_e32 v151, 7, v150
	v_clz_i32_u32_e32 v160, v151
	s_delay_alu instid0(VALU_DEP_1) | instskip(NEXT) | instid1(VALU_DEP_1)
	v_min_u32_e32 v160, 32, v160
	v_subrev_nc_u32_e32 v161, 28, v160
	v_sub_nc_u32_e32 v160, 29, v160
	s_delay_alu instid0(VALU_DEP_2) | instskip(SKIP_1) | instid1(VALU_DEP_2)
	v_lshlrev_b32_e32 v161, v161, v150
	v_bfe_u32 v150, v150, 3, 4
	v_and_b32_e32 v161, 7, v161
	s_delay_alu instid0(VALU_DEP_2) | instskip(SKIP_1) | instid1(VALU_DEP_3)
	v_cmp_eq_u32_e32 vcc_lo, 0, v150
	v_cndmask_b32_e32 v150, v150, v160, vcc_lo
	v_dual_cndmask_b32 v151, v151, v161 :: v_dual_lshlrev_b32 v162, 16, v48
	s_delay_alu instid0(VALU_DEP_2) | instskip(NEXT) | instid1(VALU_DEP_2)
	v_lshl_add_u32 v150, v150, 23, 0x3b800000
	v_and_b32_e32 v160, 0x80000000, v162
	s_delay_alu instid0(VALU_DEP_3) | instskip(NEXT) | instid1(VALU_DEP_1)
	v_lshlrev_b32_e32 v151, 20, v151
	v_or3_b32 v150, v160, v150, v151
.LBB6_177:                              ;   in Loop: Header=BB6_143 Depth=2
	s_or_b32 exec_lo, exec_lo, s26
	s_mov_b32 s11, 0
	s_mov_b32 s27, exec_lo
                                        ; implicit-def: $sgpr26
	v_cmpx_lt_i16_e64 0x7f, v148
	s_xor_b32 s27, exec_lo, s27
	s_cbranch_execnz .LBB6_2017
; %bb.178:                              ;   in Loop: Header=BB6_143 Depth=2
	s_or_saveexec_b32 s27, s27
	v_mov_b32_e32 v151, s26
	s_xor_b32 exec_lo, exec_lo, s27
	s_cbranch_execnz .LBB6_2020
.LBB6_179:                              ;   in Loop: Header=BB6_143 Depth=2
	s_or_b32 exec_lo, exec_lo, s27
	s_and_saveexec_b32 s26, s11
	s_cbranch_execz .LBB6_181
.LBB6_180:                              ;   in Loop: Header=BB6_143 Depth=2
	v_and_b32_e32 v151, 0xffff, v148
	v_lshlrev_b32_e32 v163, 16, v36
	s_delay_alu instid0(VALU_DEP_2) | instskip(NEXT) | instid1(VALU_DEP_1)
	v_and_b32_e32 v160, 7, v151
	v_clz_i32_u32_e32 v161, v160
	s_delay_alu instid0(VALU_DEP_1) | instskip(NEXT) | instid1(VALU_DEP_1)
	v_min_u32_e32 v161, 32, v161
	v_subrev_nc_u32_e32 v162, 28, v161
	v_sub_nc_u32_e32 v161, 29, v161
	s_delay_alu instid0(VALU_DEP_2) | instskip(SKIP_1) | instid1(VALU_DEP_2)
	v_lshlrev_b32_e32 v162, v162, v151
	v_bfe_u32 v151, v151, 3, 4
	v_and_b32_e32 v162, 7, v162
	s_delay_alu instid0(VALU_DEP_2) | instskip(NEXT) | instid1(VALU_DEP_2)
	v_cmp_eq_u32_e32 vcc_lo, 0, v151
	v_dual_cndmask_b32 v151, v151, v161 :: v_dual_cndmask_b32 v160, v160, v162
	v_and_b32_e32 v161, 0x80000000, v163
	s_delay_alu instid0(VALU_DEP_2) | instskip(NEXT) | instid1(VALU_DEP_3)
	v_lshl_add_u32 v151, v151, 23, 0x3b800000
	v_lshlrev_b32_e32 v160, 20, v160
	s_delay_alu instid0(VALU_DEP_1)
	v_or3_b32 v151, v161, v151, v160
.LBB6_181:                              ;   in Loop: Header=BB6_143 Depth=2
	s_or_b32 exec_lo, exec_lo, s26
	s_delay_alu instid0(VALU_DEP_1) | instskip(SKIP_1) | instid1(VALU_DEP_1)
	v_dual_max_f32 v151, v151, v151 :: v_dual_max_f32 v150, v150, v150
	s_mov_b32 s11, 0
	v_max_f32_e32 v150, v150, v151
	s_branch .LBB6_183
.LBB6_182:                              ;   in Loop: Header=BB6_143 Depth=2
	s_mov_b32 s11, -1
                                        ; implicit-def: $vgpr150
.LBB6_183:                              ;   in Loop: Header=BB6_143 Depth=2
	s_delay_alu instid0(SALU_CYCLE_1)
	s_and_b32 vcc_lo, exec_lo, s11
	s_cbranch_vccz .LBB6_193
; %bb.184:                              ;   in Loop: Header=BB6_143 Depth=2
	s_mov_b32 s11, 0
	s_mov_b32 s27, exec_lo
                                        ; implicit-def: $sgpr26
	v_cmpx_lt_i16_e64 0x7f, v149
	s_xor_b32 s27, exec_lo, s27
	s_cbranch_execnz .LBB6_2021
; %bb.185:                              ;   in Loop: Header=BB6_143 Depth=2
	s_or_saveexec_b32 s27, s27
	v_mov_b32_e32 v150, s26
	s_xor_b32 exec_lo, exec_lo, s27
	s_cbranch_execnz .LBB6_2024
.LBB6_186:                              ;   in Loop: Header=BB6_143 Depth=2
	s_or_b32 exec_lo, exec_lo, s27
	s_and_saveexec_b32 s26, s11
	s_cbranch_execz .LBB6_188
.LBB6_187:                              ;   in Loop: Header=BB6_143 Depth=2
	v_and_b32_e32 v149, 0xffff, v149
	v_lshlrev_b32_e32 v161, 16, v48
	s_delay_alu instid0(VALU_DEP_2) | instskip(NEXT) | instid1(VALU_DEP_1)
	v_and_b32_e32 v150, 7, v149
	v_clz_i32_u32_e32 v151, v150
	s_delay_alu instid0(VALU_DEP_1) | instskip(NEXT) | instid1(VALU_DEP_1)
	v_min_u32_e32 v151, 32, v151
	v_subrev_nc_u32_e32 v160, 28, v151
	v_sub_nc_u32_e32 v151, 29, v151
	s_delay_alu instid0(VALU_DEP_2) | instskip(SKIP_1) | instid1(VALU_DEP_2)
	v_lshlrev_b32_e32 v160, v160, v149
	v_bfe_u32 v149, v149, 3, 4
	v_and_b32_e32 v160, 7, v160
	s_delay_alu instid0(VALU_DEP_2) | instskip(NEXT) | instid1(VALU_DEP_2)
	v_cmp_eq_u32_e32 vcc_lo, 0, v149
	v_dual_cndmask_b32 v149, v149, v151 :: v_dual_cndmask_b32 v150, v150, v160
	v_and_b32_e32 v151, 0x80000000, v161
	s_delay_alu instid0(VALU_DEP_2) | instskip(NEXT) | instid1(VALU_DEP_3)
	v_lshl_add_u32 v149, v149, 23, 0x3b800000
	v_lshlrev_b32_e32 v150, 20, v150
	s_delay_alu instid0(VALU_DEP_1)
	v_or3_b32 v150, v151, v149, v150
.LBB6_188:                              ;   in Loop: Header=BB6_143 Depth=2
	s_or_b32 exec_lo, exec_lo, s26
	s_mov_b32 s11, 0
	s_mov_b32 s27, exec_lo
                                        ; implicit-def: $sgpr26
	v_cmpx_lt_i16_e64 0x7f, v148
	s_xor_b32 s27, exec_lo, s27
	s_cbranch_execnz .LBB6_2025
; %bb.189:                              ;   in Loop: Header=BB6_143 Depth=2
	s_or_saveexec_b32 s27, s27
	v_mov_b32_e32 v149, s26
	s_xor_b32 exec_lo, exec_lo, s27
	s_cbranch_execnz .LBB6_2028
.LBB6_190:                              ;   in Loop: Header=BB6_143 Depth=2
	s_or_b32 exec_lo, exec_lo, s27
	s_and_saveexec_b32 s26, s11
	s_cbranch_execz .LBB6_192
.LBB6_191:                              ;   in Loop: Header=BB6_143 Depth=2
	v_and_b32_e32 v148, 0xffff, v148
	v_lshlrev_b32_e32 v161, 16, v36
	s_delay_alu instid0(VALU_DEP_2) | instskip(NEXT) | instid1(VALU_DEP_1)
	v_and_b32_e32 v149, 7, v148
	v_clz_i32_u32_e32 v151, v149
	s_delay_alu instid0(VALU_DEP_1) | instskip(NEXT) | instid1(VALU_DEP_1)
	v_min_u32_e32 v151, 32, v151
	v_subrev_nc_u32_e32 v160, 28, v151
	v_sub_nc_u32_e32 v151, 29, v151
	s_delay_alu instid0(VALU_DEP_2) | instskip(SKIP_1) | instid1(VALU_DEP_2)
	v_lshlrev_b32_e32 v160, v160, v148
	v_bfe_u32 v148, v148, 3, 4
	v_and_b32_e32 v160, 7, v160
	s_delay_alu instid0(VALU_DEP_2) | instskip(NEXT) | instid1(VALU_DEP_2)
	v_cmp_eq_u32_e32 vcc_lo, 0, v148
	v_dual_cndmask_b32 v148, v148, v151 :: v_dual_cndmask_b32 v149, v149, v160
	v_and_b32_e32 v151, 0x80000000, v161
	s_delay_alu instid0(VALU_DEP_2) | instskip(NEXT) | instid1(VALU_DEP_3)
	v_lshl_add_u32 v148, v148, 23, 0x3b800000
	v_lshlrev_b32_e32 v149, 20, v149
	s_delay_alu instid0(VALU_DEP_1)
	v_or3_b32 v149, v151, v148, v149
.LBB6_192:                              ;   in Loop: Header=BB6_143 Depth=2
	s_or_b32 exec_lo, exec_lo, s26
	s_delay_alu instid0(VALU_DEP_1) | instskip(NEXT) | instid1(VALU_DEP_1)
	v_dual_max_f32 v148, v149, v149 :: v_dual_max_f32 v149, v150, v150
	v_min_f32_e32 v150, v149, v148
.LBB6_193:                              ;   in Loop: Header=BB6_143 Depth=2
	s_delay_alu instid0(VALU_DEP_1) | instskip(NEXT) | instid1(VALU_DEP_1)
	v_and_b32_e32 v148, 0x7f800000, v150
	v_cmp_ne_u32_e32 vcc_lo, 0x7f800000, v148
	v_mov_b32_e32 v148, 0x80
	s_and_saveexec_b32 s26, vcc_lo
	s_cbranch_execz .LBB6_201
; %bb.194:                              ;   in Loop: Header=BB6_143 Depth=2
	v_mov_b32_e32 v148, 0
	s_mov_b32 s27, exec_lo
	v_cmpx_ne_u32_e32 0, v150
	s_cbranch_execz .LBB6_200
; %bb.195:                              ;   in Loop: Header=BB6_143 Depth=2
	v_bfe_u32 v148, v150, 23, 8
	v_and_b32_e32 v149, 0x7fffff, v150
	s_delay_alu instid0(VALU_DEP_2) | instskip(SKIP_1) | instid1(VALU_DEP_3)
	v_sub_nc_u32_e32 v151, 0x78, v148
	v_cmp_gt_u32_e32 vcc_lo, 0x79, v148
	v_or_b32_e32 v160, 0x800000, v149
	s_delay_alu instid0(VALU_DEP_3) | instskip(SKIP_2) | instid1(VALU_DEP_3)
	v_cndmask_b32_e32 v151, 0, v151, vcc_lo
	v_cmp_eq_u32_e32 vcc_lo, 0, v148
	v_add_nc_u32_e32 v148, 0xffffff89, v148
	v_cndmask_b32_e64 v151, v151, 0x77, vcc_lo
	v_cndmask_b32_e32 v149, v160, v149, vcc_lo
	s_delay_alu instid0(VALU_DEP_3) | instskip(NEXT) | instid1(VALU_DEP_3)
	v_cndmask_b32_e64 v148, v148, 0xffffff8a, vcc_lo
	v_lshl_add_u32 v160, 0x100000, v151, -1
	s_delay_alu instid0(VALU_DEP_3) | instskip(SKIP_1) | instid1(VALU_DEP_4)
	v_lshrrev_b32_e32 v161, v151, v149
	v_lshlrev_b32_e64 v163, v151, 0x80000
	v_add_nc_u32_e32 v151, v151, v148
	s_delay_alu instid0(VALU_DEP_4) | instskip(NEXT) | instid1(VALU_DEP_4)
	v_and_b32_e32 v149, v160, v149
	v_bfe_u32 v162, v161, 20, 1
	s_delay_alu instid0(VALU_DEP_2) | instskip(NEXT) | instid1(VALU_DEP_2)
	v_cmp_eq_u32_e64 s11, v149, v163
	v_add_nc_u32_e32 v160, -1, v162
	s_delay_alu instid0(VALU_DEP_1) | instskip(SKIP_2) | instid1(VALU_DEP_2)
	v_cndmask_b32_e64 v149, 0, v160, s11
	v_lshrrev_b32_e32 v160, 23, v161
	s_mov_b32 s11, exec_lo
	v_add_nc_u32_e32 v149, v149, v161
	s_delay_alu instid0(VALU_DEP_2) | instskip(NEXT) | instid1(VALU_DEP_2)
	v_xor_b32_e32 v160, 1, v160
	v_and_b32_e32 v148, 0xfffff, v149
	s_delay_alu instid0(VALU_DEP_1) | instskip(NEXT) | instid1(VALU_DEP_3)
	v_add_nc_u32_e32 v149, v148, v161
                                        ; implicit-def: $vgpr148
	v_cmpx_ne_u32_e64 v151, v160
	s_xor_b32 s11, exec_lo, s11
; %bb.196:                              ;   in Loop: Header=BB6_143 Depth=2
	s_delay_alu instid0(VALU_DEP_2) | instskip(SKIP_2) | instid1(VALU_DEP_2)
	v_cmp_lt_u32_e32 vcc_lo, 0xffffff, v149
	v_sub_nc_u32_e32 v148, v151, v160
	v_cndmask_b32_e64 v151, 0, 1, vcc_lo
	v_add_co_ci_u32_e32 v148, vcc_lo, 0, v148, vcc_lo
	s_delay_alu instid0(VALU_DEP_2)
	v_lshrrev_b32_e32 v149, v151, v149
; %bb.197:                              ;   in Loop: Header=BB6_143 Depth=2
	s_and_not1_saveexec_b32 s11, s11
; %bb.198:                              ;   in Loop: Header=BB6_143 Depth=2
	s_delay_alu instid0(VALU_DEP_1)
	v_bfe_u32 v148, v149, 23, 1
; %bb.199:                              ;   in Loop: Header=BB6_143 Depth=2
	s_or_b32 exec_lo, exec_lo, s11
	v_lshrrev_b32_e32 v149, 20, v149
	s_delay_alu instid0(VALU_DEP_2) | instskip(SKIP_2) | instid1(VALU_DEP_2)
	v_cmp_gt_i32_e32 vcc_lo, 16, v148
	v_lshrrev_b32_e32 v150, 24, v150
	v_min_i32_e32 v151, 15, v148
	v_dual_cndmask_b32 v149, 7, v149 :: v_dual_and_b32 v150, 0x80, v150
	s_delay_alu instid0(VALU_DEP_1) | instskip(SKIP_1) | instid1(VALU_DEP_2)
	v_or_b32_e32 v148, v148, v149
	v_and_b32_e32 v160, 7, v149
	v_cmp_ne_u32_e32 vcc_lo, 0, v148
	v_lshlrev_b32_e32 v151, 3, v151
	s_delay_alu instid0(VALU_DEP_1) | instskip(NEXT) | instid1(VALU_DEP_1)
	v_or3_b32 v149, v151, v150, v160
	v_cndmask_b32_e32 v148, 0, v149, vcc_lo
.LBB6_200:                              ;   in Loop: Header=BB6_143 Depth=2
	s_or_b32 exec_lo, exec_lo, s27
.LBB6_201:                              ;   in Loop: Header=BB6_143 Depth=2
	s_delay_alu instid0(SALU_CYCLE_1)
	s_or_b32 exec_lo, exec_lo, s26
	v_lshrrev_b32_e32 v150, 16, v48
	v_lshrrev_b32_e32 v149, 16, v36
	s_and_b32 vcc_lo, exec_lo, s25
	s_cbranch_vccz .LBB6_211
; %bb.202:                              ;   in Loop: Header=BB6_143 Depth=2
	s_delay_alu instid0(VALU_DEP_2) | instskip(SKIP_2) | instid1(VALU_DEP_1)
	v_and_b32_e32 v160, 0xff, v150
	s_mov_b32 s11, 0
	s_mov_b32 s27, exec_lo
                                        ; implicit-def: $sgpr26
	v_cmpx_lt_i16_e64 0x7f, v160
	s_xor_b32 s27, exec_lo, s27
	s_cbranch_execnz .LBB6_2029
; %bb.203:                              ;   in Loop: Header=BB6_143 Depth=2
	s_or_saveexec_b32 s27, s27
	v_mov_b32_e32 v151, s26
	s_xor_b32 exec_lo, exec_lo, s27
	s_cbranch_execnz .LBB6_2032
.LBB6_204:                              ;   in Loop: Header=BB6_143 Depth=2
	s_or_b32 exec_lo, exec_lo, s27
	s_and_saveexec_b32 s26, s11
	s_cbranch_execz .LBB6_206
.LBB6_205:                              ;   in Loop: Header=BB6_143 Depth=2
	v_bfe_u32 v151, v48, 16, 3
	v_bfe_u32 v162, v48, 19, 4
	v_lshlrev_b32_e32 v163, 24, v150
	s_delay_alu instid0(VALU_DEP_3) | instskip(NEXT) | instid1(VALU_DEP_3)
	v_clz_i32_u32_e32 v160, v151
	v_cmp_eq_u32_e32 vcc_lo, 0, v162
	s_delay_alu instid0(VALU_DEP_2) | instskip(NEXT) | instid1(VALU_DEP_1)
	v_min_u32_e32 v160, 32, v160
	v_subrev_nc_u32_e32 v161, 28, v160
	v_sub_nc_u32_e32 v160, 29, v160
	s_delay_alu instid0(VALU_DEP_1) | instskip(NEXT) | instid1(VALU_DEP_1)
	v_dual_cndmask_b32 v160, v162, v160 :: v_dual_lshlrev_b32 v161, v161, v150
	v_and_b32_e32 v161, 7, v161
	s_delay_alu instid0(VALU_DEP_2) | instskip(NEXT) | instid1(VALU_DEP_2)
	v_lshl_add_u32 v160, v160, 23, 0x3b800000
	v_cndmask_b32_e32 v151, v151, v161, vcc_lo
	v_and_b32_e32 v161, 0x80000000, v163
	s_delay_alu instid0(VALU_DEP_2) | instskip(NEXT) | instid1(VALU_DEP_1)
	v_lshlrev_b32_e32 v151, 20, v151
	v_or3_b32 v151, v161, v160, v151
.LBB6_206:                              ;   in Loop: Header=BB6_143 Depth=2
	s_or_b32 exec_lo, exec_lo, s26
	v_and_b32_e32 v161, 0xff, v149
	s_mov_b32 s11, 0
	s_mov_b32 s27, exec_lo
                                        ; implicit-def: $sgpr26
	s_delay_alu instid0(VALU_DEP_1)
	v_cmpx_lt_i16_e64 0x7f, v161
	s_xor_b32 s27, exec_lo, s27
	s_cbranch_execnz .LBB6_2033
; %bb.207:                              ;   in Loop: Header=BB6_143 Depth=2
	s_or_saveexec_b32 s27, s27
	v_mov_b32_e32 v160, s26
	s_xor_b32 exec_lo, exec_lo, s27
	s_cbranch_execnz .LBB6_2036
.LBB6_208:                              ;   in Loop: Header=BB6_143 Depth=2
	s_or_b32 exec_lo, exec_lo, s27
	s_and_saveexec_b32 s26, s11
	s_cbranch_execz .LBB6_210
.LBB6_209:                              ;   in Loop: Header=BB6_143 Depth=2
	v_bfe_u32 v160, v36, 16, 3
	v_bfe_u32 v163, v36, 19, 4
	v_lshlrev_b32_e32 v164, 24, v149
	s_delay_alu instid0(VALU_DEP_3) | instskip(NEXT) | instid1(VALU_DEP_3)
	v_clz_i32_u32_e32 v161, v160
	v_cmp_eq_u32_e32 vcc_lo, 0, v163
	s_delay_alu instid0(VALU_DEP_2) | instskip(NEXT) | instid1(VALU_DEP_1)
	v_min_u32_e32 v161, 32, v161
	v_subrev_nc_u32_e32 v162, 28, v161
	v_sub_nc_u32_e32 v161, 29, v161
	s_delay_alu instid0(VALU_DEP_2) | instskip(NEXT) | instid1(VALU_DEP_1)
	v_lshlrev_b32_e32 v162, v162, v149
	v_dual_cndmask_b32 v161, v163, v161 :: v_dual_and_b32 v162, 7, v162
	s_delay_alu instid0(VALU_DEP_1) | instskip(NEXT) | instid1(VALU_DEP_2)
	v_lshl_add_u32 v161, v161, 23, 0x3b800000
	v_cndmask_b32_e32 v160, v160, v162, vcc_lo
	v_and_b32_e32 v162, 0x80000000, v164
	s_delay_alu instid0(VALU_DEP_2) | instskip(NEXT) | instid1(VALU_DEP_1)
	v_lshlrev_b32_e32 v160, 20, v160
	v_or3_b32 v160, v162, v161, v160
.LBB6_210:                              ;   in Loop: Header=BB6_143 Depth=2
	s_or_b32 exec_lo, exec_lo, s26
	s_delay_alu instid0(VALU_DEP_1) | instskip(SKIP_1) | instid1(VALU_DEP_1)
	v_dual_max_f32 v160, v160, v160 :: v_dual_max_f32 v151, v151, v151
	s_mov_b32 s11, 0
	v_max_f32_e32 v151, v151, v160
	s_branch .LBB6_212
.LBB6_211:                              ;   in Loop: Header=BB6_143 Depth=2
	s_mov_b32 s11, -1
                                        ; implicit-def: $vgpr151
.LBB6_212:                              ;   in Loop: Header=BB6_143 Depth=2
	s_delay_alu instid0(SALU_CYCLE_1)
	s_and_b32 vcc_lo, exec_lo, s11
	s_cbranch_vccz .LBB6_222
; %bb.213:                              ;   in Loop: Header=BB6_143 Depth=2
	v_and_b32_e32 v160, 0xff, v150
	s_mov_b32 s11, 0
	s_mov_b32 s27, exec_lo
                                        ; implicit-def: $sgpr26
	s_delay_alu instid0(VALU_DEP_1)
	v_cmpx_lt_i16_e64 0x7f, v160
	s_xor_b32 s27, exec_lo, s27
	s_cbranch_execnz .LBB6_2037
; %bb.214:                              ;   in Loop: Header=BB6_143 Depth=2
	s_or_saveexec_b32 s27, s27
	v_mov_b32_e32 v151, s26
	s_xor_b32 exec_lo, exec_lo, s27
	s_cbranch_execnz .LBB6_2040
.LBB6_215:                              ;   in Loop: Header=BB6_143 Depth=2
	s_or_b32 exec_lo, exec_lo, s27
	s_and_saveexec_b32 s26, s11
	s_cbranch_execz .LBB6_217
.LBB6_216:                              ;   in Loop: Header=BB6_143 Depth=2
	v_bfe_u32 v151, v48, 16, 3
	v_bfe_u32 v162, v48, 19, 4
	s_delay_alu instid0(VALU_DEP_2) | instskip(NEXT) | instid1(VALU_DEP_2)
	v_clz_i32_u32_e32 v160, v151
	v_cmp_eq_u32_e32 vcc_lo, 0, v162
	s_delay_alu instid0(VALU_DEP_2) | instskip(NEXT) | instid1(VALU_DEP_1)
	v_min_u32_e32 v160, 32, v160
	v_subrev_nc_u32_e32 v161, 28, v160
	v_sub_nc_u32_e32 v160, 29, v160
	s_delay_alu instid0(VALU_DEP_1) | instskip(NEXT) | instid1(VALU_DEP_1)
	v_dual_cndmask_b32 v160, v162, v160 :: v_dual_lshlrev_b32 v161, v161, v150
	v_and_b32_e32 v161, 7, v161
	v_lshlrev_b32_e32 v150, 24, v150
	s_delay_alu instid0(VALU_DEP_3) | instskip(NEXT) | instid1(VALU_DEP_2)
	v_lshl_add_u32 v160, v160, 23, 0x3b800000
	v_dual_cndmask_b32 v151, v151, v161 :: v_dual_and_b32 v150, 0x80000000, v150
	s_delay_alu instid0(VALU_DEP_1) | instskip(NEXT) | instid1(VALU_DEP_1)
	v_lshlrev_b32_e32 v151, 20, v151
	v_or3_b32 v151, v150, v160, v151
.LBB6_217:                              ;   in Loop: Header=BB6_143 Depth=2
	s_or_b32 exec_lo, exec_lo, s26
	v_and_b32_e32 v160, 0xff, v149
	s_mov_b32 s11, 0
	s_mov_b32 s27, exec_lo
                                        ; implicit-def: $sgpr26
	s_delay_alu instid0(VALU_DEP_1)
	v_cmpx_lt_i16_e64 0x7f, v160
	s_xor_b32 s27, exec_lo, s27
	s_cbranch_execnz .LBB6_2041
; %bb.218:                              ;   in Loop: Header=BB6_143 Depth=2
	s_or_saveexec_b32 s27, s27
	v_mov_b32_e32 v150, s26
	s_xor_b32 exec_lo, exec_lo, s27
	s_cbranch_execnz .LBB6_2044
.LBB6_219:                              ;   in Loop: Header=BB6_143 Depth=2
	s_or_b32 exec_lo, exec_lo, s27
	s_and_saveexec_b32 s26, s11
	s_cbranch_execz .LBB6_221
.LBB6_220:                              ;   in Loop: Header=BB6_143 Depth=2
	v_bfe_u32 v150, v36, 16, 3
	v_bfe_u32 v162, v36, 19, 4
	s_delay_alu instid0(VALU_DEP_2) | instskip(NEXT) | instid1(VALU_DEP_2)
	v_clz_i32_u32_e32 v160, v150
	v_cmp_eq_u32_e32 vcc_lo, 0, v162
	s_delay_alu instid0(VALU_DEP_2) | instskip(NEXT) | instid1(VALU_DEP_1)
	v_min_u32_e32 v160, 32, v160
	v_subrev_nc_u32_e32 v161, 28, v160
	v_sub_nc_u32_e32 v160, 29, v160
	s_delay_alu instid0(VALU_DEP_1) | instskip(SKIP_1) | instid1(VALU_DEP_2)
	v_dual_cndmask_b32 v160, v162, v160 :: v_dual_lshlrev_b32 v161, v161, v149
	v_lshlrev_b32_e32 v149, 24, v149
	v_and_b32_e32 v161, 7, v161
	s_delay_alu instid0(VALU_DEP_3) | instskip(NEXT) | instid1(VALU_DEP_3)
	v_lshl_add_u32 v160, v160, 23, 0x3b800000
	v_and_b32_e32 v149, 0x80000000, v149
	s_delay_alu instid0(VALU_DEP_3) | instskip(NEXT) | instid1(VALU_DEP_1)
	v_cndmask_b32_e32 v150, v150, v161, vcc_lo
	v_lshlrev_b32_e32 v150, 20, v150
	s_delay_alu instid0(VALU_DEP_1)
	v_or3_b32 v150, v149, v160, v150
.LBB6_221:                              ;   in Loop: Header=BB6_143 Depth=2
	s_or_b32 exec_lo, exec_lo, s26
	s_delay_alu instid0(VALU_DEP_1) | instskip(NEXT) | instid1(VALU_DEP_1)
	v_dual_max_f32 v149, v150, v150 :: v_dual_max_f32 v150, v151, v151
	v_min_f32_e32 v151, v150, v149
.LBB6_222:                              ;   in Loop: Header=BB6_143 Depth=2
	s_delay_alu instid0(VALU_DEP_1) | instskip(NEXT) | instid1(VALU_DEP_1)
	v_and_b32_e32 v149, 0x7f800000, v151
	v_cmp_ne_u32_e32 vcc_lo, 0x7f800000, v149
	v_mov_b32_e32 v149, 0x80
	s_and_saveexec_b32 s26, vcc_lo
	s_cbranch_execz .LBB6_230
; %bb.223:                              ;   in Loop: Header=BB6_143 Depth=2
	v_mov_b32_e32 v149, 0
	s_mov_b32 s27, exec_lo
	v_cmpx_ne_u32_e32 0, v151
	s_cbranch_execz .LBB6_229
; %bb.224:                              ;   in Loop: Header=BB6_143 Depth=2
	v_bfe_u32 v149, v151, 23, 8
	v_and_b32_e32 v150, 0x7fffff, v151
	s_delay_alu instid0(VALU_DEP_2) | instskip(SKIP_1) | instid1(VALU_DEP_3)
	v_sub_nc_u32_e32 v160, 0x78, v149
	v_cmp_gt_u32_e32 vcc_lo, 0x79, v149
	v_or_b32_e32 v161, 0x800000, v150
	s_delay_alu instid0(VALU_DEP_3) | instskip(SKIP_2) | instid1(VALU_DEP_3)
	v_cndmask_b32_e32 v160, 0, v160, vcc_lo
	v_cmp_eq_u32_e32 vcc_lo, 0, v149
	v_add_nc_u32_e32 v149, 0xffffff89, v149
	v_cndmask_b32_e64 v160, v160, 0x77, vcc_lo
	v_cndmask_b32_e32 v150, v161, v150, vcc_lo
	s_delay_alu instid0(VALU_DEP_3) | instskip(NEXT) | instid1(VALU_DEP_3)
	v_cndmask_b32_e64 v149, v149, 0xffffff8a, vcc_lo
	v_lshl_add_u32 v161, 0x100000, v160, -1
	s_delay_alu instid0(VALU_DEP_3) | instskip(SKIP_1) | instid1(VALU_DEP_4)
	v_lshrrev_b32_e32 v162, v160, v150
	v_lshlrev_b32_e64 v164, v160, 0x80000
	v_add_nc_u32_e32 v160, v160, v149
	s_delay_alu instid0(VALU_DEP_4) | instskip(NEXT) | instid1(VALU_DEP_4)
	v_and_b32_e32 v150, v161, v150
	v_bfe_u32 v163, v162, 20, 1
	s_delay_alu instid0(VALU_DEP_2) | instskip(NEXT) | instid1(VALU_DEP_2)
	v_cmp_eq_u32_e64 s11, v150, v164
	v_add_nc_u32_e32 v161, -1, v163
	s_delay_alu instid0(VALU_DEP_1) | instskip(SKIP_2) | instid1(VALU_DEP_2)
	v_cndmask_b32_e64 v150, 0, v161, s11
	v_lshrrev_b32_e32 v161, 23, v162
	s_mov_b32 s11, exec_lo
	v_add_nc_u32_e32 v150, v150, v162
	s_delay_alu instid0(VALU_DEP_2) | instskip(NEXT) | instid1(VALU_DEP_2)
	v_xor_b32_e32 v161, 1, v161
	v_and_b32_e32 v149, 0xfffff, v150
	s_delay_alu instid0(VALU_DEP_1) | instskip(NEXT) | instid1(VALU_DEP_3)
	v_add_nc_u32_e32 v150, v149, v162
                                        ; implicit-def: $vgpr149
	v_cmpx_ne_u32_e64 v160, v161
	s_xor_b32 s11, exec_lo, s11
; %bb.225:                              ;   in Loop: Header=BB6_143 Depth=2
	s_delay_alu instid0(VALU_DEP_2) | instskip(SKIP_2) | instid1(VALU_DEP_2)
	v_cmp_lt_u32_e32 vcc_lo, 0xffffff, v150
	v_sub_nc_u32_e32 v149, v160, v161
	v_cndmask_b32_e64 v160, 0, 1, vcc_lo
	v_add_co_ci_u32_e32 v149, vcc_lo, 0, v149, vcc_lo
	s_delay_alu instid0(VALU_DEP_2)
	v_lshrrev_b32_e32 v150, v160, v150
; %bb.226:                              ;   in Loop: Header=BB6_143 Depth=2
	s_and_not1_saveexec_b32 s11, s11
; %bb.227:                              ;   in Loop: Header=BB6_143 Depth=2
	s_delay_alu instid0(VALU_DEP_1)
	v_bfe_u32 v149, v150, 23, 1
; %bb.228:                              ;   in Loop: Header=BB6_143 Depth=2
	s_or_b32 exec_lo, exec_lo, s11
	v_lshrrev_b32_e32 v150, 20, v150
	s_delay_alu instid0(VALU_DEP_2) | instskip(SKIP_2) | instid1(VALU_DEP_2)
	v_cmp_gt_i32_e32 vcc_lo, 16, v149
	v_lshrrev_b32_e32 v151, 24, v151
	v_min_i32_e32 v160, 15, v149
	v_dual_cndmask_b32 v150, 7, v150 :: v_dual_and_b32 v151, 0x80, v151
	s_delay_alu instid0(VALU_DEP_1) | instskip(SKIP_1) | instid1(VALU_DEP_2)
	v_or_b32_e32 v149, v149, v150
	v_and_b32_e32 v161, 7, v150
	v_cmp_ne_u32_e32 vcc_lo, 0, v149
	v_lshlrev_b32_e32 v160, 3, v160
	s_delay_alu instid0(VALU_DEP_1) | instskip(NEXT) | instid1(VALU_DEP_1)
	v_or3_b32 v150, v160, v151, v161
	v_cndmask_b32_e32 v149, 0, v150, vcc_lo
.LBB6_229:                              ;   in Loop: Header=BB6_143 Depth=2
	s_or_b32 exec_lo, exec_lo, s27
.LBB6_230:                              ;   in Loop: Header=BB6_143 Depth=2
	s_delay_alu instid0(SALU_CYCLE_1)
	s_or_b32 exec_lo, exec_lo, s26
	v_lshrrev_b32_e32 v151, 24, v48
	v_lshrrev_b32_e32 v150, 24, v36
	s_and_b32 vcc_lo, exec_lo, s25
	s_cbranch_vccz .LBB6_240
; %bb.231:                              ;   in Loop: Header=BB6_143 Depth=2
	s_mov_b32 s11, 0
	s_mov_b32 s27, exec_lo
                                        ; implicit-def: $sgpr26
	v_cmpx_lt_i16_e64 0x7f, v151
	s_xor_b32 s27, exec_lo, s27
	s_cbranch_execnz .LBB6_2045
; %bb.232:                              ;   in Loop: Header=BB6_143 Depth=2
	s_or_saveexec_b32 s27, s27
	v_mov_b32_e32 v160, s26
	s_xor_b32 exec_lo, exec_lo, s27
	s_cbranch_execnz .LBB6_2048
.LBB6_233:                              ;   in Loop: Header=BB6_143 Depth=2
	s_or_b32 exec_lo, exec_lo, s27
	s_and_saveexec_b32 s26, s11
	s_cbranch_execz .LBB6_235
.LBB6_234:                              ;   in Loop: Header=BB6_143 Depth=2
	v_bfe_u32 v160, v48, 24, 3
	v_bfe_u32 v163, v48, 27, 4
	s_delay_alu instid0(VALU_DEP_2) | instskip(NEXT) | instid1(VALU_DEP_2)
	v_clz_i32_u32_e32 v161, v160
	v_cmp_eq_u32_e32 vcc_lo, 0, v163
	s_delay_alu instid0(VALU_DEP_2) | instskip(NEXT) | instid1(VALU_DEP_1)
	v_min_u32_e32 v161, 32, v161
	v_subrev_nc_u32_e32 v162, 28, v161
	v_sub_nc_u32_e32 v161, 29, v161
	s_delay_alu instid0(VALU_DEP_1) | instskip(NEXT) | instid1(VALU_DEP_1)
	v_dual_cndmask_b32 v161, v163, v161 :: v_dual_lshlrev_b32 v162, v162, v151
	v_and_b32_e32 v162, 7, v162
	s_delay_alu instid0(VALU_DEP_2) | instskip(NEXT) | instid1(VALU_DEP_2)
	v_lshl_add_u32 v161, v161, 23, 0x3b800000
	v_cndmask_b32_e32 v160, v160, v162, vcc_lo
	v_and_b32_e32 v162, 0x80000000, v48
	s_delay_alu instid0(VALU_DEP_2) | instskip(NEXT) | instid1(VALU_DEP_1)
	v_lshlrev_b32_e32 v160, 20, v160
	v_or3_b32 v160, v162, v161, v160
.LBB6_235:                              ;   in Loop: Header=BB6_143 Depth=2
	s_or_b32 exec_lo, exec_lo, s26
	s_mov_b32 s11, 0
	s_mov_b32 s27, exec_lo
                                        ; implicit-def: $sgpr26
	v_cmpx_lt_i16_e64 0x7f, v150
	s_xor_b32 s27, exec_lo, s27
	s_cbranch_execnz .LBB6_2049
; %bb.236:                              ;   in Loop: Header=BB6_143 Depth=2
	s_or_saveexec_b32 s27, s27
	v_mov_b32_e32 v161, s26
	s_xor_b32 exec_lo, exec_lo, s27
	s_cbranch_execnz .LBB6_2052
.LBB6_237:                              ;   in Loop: Header=BB6_143 Depth=2
	s_or_b32 exec_lo, exec_lo, s27
	s_and_saveexec_b32 s26, s11
	s_cbranch_execz .LBB6_239
.LBB6_238:                              ;   in Loop: Header=BB6_143 Depth=2
	v_bfe_u32 v161, v36, 24, 3
	v_bfe_u32 v164, v36, 27, 4
	s_delay_alu instid0(VALU_DEP_2) | instskip(NEXT) | instid1(VALU_DEP_2)
	v_clz_i32_u32_e32 v162, v161
	v_cmp_eq_u32_e32 vcc_lo, 0, v164
	s_delay_alu instid0(VALU_DEP_2) | instskip(NEXT) | instid1(VALU_DEP_1)
	v_min_u32_e32 v162, 32, v162
	v_subrev_nc_u32_e32 v163, 28, v162
	v_sub_nc_u32_e32 v162, 29, v162
	s_delay_alu instid0(VALU_DEP_2) | instskip(NEXT) | instid1(VALU_DEP_1)
	v_lshlrev_b32_e32 v163, v163, v150
	v_dual_cndmask_b32 v162, v164, v162 :: v_dual_and_b32 v163, 7, v163
	s_delay_alu instid0(VALU_DEP_1) | instskip(NEXT) | instid1(VALU_DEP_2)
	v_lshl_add_u32 v162, v162, 23, 0x3b800000
	v_cndmask_b32_e32 v161, v161, v163, vcc_lo
	v_and_b32_e32 v163, 0x80000000, v36
	s_delay_alu instid0(VALU_DEP_2) | instskip(NEXT) | instid1(VALU_DEP_1)
	v_lshlrev_b32_e32 v161, 20, v161
	v_or3_b32 v161, v163, v162, v161
.LBB6_239:                              ;   in Loop: Header=BB6_143 Depth=2
	s_or_b32 exec_lo, exec_lo, s26
	s_delay_alu instid0(VALU_DEP_1) | instskip(SKIP_1) | instid1(VALU_DEP_1)
	v_dual_max_f32 v161, v161, v161 :: v_dual_max_f32 v160, v160, v160
	s_mov_b32 s11, 0
	v_max_f32_e32 v160, v160, v161
	s_branch .LBB6_241
.LBB6_240:                              ;   in Loop: Header=BB6_143 Depth=2
	s_mov_b32 s11, -1
                                        ; implicit-def: $vgpr160
.LBB6_241:                              ;   in Loop: Header=BB6_143 Depth=2
	s_delay_alu instid0(SALU_CYCLE_1)
	s_and_b32 vcc_lo, exec_lo, s11
	s_cbranch_vccz .LBB6_251
; %bb.242:                              ;   in Loop: Header=BB6_143 Depth=2
	s_mov_b32 s11, 0
	s_mov_b32 s27, exec_lo
                                        ; implicit-def: $sgpr26
	v_cmpx_lt_i16_e64 0x7f, v151
	s_xor_b32 s27, exec_lo, s27
	s_cbranch_execnz .LBB6_2053
; %bb.243:                              ;   in Loop: Header=BB6_143 Depth=2
	s_or_saveexec_b32 s27, s27
	v_mov_b32_e32 v160, s26
	s_xor_b32 exec_lo, exec_lo, s27
	s_cbranch_execnz .LBB6_2056
.LBB6_244:                              ;   in Loop: Header=BB6_143 Depth=2
	s_or_b32 exec_lo, exec_lo, s27
	s_and_saveexec_b32 s26, s11
	s_cbranch_execz .LBB6_246
.LBB6_245:                              ;   in Loop: Header=BB6_143 Depth=2
	v_bfe_u32 v160, v48, 24, 3
	s_delay_alu instid0(VALU_DEP_1) | instskip(NEXT) | instid1(VALU_DEP_1)
	v_clz_i32_u32_e32 v161, v160
	v_min_u32_e32 v161, 32, v161
	s_delay_alu instid0(VALU_DEP_1) | instskip(SKIP_1) | instid1(VALU_DEP_2)
	v_subrev_nc_u32_e32 v162, 28, v161
	v_sub_nc_u32_e32 v161, 29, v161
	v_lshlrev_b32_e32 v151, v162, v151
	v_bfe_u32 v162, v48, 27, 4
	v_and_b32_e32 v48, 0x80000000, v48
	s_delay_alu instid0(VALU_DEP_3) | instskip(NEXT) | instid1(VALU_DEP_3)
	v_and_b32_e32 v151, 7, v151
	v_cmp_eq_u32_e32 vcc_lo, 0, v162
	v_cndmask_b32_e32 v161, v162, v161, vcc_lo
	s_delay_alu instid0(VALU_DEP_3) | instskip(NEXT) | instid1(VALU_DEP_2)
	v_cndmask_b32_e32 v151, v160, v151, vcc_lo
	v_lshl_add_u32 v160, v161, 23, 0x3b800000
	s_delay_alu instid0(VALU_DEP_2) | instskip(NEXT) | instid1(VALU_DEP_1)
	v_lshlrev_b32_e32 v151, 20, v151
	v_or3_b32 v160, v48, v160, v151
.LBB6_246:                              ;   in Loop: Header=BB6_143 Depth=2
	s_or_b32 exec_lo, exec_lo, s26
	s_mov_b32 s11, 0
	s_mov_b32 s27, exec_lo
                                        ; implicit-def: $sgpr26
	v_cmpx_lt_i16_e64 0x7f, v150
	s_xor_b32 s27, exec_lo, s27
	s_cbranch_execnz .LBB6_2057
; %bb.247:                              ;   in Loop: Header=BB6_143 Depth=2
	s_or_saveexec_b32 s27, s27
	v_mov_b32_e32 v48, s26
	s_xor_b32 exec_lo, exec_lo, s27
	s_cbranch_execnz .LBB6_2060
.LBB6_248:                              ;   in Loop: Header=BB6_143 Depth=2
	s_or_b32 exec_lo, exec_lo, s27
	s_and_saveexec_b32 s26, s11
	s_cbranch_execz .LBB6_250
.LBB6_249:                              ;   in Loop: Header=BB6_143 Depth=2
	v_bfe_u32 v48, v36, 24, 3
	s_delay_alu instid0(VALU_DEP_1) | instskip(NEXT) | instid1(VALU_DEP_1)
	v_clz_i32_u32_e32 v151, v48
	v_min_u32_e32 v151, 32, v151
	s_delay_alu instid0(VALU_DEP_1) | instskip(SKIP_1) | instid1(VALU_DEP_2)
	v_subrev_nc_u32_e32 v161, 28, v151
	v_sub_nc_u32_e32 v151, 29, v151
	v_lshlrev_b32_e32 v150, v161, v150
	v_bfe_u32 v161, v36, 27, 4
	v_and_b32_e32 v36, 0x80000000, v36
	s_delay_alu instid0(VALU_DEP_2) | instskip(NEXT) | instid1(VALU_DEP_4)
	v_cmp_eq_u32_e32 vcc_lo, 0, v161
	v_dual_cndmask_b32 v151, v161, v151 :: v_dual_and_b32 v150, 7, v150
	s_delay_alu instid0(VALU_DEP_1) | instskip(NEXT) | instid1(VALU_DEP_2)
	v_cndmask_b32_e32 v48, v48, v150, vcc_lo
	v_lshl_add_u32 v150, v151, 23, 0x3b800000
	s_delay_alu instid0(VALU_DEP_2) | instskip(NEXT) | instid1(VALU_DEP_1)
	v_lshlrev_b32_e32 v48, 20, v48
	v_or3_b32 v48, v36, v150, v48
.LBB6_250:                              ;   in Loop: Header=BB6_143 Depth=2
	s_or_b32 exec_lo, exec_lo, s26
	s_delay_alu instid0(VALU_DEP_1) | instskip(SKIP_1) | instid1(VALU_DEP_1)
	v_max_f32_e32 v36, v48, v48
	v_max_f32_e32 v48, v160, v160
	v_min_f32_e32 v160, v48, v36
.LBB6_251:                              ;   in Loop: Header=BB6_143 Depth=2
	s_delay_alu instid0(VALU_DEP_1) | instskip(NEXT) | instid1(VALU_DEP_1)
	v_and_b32_e32 v36, 0x7f800000, v160
	v_cmp_ne_u32_e32 vcc_lo, 0x7f800000, v36
	v_mov_b32_e32 v36, 0x80
	s_and_saveexec_b32 s26, vcc_lo
	s_cbranch_execz .LBB6_259
; %bb.252:                              ;   in Loop: Header=BB6_143 Depth=2
	v_mov_b32_e32 v36, 0
	s_mov_b32 s27, exec_lo
	v_cmpx_ne_u32_e32 0, v160
	s_cbranch_execz .LBB6_258
; %bb.253:                              ;   in Loop: Header=BB6_143 Depth=2
	v_bfe_u32 v36, v160, 23, 8
	v_and_b32_e32 v48, 0x7fffff, v160
	s_delay_alu instid0(VALU_DEP_2) | instskip(SKIP_1) | instid1(VALU_DEP_3)
	v_sub_nc_u32_e32 v150, 0x78, v36
	v_cmp_gt_u32_e32 vcc_lo, 0x79, v36
	v_or_b32_e32 v151, 0x800000, v48
	s_delay_alu instid0(VALU_DEP_3) | instskip(SKIP_2) | instid1(VALU_DEP_3)
	v_cndmask_b32_e32 v150, 0, v150, vcc_lo
	v_cmp_eq_u32_e32 vcc_lo, 0, v36
	v_add_nc_u32_e32 v36, 0xffffff89, v36
	v_cndmask_b32_e64 v150, v150, 0x77, vcc_lo
	v_cndmask_b32_e32 v48, v151, v48, vcc_lo
	s_delay_alu instid0(VALU_DEP_3) | instskip(NEXT) | instid1(VALU_DEP_3)
	v_cndmask_b32_e64 v36, v36, 0xffffff8a, vcc_lo
	v_lshl_add_u32 v151, 0x100000, v150, -1
	s_delay_alu instid0(VALU_DEP_3) | instskip(SKIP_1) | instid1(VALU_DEP_4)
	v_lshrrev_b32_e32 v161, v150, v48
	v_lshlrev_b32_e64 v163, v150, 0x80000
	v_add_nc_u32_e32 v150, v150, v36
	s_delay_alu instid0(VALU_DEP_4) | instskip(NEXT) | instid1(VALU_DEP_4)
	v_and_b32_e32 v48, v151, v48
	v_bfe_u32 v162, v161, 20, 1
	s_delay_alu instid0(VALU_DEP_2) | instskip(NEXT) | instid1(VALU_DEP_2)
	v_cmp_eq_u32_e64 s11, v48, v163
	v_add_nc_u32_e32 v151, -1, v162
	s_delay_alu instid0(VALU_DEP_1) | instskip(SKIP_2) | instid1(VALU_DEP_2)
	v_cndmask_b32_e64 v48, 0, v151, s11
	v_lshrrev_b32_e32 v151, 23, v161
	s_mov_b32 s11, exec_lo
	v_add_nc_u32_e32 v48, v48, v161
	s_delay_alu instid0(VALU_DEP_2) | instskip(NEXT) | instid1(VALU_DEP_2)
	v_xor_b32_e32 v151, 1, v151
	v_and_b32_e32 v36, 0xfffff, v48
	s_delay_alu instid0(VALU_DEP_1) | instskip(NEXT) | instid1(VALU_DEP_3)
	v_add_nc_u32_e32 v48, v36, v161
                                        ; implicit-def: $vgpr36
	v_cmpx_ne_u32_e64 v150, v151
	s_xor_b32 s11, exec_lo, s11
; %bb.254:                              ;   in Loop: Header=BB6_143 Depth=2
	s_delay_alu instid0(VALU_DEP_2) | instskip(SKIP_2) | instid1(VALU_DEP_2)
	v_cmp_lt_u32_e32 vcc_lo, 0xffffff, v48
	v_sub_nc_u32_e32 v36, v150, v151
	v_cndmask_b32_e64 v150, 0, 1, vcc_lo
	v_add_co_ci_u32_e32 v36, vcc_lo, 0, v36, vcc_lo
	s_delay_alu instid0(VALU_DEP_2)
	v_lshrrev_b32_e32 v48, v150, v48
; %bb.255:                              ;   in Loop: Header=BB6_143 Depth=2
	s_and_not1_saveexec_b32 s11, s11
; %bb.256:                              ;   in Loop: Header=BB6_143 Depth=2
	s_delay_alu instid0(VALU_DEP_1)
	v_bfe_u32 v36, v48, 23, 1
; %bb.257:                              ;   in Loop: Header=BB6_143 Depth=2
	s_or_b32 exec_lo, exec_lo, s11
	v_lshrrev_b32_e32 v48, 20, v48
	s_delay_alu instid0(VALU_DEP_2) | instskip(SKIP_2) | instid1(VALU_DEP_4)
	v_cmp_gt_i32_e32 vcc_lo, 16, v36
	v_lshrrev_b32_e32 v150, 24, v160
	v_min_i32_e32 v151, 15, v36
	v_cndmask_b32_e32 v48, 7, v48, vcc_lo
	s_delay_alu instid0(VALU_DEP_3) | instskip(NEXT) | instid1(VALU_DEP_3)
	v_and_b32_e32 v150, 0x80, v150
	v_lshlrev_b32_e32 v151, 3, v151
	s_delay_alu instid0(VALU_DEP_3) | instskip(SKIP_1) | instid1(VALU_DEP_2)
	v_and_b32_e32 v160, 7, v48
	v_or_b32_e32 v36, v36, v48
	v_or3_b32 v48, v151, v150, v160
	s_delay_alu instid0(VALU_DEP_2) | instskip(NEXT) | instid1(VALU_DEP_2)
	v_cmp_ne_u32_e32 vcc_lo, 0, v36
	v_cndmask_b32_e32 v36, 0, v48, vcc_lo
.LBB6_258:                              ;   in Loop: Header=BB6_143 Depth=2
	s_or_b32 exec_lo, exec_lo, s27
.LBB6_259:                              ;   in Loop: Header=BB6_143 Depth=2
	s_delay_alu instid0(SALU_CYCLE_1) | instskip(NEXT) | instid1(SALU_CYCLE_1)
	s_or_b32 exec_lo, exec_lo, s26
	s_and_b32 vcc_lo, exec_lo, s25
	s_cbranch_vccz .LBB6_269
; %bb.260:                              ;   in Loop: Header=BB6_143 Depth=2
	v_and_b32_e32 v150, 0xff, v49
	s_mov_b32 s11, 0
	s_mov_b32 s27, exec_lo
                                        ; implicit-def: $sgpr26
	s_delay_alu instid0(VALU_DEP_1)
	v_cmpx_lt_i16_e64 0x7f, v150
	s_xor_b32 s27, exec_lo, s27
	s_cbranch_execnz .LBB6_2061
; %bb.261:                              ;   in Loop: Header=BB6_143 Depth=2
	s_or_saveexec_b32 s27, s27
	v_mov_b32_e32 v48, s26
	s_xor_b32 exec_lo, exec_lo, s27
	s_cbranch_execnz .LBB6_2064
.LBB6_262:                              ;   in Loop: Header=BB6_143 Depth=2
	s_or_b32 exec_lo, exec_lo, s27
	s_and_saveexec_b32 s26, s11
	s_cbranch_execz .LBB6_264
.LBB6_263:                              ;   in Loop: Header=BB6_143 Depth=2
	v_and_b32_e32 v48, 7, v49
	v_bfe_u32 v160, v49, 3, 4
	s_delay_alu instid0(VALU_DEP_2) | instskip(NEXT) | instid1(VALU_DEP_2)
	v_clz_i32_u32_e32 v150, v48
	v_cmp_eq_u32_e32 vcc_lo, 0, v160
	s_delay_alu instid0(VALU_DEP_2) | instskip(NEXT) | instid1(VALU_DEP_1)
	v_min_u32_e32 v150, 32, v150
	v_subrev_nc_u32_e32 v151, 28, v150
	v_sub_nc_u32_e32 v150, 29, v150
	s_delay_alu instid0(VALU_DEP_1) | instskip(NEXT) | instid1(VALU_DEP_1)
	v_dual_cndmask_b32 v150, v160, v150 :: v_dual_lshlrev_b32 v151, v151, v49
	v_and_b32_e32 v151, 7, v151
	v_lshlrev_b32_e32 v161, 24, v49
	s_delay_alu instid0(VALU_DEP_3) | instskip(NEXT) | instid1(VALU_DEP_2)
	v_lshl_add_u32 v150, v150, 23, 0x3b800000
	v_dual_cndmask_b32 v48, v48, v151 :: v_dual_and_b32 v151, 0x80000000, v161
	s_delay_alu instid0(VALU_DEP_1) | instskip(NEXT) | instid1(VALU_DEP_1)
	v_lshlrev_b32_e32 v48, 20, v48
	v_or3_b32 v48, v151, v150, v48
.LBB6_264:                              ;   in Loop: Header=BB6_143 Depth=2
	s_or_b32 exec_lo, exec_lo, s26
	v_and_b32_e32 v151, 0xff, v37
	s_mov_b32 s11, 0
	s_mov_b32 s27, exec_lo
                                        ; implicit-def: $sgpr26
	s_delay_alu instid0(VALU_DEP_1)
	v_cmpx_lt_i16_e64 0x7f, v151
	s_xor_b32 s27, exec_lo, s27
	s_cbranch_execnz .LBB6_2065
; %bb.265:                              ;   in Loop: Header=BB6_143 Depth=2
	s_or_saveexec_b32 s27, s27
	v_mov_b32_e32 v150, s26
	s_xor_b32 exec_lo, exec_lo, s27
	s_cbranch_execnz .LBB6_2068
.LBB6_266:                              ;   in Loop: Header=BB6_143 Depth=2
	s_or_b32 exec_lo, exec_lo, s27
	s_and_saveexec_b32 s26, s11
	s_cbranch_execz .LBB6_268
.LBB6_267:                              ;   in Loop: Header=BB6_143 Depth=2
	v_bfe_u32 v161, v37, 3, 4
	v_lshlrev_b32_e32 v162, 24, v37
	s_delay_alu instid0(VALU_DEP_2) | instskip(SKIP_1) | instid1(VALU_DEP_1)
	v_cmp_eq_u32_e32 vcc_lo, 0, v161
	v_and_b32_e32 v150, 7, v37
	v_clz_i32_u32_e32 v151, v150
	s_delay_alu instid0(VALU_DEP_1) | instskip(NEXT) | instid1(VALU_DEP_1)
	v_min_u32_e32 v151, 32, v151
	v_subrev_nc_u32_e32 v160, 28, v151
	v_sub_nc_u32_e32 v151, 29, v151
	s_delay_alu instid0(VALU_DEP_1) | instskip(NEXT) | instid1(VALU_DEP_1)
	v_dual_cndmask_b32 v151, v161, v151 :: v_dual_lshlrev_b32 v160, v160, v37
	v_and_b32_e32 v160, 7, v160
	s_delay_alu instid0(VALU_DEP_2) | instskip(NEXT) | instid1(VALU_DEP_2)
	v_lshl_add_u32 v151, v151, 23, 0x3b800000
	v_cndmask_b32_e32 v150, v150, v160, vcc_lo
	v_and_b32_e32 v160, 0x80000000, v162
	s_delay_alu instid0(VALU_DEP_2) | instskip(NEXT) | instid1(VALU_DEP_1)
	v_lshlrev_b32_e32 v150, 20, v150
	v_or3_b32 v150, v160, v151, v150
.LBB6_268:                              ;   in Loop: Header=BB6_143 Depth=2
	s_or_b32 exec_lo, exec_lo, s26
	s_delay_alu instid0(VALU_DEP_1) | instskip(SKIP_2) | instid1(VALU_DEP_1)
	v_max_f32_e32 v150, v150, v150
	v_max_f32_e32 v48, v48, v48
	s_mov_b32 s11, 0
	v_max_f32_e32 v150, v48, v150
	s_branch .LBB6_270
.LBB6_269:                              ;   in Loop: Header=BB6_143 Depth=2
	s_mov_b32 s11, -1
                                        ; implicit-def: $vgpr150
.LBB6_270:                              ;   in Loop: Header=BB6_143 Depth=2
	s_delay_alu instid0(SALU_CYCLE_1)
	s_and_b32 vcc_lo, exec_lo, s11
	s_cbranch_vccz .LBB6_280
; %bb.271:                              ;   in Loop: Header=BB6_143 Depth=2
	v_and_b32_e32 v150, 0xff, v49
	s_mov_b32 s11, 0
	s_mov_b32 s27, exec_lo
                                        ; implicit-def: $sgpr26
	s_delay_alu instid0(VALU_DEP_1)
	v_cmpx_lt_i16_e64 0x7f, v150
	s_xor_b32 s27, exec_lo, s27
	s_cbranch_execnz .LBB6_2069
; %bb.272:                              ;   in Loop: Header=BB6_143 Depth=2
	s_or_saveexec_b32 s27, s27
	v_mov_b32_e32 v48, s26
	s_xor_b32 exec_lo, exec_lo, s27
	s_cbranch_execnz .LBB6_2072
.LBB6_273:                              ;   in Loop: Header=BB6_143 Depth=2
	s_or_b32 exec_lo, exec_lo, s27
	s_and_saveexec_b32 s26, s11
	s_cbranch_execz .LBB6_275
.LBB6_274:                              ;   in Loop: Header=BB6_143 Depth=2
	v_and_b32_e32 v48, 7, v49
	v_bfe_u32 v160, v49, 3, 4
	s_delay_alu instid0(VALU_DEP_2) | instskip(NEXT) | instid1(VALU_DEP_2)
	v_clz_i32_u32_e32 v150, v48
	v_cmp_eq_u32_e32 vcc_lo, 0, v160
	s_delay_alu instid0(VALU_DEP_2) | instskip(NEXT) | instid1(VALU_DEP_1)
	v_min_u32_e32 v150, 32, v150
	v_subrev_nc_u32_e32 v151, 28, v150
	v_sub_nc_u32_e32 v150, 29, v150
	s_delay_alu instid0(VALU_DEP_1) | instskip(NEXT) | instid1(VALU_DEP_1)
	v_dual_cndmask_b32 v150, v160, v150 :: v_dual_lshlrev_b32 v151, v151, v49
	v_and_b32_e32 v151, 7, v151
	v_lshlrev_b32_e32 v161, 24, v49
	s_delay_alu instid0(VALU_DEP_3) | instskip(NEXT) | instid1(VALU_DEP_2)
	v_lshl_add_u32 v150, v150, 23, 0x3b800000
	v_dual_cndmask_b32 v48, v48, v151 :: v_dual_and_b32 v151, 0x80000000, v161
	s_delay_alu instid0(VALU_DEP_1) | instskip(NEXT) | instid1(VALU_DEP_1)
	v_lshlrev_b32_e32 v48, 20, v48
	v_or3_b32 v48, v151, v150, v48
.LBB6_275:                              ;   in Loop: Header=BB6_143 Depth=2
	s_or_b32 exec_lo, exec_lo, s26
	v_and_b32_e32 v151, 0xff, v37
	s_mov_b32 s11, 0
	s_mov_b32 s27, exec_lo
                                        ; implicit-def: $sgpr26
	s_delay_alu instid0(VALU_DEP_1)
	v_cmpx_lt_i16_e64 0x7f, v151
	s_xor_b32 s27, exec_lo, s27
	s_cbranch_execnz .LBB6_2073
; %bb.276:                              ;   in Loop: Header=BB6_143 Depth=2
	s_or_saveexec_b32 s27, s27
	v_mov_b32_e32 v150, s26
	s_xor_b32 exec_lo, exec_lo, s27
	s_cbranch_execnz .LBB6_2076
.LBB6_277:                              ;   in Loop: Header=BB6_143 Depth=2
	s_or_b32 exec_lo, exec_lo, s27
	s_and_saveexec_b32 s26, s11
	s_cbranch_execz .LBB6_279
.LBB6_278:                              ;   in Loop: Header=BB6_143 Depth=2
	v_bfe_u32 v161, v37, 3, 4
	v_lshlrev_b32_e32 v162, 24, v37
	s_delay_alu instid0(VALU_DEP_2) | instskip(SKIP_1) | instid1(VALU_DEP_1)
	v_cmp_eq_u32_e32 vcc_lo, 0, v161
	v_and_b32_e32 v150, 7, v37
	v_clz_i32_u32_e32 v151, v150
	s_delay_alu instid0(VALU_DEP_1) | instskip(NEXT) | instid1(VALU_DEP_1)
	v_min_u32_e32 v151, 32, v151
	v_subrev_nc_u32_e32 v160, 28, v151
	v_sub_nc_u32_e32 v151, 29, v151
	s_delay_alu instid0(VALU_DEP_1) | instskip(NEXT) | instid1(VALU_DEP_1)
	v_dual_cndmask_b32 v151, v161, v151 :: v_dual_lshlrev_b32 v160, v160, v37
	v_and_b32_e32 v160, 7, v160
	s_delay_alu instid0(VALU_DEP_2) | instskip(NEXT) | instid1(VALU_DEP_2)
	v_lshl_add_u32 v151, v151, 23, 0x3b800000
	v_cndmask_b32_e32 v150, v150, v160, vcc_lo
	v_and_b32_e32 v160, 0x80000000, v162
	s_delay_alu instid0(VALU_DEP_2) | instskip(NEXT) | instid1(VALU_DEP_1)
	v_lshlrev_b32_e32 v150, 20, v150
	v_or3_b32 v150, v160, v151, v150
.LBB6_279:                              ;   in Loop: Header=BB6_143 Depth=2
	s_or_b32 exec_lo, exec_lo, s26
	s_delay_alu instid0(VALU_DEP_1) | instskip(SKIP_1) | instid1(VALU_DEP_1)
	v_max_f32_e32 v150, v150, v150
	v_max_f32_e32 v48, v48, v48
	v_min_f32_e32 v150, v48, v150
.LBB6_280:                              ;   in Loop: Header=BB6_143 Depth=2
	s_delay_alu instid0(VALU_DEP_1) | instskip(NEXT) | instid1(VALU_DEP_1)
	v_and_b32_e32 v48, 0x7f800000, v150
	v_cmp_ne_u32_e32 vcc_lo, 0x7f800000, v48
	v_mov_b32_e32 v48, 0x80
	s_and_saveexec_b32 s26, vcc_lo
	s_cbranch_execz .LBB6_288
; %bb.281:                              ;   in Loop: Header=BB6_143 Depth=2
	v_mov_b32_e32 v48, 0
	s_mov_b32 s27, exec_lo
	v_cmpx_ne_u32_e32 0, v150
	s_cbranch_execz .LBB6_287
; %bb.282:                              ;   in Loop: Header=BB6_143 Depth=2
	v_bfe_u32 v48, v150, 23, 8
	s_delay_alu instid0(VALU_DEP_1) | instskip(SKIP_1) | instid1(VALU_DEP_2)
	v_sub_nc_u32_e32 v160, 0x78, v48
	v_cmp_gt_u32_e32 vcc_lo, 0x79, v48
	v_dual_cndmask_b32 v160, 0, v160 :: v_dual_and_b32 v151, 0x7fffff, v150
	s_delay_alu instid0(VALU_DEP_1) | instskip(SKIP_2) | instid1(VALU_DEP_4)
	v_or_b32_e32 v161, 0x800000, v151
	v_cmp_eq_u32_e32 vcc_lo, 0, v48
	v_add_nc_u32_e32 v48, 0xffffff89, v48
	v_cndmask_b32_e64 v160, v160, 0x77, vcc_lo
	s_delay_alu instid0(VALU_DEP_4) | instskip(NEXT) | instid1(VALU_DEP_3)
	v_cndmask_b32_e32 v151, v161, v151, vcc_lo
	v_cndmask_b32_e64 v48, v48, 0xffffff8a, vcc_lo
	s_delay_alu instid0(VALU_DEP_3) | instskip(NEXT) | instid1(VALU_DEP_3)
	v_lshl_add_u32 v161, 0x100000, v160, -1
	v_lshrrev_b32_e32 v162, v160, v151
	v_lshlrev_b32_e64 v164, v160, 0x80000
	s_delay_alu instid0(VALU_DEP_4) | instskip(NEXT) | instid1(VALU_DEP_4)
	v_add_nc_u32_e32 v160, v160, v48
	v_and_b32_e32 v151, v161, v151
	s_delay_alu instid0(VALU_DEP_4) | instskip(NEXT) | instid1(VALU_DEP_2)
	v_bfe_u32 v163, v162, 20, 1
	v_cmp_eq_u32_e64 s11, v151, v164
	s_delay_alu instid0(VALU_DEP_2) | instskip(NEXT) | instid1(VALU_DEP_1)
	v_add_nc_u32_e32 v161, -1, v163
	v_cndmask_b32_e64 v151, 0, v161, s11
	v_lshrrev_b32_e32 v161, 23, v162
	s_mov_b32 s11, exec_lo
	s_delay_alu instid0(VALU_DEP_2) | instskip(NEXT) | instid1(VALU_DEP_2)
	v_add_nc_u32_e32 v151, v151, v162
	v_xor_b32_e32 v161, 1, v161
	s_delay_alu instid0(VALU_DEP_2) | instskip(NEXT) | instid1(VALU_DEP_1)
	v_and_b32_e32 v48, 0xfffff, v151
	v_add_nc_u32_e32 v151, v48, v162
                                        ; implicit-def: $vgpr48
	s_delay_alu instid0(VALU_DEP_3)
	v_cmpx_ne_u32_e64 v160, v161
	s_xor_b32 s11, exec_lo, s11
; %bb.283:                              ;   in Loop: Header=BB6_143 Depth=2
	s_delay_alu instid0(VALU_DEP_2) | instskip(SKIP_2) | instid1(VALU_DEP_2)
	v_cmp_lt_u32_e32 vcc_lo, 0xffffff, v151
	v_sub_nc_u32_e32 v48, v160, v161
	v_cndmask_b32_e64 v160, 0, 1, vcc_lo
	v_add_co_ci_u32_e32 v48, vcc_lo, 0, v48, vcc_lo
	s_delay_alu instid0(VALU_DEP_2)
	v_lshrrev_b32_e32 v151, v160, v151
; %bb.284:                              ;   in Loop: Header=BB6_143 Depth=2
	s_and_not1_saveexec_b32 s11, s11
; %bb.285:                              ;   in Loop: Header=BB6_143 Depth=2
	s_delay_alu instid0(VALU_DEP_1)
	v_bfe_u32 v48, v151, 23, 1
; %bb.286:                              ;   in Loop: Header=BB6_143 Depth=2
	s_or_b32 exec_lo, exec_lo, s11
	v_lshrrev_b32_e32 v151, 20, v151
	s_delay_alu instid0(VALU_DEP_2) | instskip(SKIP_2) | instid1(VALU_DEP_2)
	v_cmp_gt_i32_e32 vcc_lo, 16, v48
	v_lshrrev_b32_e32 v150, 24, v150
	v_min_i32_e32 v160, 15, v48
	v_dual_cndmask_b32 v151, 7, v151 :: v_dual_and_b32 v150, 0x80, v150
	s_delay_alu instid0(VALU_DEP_2) | instskip(NEXT) | instid1(VALU_DEP_2)
	v_lshlrev_b32_e32 v160, 3, v160
	v_or_b32_e32 v48, v48, v151
	s_delay_alu instid0(VALU_DEP_1) | instskip(SKIP_1) | instid1(VALU_DEP_1)
	v_cmp_ne_u32_e32 vcc_lo, 0, v48
	v_and_b32_e32 v161, 7, v151
	v_or3_b32 v150, v160, v150, v161
	s_delay_alu instid0(VALU_DEP_1)
	v_cndmask_b32_e32 v48, 0, v150, vcc_lo
.LBB6_287:                              ;   in Loop: Header=BB6_143 Depth=2
	s_or_b32 exec_lo, exec_lo, s27
.LBB6_288:                              ;   in Loop: Header=BB6_143 Depth=2
	s_delay_alu instid0(SALU_CYCLE_1)
	s_or_b32 exec_lo, exec_lo, s26
	v_lshrrev_b16 v151, 8, v49
	v_lshrrev_b16 v150, 8, v37
	s_and_b32 vcc_lo, exec_lo, s25
	s_cbranch_vccz .LBB6_298
; %bb.289:                              ;   in Loop: Header=BB6_143 Depth=2
	s_mov_b32 s11, 0
	s_mov_b32 s27, exec_lo
                                        ; implicit-def: $sgpr26
	v_cmpx_lt_i16_e64 0x7f, v151
	s_xor_b32 s27, exec_lo, s27
	s_cbranch_execnz .LBB6_2077
; %bb.290:                              ;   in Loop: Header=BB6_143 Depth=2
	s_or_saveexec_b32 s27, s27
	v_mov_b32_e32 v160, s26
	s_xor_b32 exec_lo, exec_lo, s27
	s_cbranch_execnz .LBB6_2080
.LBB6_291:                              ;   in Loop: Header=BB6_143 Depth=2
	s_or_b32 exec_lo, exec_lo, s27
	s_and_saveexec_b32 s26, s11
	s_cbranch_execz .LBB6_293
.LBB6_292:                              ;   in Loop: Header=BB6_143 Depth=2
	v_and_b32_e32 v160, 0xffff, v151
	s_delay_alu instid0(VALU_DEP_1) | instskip(NEXT) | instid1(VALU_DEP_1)
	v_and_b32_e32 v161, 7, v160
	v_clz_i32_u32_e32 v162, v161
	s_delay_alu instid0(VALU_DEP_1) | instskip(NEXT) | instid1(VALU_DEP_1)
	v_min_u32_e32 v162, 32, v162
	v_subrev_nc_u32_e32 v163, 28, v162
	v_sub_nc_u32_e32 v162, 29, v162
	s_delay_alu instid0(VALU_DEP_2) | instskip(SKIP_1) | instid1(VALU_DEP_2)
	v_lshlrev_b32_e32 v163, v163, v160
	v_bfe_u32 v160, v160, 3, 4
	v_and_b32_e32 v163, 7, v163
	s_delay_alu instid0(VALU_DEP_2) | instskip(SKIP_1) | instid1(VALU_DEP_3)
	v_cmp_eq_u32_e32 vcc_lo, 0, v160
	v_cndmask_b32_e32 v160, v160, v162, vcc_lo
	v_dual_cndmask_b32 v161, v161, v163 :: v_dual_lshlrev_b32 v164, 16, v49
	s_delay_alu instid0(VALU_DEP_2) | instskip(NEXT) | instid1(VALU_DEP_2)
	v_lshl_add_u32 v160, v160, 23, 0x3b800000
	v_and_b32_e32 v162, 0x80000000, v164
	s_delay_alu instid0(VALU_DEP_3) | instskip(NEXT) | instid1(VALU_DEP_1)
	v_lshlrev_b32_e32 v161, 20, v161
	v_or3_b32 v160, v162, v160, v161
.LBB6_293:                              ;   in Loop: Header=BB6_143 Depth=2
	s_or_b32 exec_lo, exec_lo, s26
	s_mov_b32 s11, 0
	s_mov_b32 s27, exec_lo
                                        ; implicit-def: $sgpr26
	v_cmpx_lt_i16_e64 0x7f, v150
	s_xor_b32 s27, exec_lo, s27
	s_cbranch_execnz .LBB6_2081
; %bb.294:                              ;   in Loop: Header=BB6_143 Depth=2
	s_or_saveexec_b32 s27, s27
	v_mov_b32_e32 v161, s26
	s_xor_b32 exec_lo, exec_lo, s27
	s_cbranch_execnz .LBB6_2084
.LBB6_295:                              ;   in Loop: Header=BB6_143 Depth=2
	s_or_b32 exec_lo, exec_lo, s27
	s_and_saveexec_b32 s26, s11
	s_cbranch_execz .LBB6_297
.LBB6_296:                              ;   in Loop: Header=BB6_143 Depth=2
	v_and_b32_e32 v161, 0xffff, v150
	v_lshlrev_b32_e32 v165, 16, v37
	s_delay_alu instid0(VALU_DEP_2) | instskip(NEXT) | instid1(VALU_DEP_1)
	v_and_b32_e32 v162, 7, v161
	v_clz_i32_u32_e32 v163, v162
	s_delay_alu instid0(VALU_DEP_1) | instskip(NEXT) | instid1(VALU_DEP_1)
	v_min_u32_e32 v163, 32, v163
	v_subrev_nc_u32_e32 v164, 28, v163
	v_sub_nc_u32_e32 v163, 29, v163
	s_delay_alu instid0(VALU_DEP_2) | instskip(SKIP_1) | instid1(VALU_DEP_2)
	v_lshlrev_b32_e32 v164, v164, v161
	v_bfe_u32 v161, v161, 3, 4
	v_and_b32_e32 v164, 7, v164
	s_delay_alu instid0(VALU_DEP_2) | instskip(NEXT) | instid1(VALU_DEP_2)
	v_cmp_eq_u32_e32 vcc_lo, 0, v161
	v_dual_cndmask_b32 v161, v161, v163 :: v_dual_cndmask_b32 v162, v162, v164
	v_and_b32_e32 v163, 0x80000000, v165
	s_delay_alu instid0(VALU_DEP_2) | instskip(NEXT) | instid1(VALU_DEP_3)
	v_lshl_add_u32 v161, v161, 23, 0x3b800000
	v_lshlrev_b32_e32 v162, 20, v162
	s_delay_alu instid0(VALU_DEP_1)
	v_or3_b32 v161, v163, v161, v162
.LBB6_297:                              ;   in Loop: Header=BB6_143 Depth=2
	s_or_b32 exec_lo, exec_lo, s26
	s_delay_alu instid0(VALU_DEP_1) | instskip(SKIP_1) | instid1(VALU_DEP_1)
	v_dual_max_f32 v161, v161, v161 :: v_dual_max_f32 v160, v160, v160
	s_mov_b32 s11, 0
	v_max_f32_e32 v160, v160, v161
	s_branch .LBB6_299
.LBB6_298:                              ;   in Loop: Header=BB6_143 Depth=2
	s_mov_b32 s11, -1
                                        ; implicit-def: $vgpr160
.LBB6_299:                              ;   in Loop: Header=BB6_143 Depth=2
	s_delay_alu instid0(SALU_CYCLE_1)
	s_and_b32 vcc_lo, exec_lo, s11
	s_cbranch_vccz .LBB6_309
; %bb.300:                              ;   in Loop: Header=BB6_143 Depth=2
	s_mov_b32 s11, 0
	s_mov_b32 s27, exec_lo
                                        ; implicit-def: $sgpr26
	v_cmpx_lt_i16_e64 0x7f, v151
	s_xor_b32 s27, exec_lo, s27
	s_cbranch_execnz .LBB6_2085
; %bb.301:                              ;   in Loop: Header=BB6_143 Depth=2
	s_or_saveexec_b32 s27, s27
	v_mov_b32_e32 v160, s26
	s_xor_b32 exec_lo, exec_lo, s27
	s_cbranch_execnz .LBB6_2088
.LBB6_302:                              ;   in Loop: Header=BB6_143 Depth=2
	s_or_b32 exec_lo, exec_lo, s27
	s_and_saveexec_b32 s26, s11
	s_cbranch_execz .LBB6_304
.LBB6_303:                              ;   in Loop: Header=BB6_143 Depth=2
	v_and_b32_e32 v151, 0xffff, v151
	v_lshlrev_b32_e32 v163, 16, v49
	s_delay_alu instid0(VALU_DEP_2) | instskip(NEXT) | instid1(VALU_DEP_1)
	v_and_b32_e32 v160, 7, v151
	v_clz_i32_u32_e32 v161, v160
	s_delay_alu instid0(VALU_DEP_1) | instskip(NEXT) | instid1(VALU_DEP_1)
	v_min_u32_e32 v161, 32, v161
	v_subrev_nc_u32_e32 v162, 28, v161
	v_sub_nc_u32_e32 v161, 29, v161
	s_delay_alu instid0(VALU_DEP_2) | instskip(SKIP_1) | instid1(VALU_DEP_2)
	v_lshlrev_b32_e32 v162, v162, v151
	v_bfe_u32 v151, v151, 3, 4
	v_and_b32_e32 v162, 7, v162
	s_delay_alu instid0(VALU_DEP_2) | instskip(NEXT) | instid1(VALU_DEP_2)
	v_cmp_eq_u32_e32 vcc_lo, 0, v151
	v_dual_cndmask_b32 v151, v151, v161 :: v_dual_cndmask_b32 v160, v160, v162
	v_and_b32_e32 v161, 0x80000000, v163
	s_delay_alu instid0(VALU_DEP_2) | instskip(NEXT) | instid1(VALU_DEP_3)
	v_lshl_add_u32 v151, v151, 23, 0x3b800000
	v_lshlrev_b32_e32 v160, 20, v160
	s_delay_alu instid0(VALU_DEP_1)
	v_or3_b32 v160, v161, v151, v160
.LBB6_304:                              ;   in Loop: Header=BB6_143 Depth=2
	s_or_b32 exec_lo, exec_lo, s26
	s_mov_b32 s11, 0
	s_mov_b32 s27, exec_lo
                                        ; implicit-def: $sgpr26
	v_cmpx_lt_i16_e64 0x7f, v150
	s_xor_b32 s27, exec_lo, s27
	s_cbranch_execnz .LBB6_2089
; %bb.305:                              ;   in Loop: Header=BB6_143 Depth=2
	s_or_saveexec_b32 s27, s27
	v_mov_b32_e32 v151, s26
	s_xor_b32 exec_lo, exec_lo, s27
	s_cbranch_execnz .LBB6_2092
.LBB6_306:                              ;   in Loop: Header=BB6_143 Depth=2
	s_or_b32 exec_lo, exec_lo, s27
	s_and_saveexec_b32 s26, s11
	s_cbranch_execz .LBB6_308
.LBB6_307:                              ;   in Loop: Header=BB6_143 Depth=2
	v_and_b32_e32 v150, 0xffff, v150
	v_lshlrev_b32_e32 v163, 16, v37
	s_delay_alu instid0(VALU_DEP_2) | instskip(NEXT) | instid1(VALU_DEP_1)
	v_and_b32_e32 v151, 7, v150
	v_clz_i32_u32_e32 v161, v151
	s_delay_alu instid0(VALU_DEP_1) | instskip(NEXT) | instid1(VALU_DEP_1)
	v_min_u32_e32 v161, 32, v161
	v_subrev_nc_u32_e32 v162, 28, v161
	v_sub_nc_u32_e32 v161, 29, v161
	s_delay_alu instid0(VALU_DEP_2) | instskip(SKIP_1) | instid1(VALU_DEP_2)
	v_lshlrev_b32_e32 v162, v162, v150
	v_bfe_u32 v150, v150, 3, 4
	v_and_b32_e32 v162, 7, v162
	s_delay_alu instid0(VALU_DEP_2) | instskip(NEXT) | instid1(VALU_DEP_2)
	v_cmp_eq_u32_e32 vcc_lo, 0, v150
	v_dual_cndmask_b32 v150, v150, v161 :: v_dual_cndmask_b32 v151, v151, v162
	v_and_b32_e32 v161, 0x80000000, v163
	s_delay_alu instid0(VALU_DEP_2) | instskip(NEXT) | instid1(VALU_DEP_3)
	v_lshl_add_u32 v150, v150, 23, 0x3b800000
	v_lshlrev_b32_e32 v151, 20, v151
	s_delay_alu instid0(VALU_DEP_1)
	v_or3_b32 v151, v161, v150, v151
.LBB6_308:                              ;   in Loop: Header=BB6_143 Depth=2
	s_or_b32 exec_lo, exec_lo, s26
	s_delay_alu instid0(VALU_DEP_1) | instskip(NEXT) | instid1(VALU_DEP_1)
	v_dual_max_f32 v150, v151, v151 :: v_dual_max_f32 v151, v160, v160
	v_min_f32_e32 v160, v151, v150
.LBB6_309:                              ;   in Loop: Header=BB6_143 Depth=2
	s_delay_alu instid0(VALU_DEP_1) | instskip(NEXT) | instid1(VALU_DEP_1)
	v_and_b32_e32 v150, 0x7f800000, v160
	v_cmp_ne_u32_e32 vcc_lo, 0x7f800000, v150
	v_mov_b32_e32 v150, 0x80
	s_and_saveexec_b32 s26, vcc_lo
	s_cbranch_execz .LBB6_317
; %bb.310:                              ;   in Loop: Header=BB6_143 Depth=2
	v_mov_b32_e32 v150, 0
	s_mov_b32 s27, exec_lo
	v_cmpx_ne_u32_e32 0, v160
	s_cbranch_execz .LBB6_316
; %bb.311:                              ;   in Loop: Header=BB6_143 Depth=2
	v_bfe_u32 v150, v160, 23, 8
	v_and_b32_e32 v151, 0x7fffff, v160
	s_delay_alu instid0(VALU_DEP_2) | instskip(SKIP_1) | instid1(VALU_DEP_3)
	v_sub_nc_u32_e32 v161, 0x78, v150
	v_cmp_gt_u32_e32 vcc_lo, 0x79, v150
	v_or_b32_e32 v162, 0x800000, v151
	s_delay_alu instid0(VALU_DEP_3) | instskip(SKIP_2) | instid1(VALU_DEP_3)
	v_cndmask_b32_e32 v161, 0, v161, vcc_lo
	v_cmp_eq_u32_e32 vcc_lo, 0, v150
	v_add_nc_u32_e32 v150, 0xffffff89, v150
	v_cndmask_b32_e64 v161, v161, 0x77, vcc_lo
	v_cndmask_b32_e32 v151, v162, v151, vcc_lo
	s_delay_alu instid0(VALU_DEP_3) | instskip(NEXT) | instid1(VALU_DEP_3)
	v_cndmask_b32_e64 v150, v150, 0xffffff8a, vcc_lo
	v_lshl_add_u32 v162, 0x100000, v161, -1
	s_delay_alu instid0(VALU_DEP_3) | instskip(SKIP_1) | instid1(VALU_DEP_4)
	v_lshrrev_b32_e32 v163, v161, v151
	v_lshlrev_b32_e64 v165, v161, 0x80000
	v_add_nc_u32_e32 v161, v161, v150
	s_delay_alu instid0(VALU_DEP_4) | instskip(NEXT) | instid1(VALU_DEP_4)
	v_and_b32_e32 v151, v162, v151
	v_bfe_u32 v164, v163, 20, 1
	s_delay_alu instid0(VALU_DEP_2) | instskip(NEXT) | instid1(VALU_DEP_2)
	v_cmp_eq_u32_e64 s11, v151, v165
	v_add_nc_u32_e32 v162, -1, v164
	s_delay_alu instid0(VALU_DEP_1) | instskip(SKIP_2) | instid1(VALU_DEP_2)
	v_cndmask_b32_e64 v151, 0, v162, s11
	v_lshrrev_b32_e32 v162, 23, v163
	s_mov_b32 s11, exec_lo
	v_add_nc_u32_e32 v151, v151, v163
	s_delay_alu instid0(VALU_DEP_2) | instskip(NEXT) | instid1(VALU_DEP_2)
	v_xor_b32_e32 v162, 1, v162
	v_and_b32_e32 v150, 0xfffff, v151
	s_delay_alu instid0(VALU_DEP_1) | instskip(NEXT) | instid1(VALU_DEP_3)
	v_add_nc_u32_e32 v151, v150, v163
                                        ; implicit-def: $vgpr150
	v_cmpx_ne_u32_e64 v161, v162
	s_xor_b32 s11, exec_lo, s11
; %bb.312:                              ;   in Loop: Header=BB6_143 Depth=2
	s_delay_alu instid0(VALU_DEP_2) | instskip(SKIP_2) | instid1(VALU_DEP_2)
	v_cmp_lt_u32_e32 vcc_lo, 0xffffff, v151
	v_sub_nc_u32_e32 v150, v161, v162
	v_cndmask_b32_e64 v161, 0, 1, vcc_lo
	v_add_co_ci_u32_e32 v150, vcc_lo, 0, v150, vcc_lo
	s_delay_alu instid0(VALU_DEP_2)
	v_lshrrev_b32_e32 v151, v161, v151
; %bb.313:                              ;   in Loop: Header=BB6_143 Depth=2
	s_and_not1_saveexec_b32 s11, s11
; %bb.314:                              ;   in Loop: Header=BB6_143 Depth=2
	s_delay_alu instid0(VALU_DEP_1)
	v_bfe_u32 v150, v151, 23, 1
; %bb.315:                              ;   in Loop: Header=BB6_143 Depth=2
	s_or_b32 exec_lo, exec_lo, s11
	v_lshrrev_b32_e32 v151, 20, v151
	s_delay_alu instid0(VALU_DEP_2) | instskip(SKIP_2) | instid1(VALU_DEP_2)
	v_cmp_gt_i32_e32 vcc_lo, 16, v150
	v_lshrrev_b32_e32 v160, 24, v160
	v_min_i32_e32 v161, 15, v150
	v_dual_cndmask_b32 v151, 7, v151 :: v_dual_and_b32 v160, 0x80, v160
	s_delay_alu instid0(VALU_DEP_1) | instskip(SKIP_1) | instid1(VALU_DEP_2)
	v_or_b32_e32 v150, v150, v151
	v_and_b32_e32 v162, 7, v151
	v_cmp_ne_u32_e32 vcc_lo, 0, v150
	v_lshlrev_b32_e32 v161, 3, v161
	s_delay_alu instid0(VALU_DEP_1) | instskip(NEXT) | instid1(VALU_DEP_1)
	v_or3_b32 v151, v161, v160, v162
	v_cndmask_b32_e32 v150, 0, v151, vcc_lo
.LBB6_316:                              ;   in Loop: Header=BB6_143 Depth=2
	s_or_b32 exec_lo, exec_lo, s27
.LBB6_317:                              ;   in Loop: Header=BB6_143 Depth=2
	s_delay_alu instid0(SALU_CYCLE_1)
	s_or_b32 exec_lo, exec_lo, s26
	v_lshrrev_b32_e32 v160, 16, v49
	v_lshrrev_b32_e32 v151, 16, v37
	s_and_b32 vcc_lo, exec_lo, s25
	s_cbranch_vccz .LBB6_327
; %bb.318:                              ;   in Loop: Header=BB6_143 Depth=2
	s_delay_alu instid0(VALU_DEP_2) | instskip(SKIP_2) | instid1(VALU_DEP_1)
	v_and_b32_e32 v162, 0xff, v160
	s_mov_b32 s11, 0
	s_mov_b32 s27, exec_lo
                                        ; implicit-def: $sgpr26
	v_cmpx_lt_i16_e64 0x7f, v162
	s_xor_b32 s27, exec_lo, s27
	s_cbranch_execnz .LBB6_2093
; %bb.319:                              ;   in Loop: Header=BB6_143 Depth=2
	s_or_saveexec_b32 s27, s27
	v_mov_b32_e32 v161, s26
	s_xor_b32 exec_lo, exec_lo, s27
	s_cbranch_execnz .LBB6_2096
.LBB6_320:                              ;   in Loop: Header=BB6_143 Depth=2
	s_or_b32 exec_lo, exec_lo, s27
	s_and_saveexec_b32 s26, s11
	s_cbranch_execz .LBB6_322
.LBB6_321:                              ;   in Loop: Header=BB6_143 Depth=2
	v_bfe_u32 v161, v49, 16, 3
	v_bfe_u32 v164, v49, 19, 4
	v_lshlrev_b32_e32 v165, 24, v160
	s_delay_alu instid0(VALU_DEP_3) | instskip(NEXT) | instid1(VALU_DEP_3)
	v_clz_i32_u32_e32 v162, v161
	v_cmp_eq_u32_e32 vcc_lo, 0, v164
	s_delay_alu instid0(VALU_DEP_2) | instskip(NEXT) | instid1(VALU_DEP_1)
	v_min_u32_e32 v162, 32, v162
	v_subrev_nc_u32_e32 v163, 28, v162
	v_sub_nc_u32_e32 v162, 29, v162
	s_delay_alu instid0(VALU_DEP_1) | instskip(NEXT) | instid1(VALU_DEP_1)
	v_dual_cndmask_b32 v162, v164, v162 :: v_dual_lshlrev_b32 v163, v163, v160
	v_and_b32_e32 v163, 7, v163
	s_delay_alu instid0(VALU_DEP_2) | instskip(NEXT) | instid1(VALU_DEP_2)
	v_lshl_add_u32 v162, v162, 23, 0x3b800000
	v_cndmask_b32_e32 v161, v161, v163, vcc_lo
	v_and_b32_e32 v163, 0x80000000, v165
	s_delay_alu instid0(VALU_DEP_2) | instskip(NEXT) | instid1(VALU_DEP_1)
	v_lshlrev_b32_e32 v161, 20, v161
	v_or3_b32 v161, v163, v162, v161
.LBB6_322:                              ;   in Loop: Header=BB6_143 Depth=2
	s_or_b32 exec_lo, exec_lo, s26
	v_and_b32_e32 v163, 0xff, v151
	s_mov_b32 s11, 0
	s_mov_b32 s27, exec_lo
                                        ; implicit-def: $sgpr26
	s_delay_alu instid0(VALU_DEP_1)
	v_cmpx_lt_i16_e64 0x7f, v163
	s_xor_b32 s27, exec_lo, s27
	s_cbranch_execnz .LBB6_2097
; %bb.323:                              ;   in Loop: Header=BB6_143 Depth=2
	s_or_saveexec_b32 s27, s27
	v_mov_b32_e32 v162, s26
	s_xor_b32 exec_lo, exec_lo, s27
	s_cbranch_execnz .LBB6_2100
.LBB6_324:                              ;   in Loop: Header=BB6_143 Depth=2
	s_or_b32 exec_lo, exec_lo, s27
	s_and_saveexec_b32 s26, s11
	s_cbranch_execz .LBB6_326
.LBB6_325:                              ;   in Loop: Header=BB6_143 Depth=2
	v_bfe_u32 v162, v37, 16, 3
	v_bfe_u32 v165, v37, 19, 4
	v_lshlrev_b32_e32 v166, 24, v151
	s_delay_alu instid0(VALU_DEP_3) | instskip(NEXT) | instid1(VALU_DEP_3)
	v_clz_i32_u32_e32 v163, v162
	v_cmp_eq_u32_e32 vcc_lo, 0, v165
	s_delay_alu instid0(VALU_DEP_2) | instskip(NEXT) | instid1(VALU_DEP_1)
	v_min_u32_e32 v163, 32, v163
	v_subrev_nc_u32_e32 v164, 28, v163
	v_sub_nc_u32_e32 v163, 29, v163
	s_delay_alu instid0(VALU_DEP_2) | instskip(NEXT) | instid1(VALU_DEP_1)
	v_lshlrev_b32_e32 v164, v164, v151
	v_dual_cndmask_b32 v163, v165, v163 :: v_dual_and_b32 v164, 7, v164
	s_delay_alu instid0(VALU_DEP_1) | instskip(NEXT) | instid1(VALU_DEP_2)
	v_lshl_add_u32 v163, v163, 23, 0x3b800000
	v_cndmask_b32_e32 v162, v162, v164, vcc_lo
	v_and_b32_e32 v164, 0x80000000, v166
	s_delay_alu instid0(VALU_DEP_2) | instskip(NEXT) | instid1(VALU_DEP_1)
	v_lshlrev_b32_e32 v162, 20, v162
	v_or3_b32 v162, v164, v163, v162
.LBB6_326:                              ;   in Loop: Header=BB6_143 Depth=2
	s_or_b32 exec_lo, exec_lo, s26
	s_delay_alu instid0(VALU_DEP_1) | instskip(SKIP_1) | instid1(VALU_DEP_1)
	v_dual_max_f32 v162, v162, v162 :: v_dual_max_f32 v161, v161, v161
	s_mov_b32 s11, 0
	v_max_f32_e32 v161, v161, v162
	s_branch .LBB6_328
.LBB6_327:                              ;   in Loop: Header=BB6_143 Depth=2
	s_mov_b32 s11, -1
                                        ; implicit-def: $vgpr161
.LBB6_328:                              ;   in Loop: Header=BB6_143 Depth=2
	s_delay_alu instid0(SALU_CYCLE_1)
	s_and_b32 vcc_lo, exec_lo, s11
	s_cbranch_vccz .LBB6_338
; %bb.329:                              ;   in Loop: Header=BB6_143 Depth=2
	v_and_b32_e32 v162, 0xff, v160
	s_mov_b32 s11, 0
	s_mov_b32 s27, exec_lo
                                        ; implicit-def: $sgpr26
	s_delay_alu instid0(VALU_DEP_1)
	v_cmpx_lt_i16_e64 0x7f, v162
	s_xor_b32 s27, exec_lo, s27
	s_cbranch_execnz .LBB6_2101
; %bb.330:                              ;   in Loop: Header=BB6_143 Depth=2
	s_or_saveexec_b32 s27, s27
	v_mov_b32_e32 v161, s26
	s_xor_b32 exec_lo, exec_lo, s27
	s_cbranch_execnz .LBB6_2104
.LBB6_331:                              ;   in Loop: Header=BB6_143 Depth=2
	s_or_b32 exec_lo, exec_lo, s27
	s_and_saveexec_b32 s26, s11
	s_cbranch_execz .LBB6_333
.LBB6_332:                              ;   in Loop: Header=BB6_143 Depth=2
	v_bfe_u32 v161, v49, 16, 3
	v_bfe_u32 v164, v49, 19, 4
	s_delay_alu instid0(VALU_DEP_2) | instskip(NEXT) | instid1(VALU_DEP_2)
	v_clz_i32_u32_e32 v162, v161
	v_cmp_eq_u32_e32 vcc_lo, 0, v164
	s_delay_alu instid0(VALU_DEP_2) | instskip(NEXT) | instid1(VALU_DEP_1)
	v_min_u32_e32 v162, 32, v162
	v_subrev_nc_u32_e32 v163, 28, v162
	v_sub_nc_u32_e32 v162, 29, v162
	s_delay_alu instid0(VALU_DEP_1) | instskip(NEXT) | instid1(VALU_DEP_1)
	v_dual_cndmask_b32 v162, v164, v162 :: v_dual_lshlrev_b32 v163, v163, v160
	v_and_b32_e32 v163, 7, v163
	v_lshlrev_b32_e32 v160, 24, v160
	s_delay_alu instid0(VALU_DEP_3) | instskip(NEXT) | instid1(VALU_DEP_2)
	v_lshl_add_u32 v162, v162, 23, 0x3b800000
	v_dual_cndmask_b32 v161, v161, v163 :: v_dual_and_b32 v160, 0x80000000, v160
	s_delay_alu instid0(VALU_DEP_1) | instskip(NEXT) | instid1(VALU_DEP_1)
	v_lshlrev_b32_e32 v161, 20, v161
	v_or3_b32 v161, v160, v162, v161
.LBB6_333:                              ;   in Loop: Header=BB6_143 Depth=2
	s_or_b32 exec_lo, exec_lo, s26
	v_and_b32_e32 v162, 0xff, v151
	s_mov_b32 s11, 0
	s_mov_b32 s27, exec_lo
                                        ; implicit-def: $sgpr26
	s_delay_alu instid0(VALU_DEP_1)
	v_cmpx_lt_i16_e64 0x7f, v162
	s_xor_b32 s27, exec_lo, s27
	s_cbranch_execnz .LBB6_2105
; %bb.334:                              ;   in Loop: Header=BB6_143 Depth=2
	s_or_saveexec_b32 s27, s27
	v_mov_b32_e32 v160, s26
	s_xor_b32 exec_lo, exec_lo, s27
	s_cbranch_execnz .LBB6_2108
.LBB6_335:                              ;   in Loop: Header=BB6_143 Depth=2
	s_or_b32 exec_lo, exec_lo, s27
	s_and_saveexec_b32 s26, s11
	s_cbranch_execz .LBB6_337
.LBB6_336:                              ;   in Loop: Header=BB6_143 Depth=2
	v_bfe_u32 v160, v37, 16, 3
	v_bfe_u32 v164, v37, 19, 4
	s_delay_alu instid0(VALU_DEP_2) | instskip(NEXT) | instid1(VALU_DEP_2)
	v_clz_i32_u32_e32 v162, v160
	v_cmp_eq_u32_e32 vcc_lo, 0, v164
	s_delay_alu instid0(VALU_DEP_2) | instskip(NEXT) | instid1(VALU_DEP_1)
	v_min_u32_e32 v162, 32, v162
	v_subrev_nc_u32_e32 v163, 28, v162
	v_sub_nc_u32_e32 v162, 29, v162
	s_delay_alu instid0(VALU_DEP_1) | instskip(SKIP_1) | instid1(VALU_DEP_2)
	v_dual_cndmask_b32 v162, v164, v162 :: v_dual_lshlrev_b32 v163, v163, v151
	v_lshlrev_b32_e32 v151, 24, v151
	v_and_b32_e32 v163, 7, v163
	s_delay_alu instid0(VALU_DEP_3) | instskip(NEXT) | instid1(VALU_DEP_3)
	v_lshl_add_u32 v162, v162, 23, 0x3b800000
	v_and_b32_e32 v151, 0x80000000, v151
	s_delay_alu instid0(VALU_DEP_3) | instskip(NEXT) | instid1(VALU_DEP_1)
	v_cndmask_b32_e32 v160, v160, v163, vcc_lo
	v_lshlrev_b32_e32 v160, 20, v160
	s_delay_alu instid0(VALU_DEP_1)
	v_or3_b32 v160, v151, v162, v160
.LBB6_337:                              ;   in Loop: Header=BB6_143 Depth=2
	s_or_b32 exec_lo, exec_lo, s26
	s_delay_alu instid0(VALU_DEP_1) | instskip(NEXT) | instid1(VALU_DEP_1)
	v_dual_max_f32 v151, v160, v160 :: v_dual_max_f32 v160, v161, v161
	v_min_f32_e32 v161, v160, v151
.LBB6_338:                              ;   in Loop: Header=BB6_143 Depth=2
	s_delay_alu instid0(VALU_DEP_1) | instskip(NEXT) | instid1(VALU_DEP_1)
	v_and_b32_e32 v151, 0x7f800000, v161
	v_cmp_ne_u32_e32 vcc_lo, 0x7f800000, v151
	v_mov_b32_e32 v151, 0x80
	s_and_saveexec_b32 s26, vcc_lo
	s_cbranch_execz .LBB6_346
; %bb.339:                              ;   in Loop: Header=BB6_143 Depth=2
	v_mov_b32_e32 v151, 0
	s_mov_b32 s27, exec_lo
	v_cmpx_ne_u32_e32 0, v161
	s_cbranch_execz .LBB6_345
; %bb.340:                              ;   in Loop: Header=BB6_143 Depth=2
	v_bfe_u32 v151, v161, 23, 8
	v_and_b32_e32 v160, 0x7fffff, v161
	s_delay_alu instid0(VALU_DEP_2) | instskip(SKIP_1) | instid1(VALU_DEP_3)
	v_sub_nc_u32_e32 v162, 0x78, v151
	v_cmp_gt_u32_e32 vcc_lo, 0x79, v151
	v_or_b32_e32 v163, 0x800000, v160
	s_delay_alu instid0(VALU_DEP_3) | instskip(SKIP_2) | instid1(VALU_DEP_3)
	v_cndmask_b32_e32 v162, 0, v162, vcc_lo
	v_cmp_eq_u32_e32 vcc_lo, 0, v151
	v_add_nc_u32_e32 v151, 0xffffff89, v151
	v_cndmask_b32_e64 v162, v162, 0x77, vcc_lo
	v_cndmask_b32_e32 v160, v163, v160, vcc_lo
	s_delay_alu instid0(VALU_DEP_3) | instskip(NEXT) | instid1(VALU_DEP_3)
	v_cndmask_b32_e64 v151, v151, 0xffffff8a, vcc_lo
	v_lshl_add_u32 v163, 0x100000, v162, -1
	s_delay_alu instid0(VALU_DEP_3) | instskip(SKIP_1) | instid1(VALU_DEP_4)
	v_lshrrev_b32_e32 v164, v162, v160
	v_lshlrev_b32_e64 v166, v162, 0x80000
	v_add_nc_u32_e32 v162, v162, v151
	s_delay_alu instid0(VALU_DEP_4) | instskip(NEXT) | instid1(VALU_DEP_4)
	v_and_b32_e32 v160, v163, v160
	v_bfe_u32 v165, v164, 20, 1
	s_delay_alu instid0(VALU_DEP_2) | instskip(NEXT) | instid1(VALU_DEP_2)
	v_cmp_eq_u32_e64 s11, v160, v166
	v_add_nc_u32_e32 v163, -1, v165
	s_delay_alu instid0(VALU_DEP_1) | instskip(SKIP_2) | instid1(VALU_DEP_2)
	v_cndmask_b32_e64 v160, 0, v163, s11
	v_lshrrev_b32_e32 v163, 23, v164
	s_mov_b32 s11, exec_lo
	v_add_nc_u32_e32 v160, v160, v164
	s_delay_alu instid0(VALU_DEP_2) | instskip(NEXT) | instid1(VALU_DEP_2)
	v_xor_b32_e32 v163, 1, v163
	v_and_b32_e32 v151, 0xfffff, v160
	s_delay_alu instid0(VALU_DEP_1) | instskip(NEXT) | instid1(VALU_DEP_3)
	v_add_nc_u32_e32 v160, v151, v164
                                        ; implicit-def: $vgpr151
	v_cmpx_ne_u32_e64 v162, v163
	s_xor_b32 s11, exec_lo, s11
; %bb.341:                              ;   in Loop: Header=BB6_143 Depth=2
	s_delay_alu instid0(VALU_DEP_2) | instskip(SKIP_2) | instid1(VALU_DEP_2)
	v_cmp_lt_u32_e32 vcc_lo, 0xffffff, v160
	v_sub_nc_u32_e32 v151, v162, v163
	v_cndmask_b32_e64 v162, 0, 1, vcc_lo
	v_add_co_ci_u32_e32 v151, vcc_lo, 0, v151, vcc_lo
	s_delay_alu instid0(VALU_DEP_2)
	v_lshrrev_b32_e32 v160, v162, v160
; %bb.342:                              ;   in Loop: Header=BB6_143 Depth=2
	s_and_not1_saveexec_b32 s11, s11
; %bb.343:                              ;   in Loop: Header=BB6_143 Depth=2
	s_delay_alu instid0(VALU_DEP_1)
	v_bfe_u32 v151, v160, 23, 1
; %bb.344:                              ;   in Loop: Header=BB6_143 Depth=2
	s_or_b32 exec_lo, exec_lo, s11
	v_lshrrev_b32_e32 v160, 20, v160
	s_delay_alu instid0(VALU_DEP_2) | instskip(SKIP_2) | instid1(VALU_DEP_2)
	v_cmp_gt_i32_e32 vcc_lo, 16, v151
	v_lshrrev_b32_e32 v161, 24, v161
	v_min_i32_e32 v162, 15, v151
	v_dual_cndmask_b32 v160, 7, v160 :: v_dual_and_b32 v161, 0x80, v161
	s_delay_alu instid0(VALU_DEP_1) | instskip(SKIP_1) | instid1(VALU_DEP_2)
	v_or_b32_e32 v151, v151, v160
	v_and_b32_e32 v163, 7, v160
	v_cmp_ne_u32_e32 vcc_lo, 0, v151
	v_lshlrev_b32_e32 v162, 3, v162
	s_delay_alu instid0(VALU_DEP_1) | instskip(NEXT) | instid1(VALU_DEP_1)
	v_and_b32_e32 v162, 0xf8, v162
	v_or3_b32 v160, v162, v161, v163
	s_delay_alu instid0(VALU_DEP_1)
	v_cndmask_b32_e32 v151, 0, v160, vcc_lo
.LBB6_345:                              ;   in Loop: Header=BB6_143 Depth=2
	s_or_b32 exec_lo, exec_lo, s27
.LBB6_346:                              ;   in Loop: Header=BB6_143 Depth=2
	s_delay_alu instid0(SALU_CYCLE_1)
	s_or_b32 exec_lo, exec_lo, s26
	v_lshrrev_b32_e32 v161, 24, v49
	v_lshrrev_b32_e32 v160, 24, v37
	s_and_b32 vcc_lo, exec_lo, s25
	s_cbranch_vccz .LBB6_356
; %bb.347:                              ;   in Loop: Header=BB6_143 Depth=2
	s_mov_b32 s11, 0
	s_mov_b32 s27, exec_lo
                                        ; implicit-def: $sgpr26
	v_cmpx_lt_i16_e64 0x7f, v161
	s_xor_b32 s27, exec_lo, s27
	s_cbranch_execnz .LBB6_2109
; %bb.348:                              ;   in Loop: Header=BB6_143 Depth=2
	s_or_saveexec_b32 s27, s27
	v_mov_b32_e32 v162, s26
	s_xor_b32 exec_lo, exec_lo, s27
	s_cbranch_execnz .LBB6_2112
.LBB6_349:                              ;   in Loop: Header=BB6_143 Depth=2
	s_or_b32 exec_lo, exec_lo, s27
	s_and_saveexec_b32 s26, s11
	s_cbranch_execz .LBB6_351
.LBB6_350:                              ;   in Loop: Header=BB6_143 Depth=2
	v_bfe_u32 v162, v49, 24, 3
	v_bfe_u32 v165, v49, 27, 4
	s_delay_alu instid0(VALU_DEP_2) | instskip(NEXT) | instid1(VALU_DEP_2)
	v_clz_i32_u32_e32 v163, v162
	v_cmp_eq_u32_e32 vcc_lo, 0, v165
	s_delay_alu instid0(VALU_DEP_2) | instskip(NEXT) | instid1(VALU_DEP_1)
	v_min_u32_e32 v163, 32, v163
	v_subrev_nc_u32_e32 v164, 28, v163
	v_sub_nc_u32_e32 v163, 29, v163
	s_delay_alu instid0(VALU_DEP_1) | instskip(NEXT) | instid1(VALU_DEP_1)
	v_dual_cndmask_b32 v163, v165, v163 :: v_dual_lshlrev_b32 v164, v164, v161
	v_and_b32_e32 v164, 7, v164
	s_delay_alu instid0(VALU_DEP_2) | instskip(NEXT) | instid1(VALU_DEP_2)
	v_lshl_add_u32 v163, v163, 23, 0x3b800000
	v_cndmask_b32_e32 v162, v162, v164, vcc_lo
	v_and_b32_e32 v164, 0x80000000, v49
	s_delay_alu instid0(VALU_DEP_2) | instskip(NEXT) | instid1(VALU_DEP_1)
	v_lshlrev_b32_e32 v162, 20, v162
	v_or3_b32 v162, v164, v163, v162
.LBB6_351:                              ;   in Loop: Header=BB6_143 Depth=2
	s_or_b32 exec_lo, exec_lo, s26
	s_mov_b32 s11, 0
	s_mov_b32 s27, exec_lo
                                        ; implicit-def: $sgpr26
	v_cmpx_lt_i16_e64 0x7f, v160
	s_xor_b32 s27, exec_lo, s27
	s_cbranch_execnz .LBB6_2113
; %bb.352:                              ;   in Loop: Header=BB6_143 Depth=2
	s_or_saveexec_b32 s27, s27
	v_mov_b32_e32 v163, s26
	s_xor_b32 exec_lo, exec_lo, s27
	s_cbranch_execnz .LBB6_2116
.LBB6_353:                              ;   in Loop: Header=BB6_143 Depth=2
	s_or_b32 exec_lo, exec_lo, s27
	s_and_saveexec_b32 s26, s11
	s_cbranch_execz .LBB6_355
.LBB6_354:                              ;   in Loop: Header=BB6_143 Depth=2
	v_bfe_u32 v163, v37, 24, 3
	v_bfe_u32 v166, v37, 27, 4
	s_delay_alu instid0(VALU_DEP_2) | instskip(NEXT) | instid1(VALU_DEP_2)
	v_clz_i32_u32_e32 v164, v163
	v_cmp_eq_u32_e32 vcc_lo, 0, v166
	s_delay_alu instid0(VALU_DEP_2) | instskip(NEXT) | instid1(VALU_DEP_1)
	v_min_u32_e32 v164, 32, v164
	v_subrev_nc_u32_e32 v165, 28, v164
	v_sub_nc_u32_e32 v164, 29, v164
	s_delay_alu instid0(VALU_DEP_2) | instskip(NEXT) | instid1(VALU_DEP_1)
	v_lshlrev_b32_e32 v165, v165, v160
	v_dual_cndmask_b32 v164, v166, v164 :: v_dual_and_b32 v165, 7, v165
	s_delay_alu instid0(VALU_DEP_1) | instskip(NEXT) | instid1(VALU_DEP_2)
	v_lshl_add_u32 v164, v164, 23, 0x3b800000
	v_cndmask_b32_e32 v163, v163, v165, vcc_lo
	v_and_b32_e32 v165, 0x80000000, v37
	s_delay_alu instid0(VALU_DEP_2) | instskip(NEXT) | instid1(VALU_DEP_1)
	v_lshlrev_b32_e32 v163, 20, v163
	v_or3_b32 v163, v165, v164, v163
.LBB6_355:                              ;   in Loop: Header=BB6_143 Depth=2
	s_or_b32 exec_lo, exec_lo, s26
	s_delay_alu instid0(VALU_DEP_1) | instskip(SKIP_1) | instid1(VALU_DEP_1)
	v_dual_max_f32 v163, v163, v163 :: v_dual_max_f32 v162, v162, v162
	s_mov_b32 s11, 0
	v_max_f32_e32 v162, v162, v163
	s_branch .LBB6_357
.LBB6_356:                              ;   in Loop: Header=BB6_143 Depth=2
	s_mov_b32 s11, -1
                                        ; implicit-def: $vgpr162
.LBB6_357:                              ;   in Loop: Header=BB6_143 Depth=2
	s_delay_alu instid0(SALU_CYCLE_1)
	s_and_b32 vcc_lo, exec_lo, s11
	s_cbranch_vccz .LBB6_367
; %bb.358:                              ;   in Loop: Header=BB6_143 Depth=2
	s_mov_b32 s11, 0
	s_mov_b32 s27, exec_lo
                                        ; implicit-def: $sgpr26
	v_cmpx_lt_i16_e64 0x7f, v161
	s_xor_b32 s27, exec_lo, s27
	s_cbranch_execnz .LBB6_2117
; %bb.359:                              ;   in Loop: Header=BB6_143 Depth=2
	s_or_saveexec_b32 s27, s27
	v_mov_b32_e32 v162, s26
	s_xor_b32 exec_lo, exec_lo, s27
	s_cbranch_execnz .LBB6_2120
.LBB6_360:                              ;   in Loop: Header=BB6_143 Depth=2
	s_or_b32 exec_lo, exec_lo, s27
	s_and_saveexec_b32 s26, s11
	s_cbranch_execz .LBB6_362
.LBB6_361:                              ;   in Loop: Header=BB6_143 Depth=2
	v_bfe_u32 v162, v49, 24, 3
	s_delay_alu instid0(VALU_DEP_1) | instskip(NEXT) | instid1(VALU_DEP_1)
	v_clz_i32_u32_e32 v163, v162
	v_min_u32_e32 v163, 32, v163
	s_delay_alu instid0(VALU_DEP_1) | instskip(SKIP_1) | instid1(VALU_DEP_2)
	v_subrev_nc_u32_e32 v164, 28, v163
	v_sub_nc_u32_e32 v163, 29, v163
	v_lshlrev_b32_e32 v161, v164, v161
	v_bfe_u32 v164, v49, 27, 4
	v_and_b32_e32 v49, 0x80000000, v49
	s_delay_alu instid0(VALU_DEP_3) | instskip(NEXT) | instid1(VALU_DEP_3)
	v_and_b32_e32 v161, 7, v161
	v_cmp_eq_u32_e32 vcc_lo, 0, v164
	v_cndmask_b32_e32 v163, v164, v163, vcc_lo
	s_delay_alu instid0(VALU_DEP_3) | instskip(NEXT) | instid1(VALU_DEP_2)
	v_cndmask_b32_e32 v161, v162, v161, vcc_lo
	v_lshl_add_u32 v162, v163, 23, 0x3b800000
	s_delay_alu instid0(VALU_DEP_2) | instskip(NEXT) | instid1(VALU_DEP_1)
	v_lshlrev_b32_e32 v161, 20, v161
	v_or3_b32 v162, v49, v162, v161
.LBB6_362:                              ;   in Loop: Header=BB6_143 Depth=2
	s_or_b32 exec_lo, exec_lo, s26
	s_mov_b32 s11, 0
	s_mov_b32 s27, exec_lo
                                        ; implicit-def: $sgpr26
	v_cmpx_lt_i16_e64 0x7f, v160
	s_xor_b32 s27, exec_lo, s27
	s_cbranch_execnz .LBB6_2121
; %bb.363:                              ;   in Loop: Header=BB6_143 Depth=2
	s_or_saveexec_b32 s27, s27
	v_mov_b32_e32 v49, s26
	s_xor_b32 exec_lo, exec_lo, s27
	s_cbranch_execnz .LBB6_2124
.LBB6_364:                              ;   in Loop: Header=BB6_143 Depth=2
	s_or_b32 exec_lo, exec_lo, s27
	s_and_saveexec_b32 s26, s11
	s_cbranch_execz .LBB6_366
.LBB6_365:                              ;   in Loop: Header=BB6_143 Depth=2
	v_bfe_u32 v49, v37, 24, 3
	s_delay_alu instid0(VALU_DEP_1) | instskip(NEXT) | instid1(VALU_DEP_1)
	v_clz_i32_u32_e32 v161, v49
	v_min_u32_e32 v161, 32, v161
	s_delay_alu instid0(VALU_DEP_1) | instskip(SKIP_1) | instid1(VALU_DEP_2)
	v_subrev_nc_u32_e32 v163, 28, v161
	v_sub_nc_u32_e32 v161, 29, v161
	v_lshlrev_b32_e32 v160, v163, v160
	v_bfe_u32 v163, v37, 27, 4
	v_and_b32_e32 v37, 0x80000000, v37
	s_delay_alu instid0(VALU_DEP_2) | instskip(NEXT) | instid1(VALU_DEP_4)
	v_cmp_eq_u32_e32 vcc_lo, 0, v163
	v_dual_cndmask_b32 v161, v163, v161 :: v_dual_and_b32 v160, 7, v160
	s_delay_alu instid0(VALU_DEP_1) | instskip(NEXT) | instid1(VALU_DEP_2)
	v_cndmask_b32_e32 v49, v49, v160, vcc_lo
	v_lshl_add_u32 v160, v161, 23, 0x3b800000
	s_delay_alu instid0(VALU_DEP_2) | instskip(NEXT) | instid1(VALU_DEP_1)
	v_lshlrev_b32_e32 v49, 20, v49
	v_or3_b32 v49, v37, v160, v49
.LBB6_366:                              ;   in Loop: Header=BB6_143 Depth=2
	s_or_b32 exec_lo, exec_lo, s26
	s_delay_alu instid0(VALU_DEP_1) | instskip(SKIP_1) | instid1(VALU_DEP_1)
	v_max_f32_e32 v37, v49, v49
	v_max_f32_e32 v49, v162, v162
	v_min_f32_e32 v162, v49, v37
.LBB6_367:                              ;   in Loop: Header=BB6_143 Depth=2
	s_delay_alu instid0(VALU_DEP_1) | instskip(NEXT) | instid1(VALU_DEP_1)
	v_and_b32_e32 v37, 0x7f800000, v162
	v_cmp_ne_u32_e32 vcc_lo, 0x7f800000, v37
	v_mov_b32_e32 v37, 0x8000
	s_and_saveexec_b32 s26, vcc_lo
	s_cbranch_execz .LBB6_375
; %bb.368:                              ;   in Loop: Header=BB6_143 Depth=2
	v_mov_b32_e32 v37, 0
	s_mov_b32 s27, exec_lo
	v_cmpx_ne_u32_e32 0, v162
	s_cbranch_execz .LBB6_374
; %bb.369:                              ;   in Loop: Header=BB6_143 Depth=2
	v_bfe_u32 v37, v162, 23, 8
	s_delay_alu instid0(VALU_DEP_1) | instskip(SKIP_1) | instid1(VALU_DEP_2)
	v_sub_nc_u32_e32 v160, 0x78, v37
	v_cmp_gt_u32_e32 vcc_lo, 0x79, v37
	v_dual_cndmask_b32 v160, 0, v160 :: v_dual_and_b32 v49, 0x7fffff, v162
	s_delay_alu instid0(VALU_DEP_1) | instskip(SKIP_2) | instid1(VALU_DEP_4)
	v_or_b32_e32 v161, 0x800000, v49
	v_cmp_eq_u32_e32 vcc_lo, 0, v37
	v_add_nc_u32_e32 v37, 0xffffff89, v37
	v_cndmask_b32_e64 v160, v160, 0x77, vcc_lo
	s_delay_alu instid0(VALU_DEP_4) | instskip(NEXT) | instid1(VALU_DEP_3)
	v_cndmask_b32_e32 v49, v161, v49, vcc_lo
	v_cndmask_b32_e64 v37, v37, 0xffffff8a, vcc_lo
	s_delay_alu instid0(VALU_DEP_3) | instskip(NEXT) | instid1(VALU_DEP_3)
	v_lshl_add_u32 v161, 0x100000, v160, -1
	v_lshrrev_b32_e32 v163, v160, v49
	v_lshlrev_b32_e64 v165, v160, 0x80000
	s_delay_alu instid0(VALU_DEP_4) | instskip(NEXT) | instid1(VALU_DEP_4)
	v_add_nc_u32_e32 v160, v160, v37
	v_and_b32_e32 v49, v161, v49
	s_delay_alu instid0(VALU_DEP_4) | instskip(NEXT) | instid1(VALU_DEP_2)
	v_bfe_u32 v164, v163, 20, 1
	v_cmp_eq_u32_e64 s11, v49, v165
	s_delay_alu instid0(VALU_DEP_2) | instskip(NEXT) | instid1(VALU_DEP_1)
	v_add_nc_u32_e32 v161, -1, v164
	v_cndmask_b32_e64 v49, 0, v161, s11
	v_lshrrev_b32_e32 v161, 23, v163
	s_mov_b32 s11, exec_lo
	s_delay_alu instid0(VALU_DEP_2) | instskip(NEXT) | instid1(VALU_DEP_2)
	v_add_nc_u32_e32 v49, v49, v163
	v_xor_b32_e32 v161, 1, v161
	s_delay_alu instid0(VALU_DEP_2) | instskip(NEXT) | instid1(VALU_DEP_1)
	v_and_b32_e32 v37, 0xfffff, v49
	v_add_nc_u32_e32 v49, v37, v163
                                        ; implicit-def: $vgpr37
	s_delay_alu instid0(VALU_DEP_3)
	v_cmpx_ne_u32_e64 v160, v161
	s_xor_b32 s11, exec_lo, s11
; %bb.370:                              ;   in Loop: Header=BB6_143 Depth=2
	s_delay_alu instid0(VALU_DEP_2) | instskip(SKIP_2) | instid1(VALU_DEP_2)
	v_cmp_lt_u32_e32 vcc_lo, 0xffffff, v49
	v_sub_nc_u32_e32 v37, v160, v161
	v_cndmask_b32_e64 v160, 0, 1, vcc_lo
	v_add_co_ci_u32_e32 v37, vcc_lo, 0, v37, vcc_lo
	s_delay_alu instid0(VALU_DEP_2)
	v_lshrrev_b32_e32 v49, v160, v49
; %bb.371:                              ;   in Loop: Header=BB6_143 Depth=2
	s_and_not1_saveexec_b32 s11, s11
; %bb.372:                              ;   in Loop: Header=BB6_143 Depth=2
	s_delay_alu instid0(VALU_DEP_1)
	v_bfe_u32 v37, v49, 23, 1
; %bb.373:                              ;   in Loop: Header=BB6_143 Depth=2
	s_or_b32 exec_lo, exec_lo, s11
	v_lshrrev_b32_e32 v49, 20, v49
	s_delay_alu instid0(VALU_DEP_2) | instskip(SKIP_2) | instid1(VALU_DEP_2)
	v_cmp_gt_i32_e32 vcc_lo, 16, v37
	v_min_i32_e32 v160, 15, v37
	v_lshrrev_b32_e32 v161, 24, v162
	v_dual_cndmask_b32 v49, 7, v49 :: v_dual_lshlrev_b32 v160, 3, v160
	s_delay_alu instid0(VALU_DEP_2) | instskip(NEXT) | instid1(VALU_DEP_2)
	v_and_b32_e32 v161, 0x80, v161
	v_or_b32_e32 v37, v37, v49
	v_and_b32_e32 v162, 7, v49
	s_delay_alu instid0(VALU_DEP_2) | instskip(SKIP_1) | instid1(VALU_DEP_1)
	v_cmp_ne_u32_e32 vcc_lo, 0, v37
	v_and_b32_e32 v160, 0xf8, v160
	v_or3_b32 v160, v161, v160, v162
	s_delay_alu instid0(VALU_DEP_1) | instskip(NEXT) | instid1(VALU_DEP_1)
	v_lshlrev_b32_e32 v49, 8, v160
	v_cndmask_b32_e32 v37, 0, v49, vcc_lo
.LBB6_374:                              ;   in Loop: Header=BB6_143 Depth=2
	s_or_b32 exec_lo, exec_lo, s27
.LBB6_375:                              ;   in Loop: Header=BB6_143 Depth=2
	s_delay_alu instid0(SALU_CYCLE_1) | instskip(NEXT) | instid1(SALU_CYCLE_1)
	s_or_b32 exec_lo, exec_lo, s26
	s_and_b32 vcc_lo, exec_lo, s25
	s_cbranch_vccz .LBB6_385
; %bb.376:                              ;   in Loop: Header=BB6_143 Depth=2
	v_and_b32_e32 v160, 0xff, v50
	s_mov_b32 s11, 0
	s_mov_b32 s27, exec_lo
                                        ; implicit-def: $sgpr26
	s_delay_alu instid0(VALU_DEP_1)
	v_cmpx_lt_i16_e64 0x7f, v160
	s_xor_b32 s27, exec_lo, s27
	s_cbranch_execnz .LBB6_2125
; %bb.377:                              ;   in Loop: Header=BB6_143 Depth=2
	s_or_saveexec_b32 s27, s27
	v_mov_b32_e32 v49, s26
	s_xor_b32 exec_lo, exec_lo, s27
	s_cbranch_execnz .LBB6_2128
.LBB6_378:                              ;   in Loop: Header=BB6_143 Depth=2
	s_or_b32 exec_lo, exec_lo, s27
	s_and_saveexec_b32 s26, s11
	s_cbranch_execz .LBB6_380
.LBB6_379:                              ;   in Loop: Header=BB6_143 Depth=2
	v_bfe_u32 v162, v50, 3, 4
	v_lshlrev_b32_e32 v163, 24, v50
	s_delay_alu instid0(VALU_DEP_2) | instskip(SKIP_1) | instid1(VALU_DEP_1)
	v_cmp_eq_u32_e32 vcc_lo, 0, v162
	v_and_b32_e32 v49, 7, v50
	v_clz_i32_u32_e32 v160, v49
	s_delay_alu instid0(VALU_DEP_1) | instskip(NEXT) | instid1(VALU_DEP_1)
	v_min_u32_e32 v160, 32, v160
	v_subrev_nc_u32_e32 v161, 28, v160
	v_sub_nc_u32_e32 v160, 29, v160
	s_delay_alu instid0(VALU_DEP_1) | instskip(NEXT) | instid1(VALU_DEP_1)
	v_dual_cndmask_b32 v160, v162, v160 :: v_dual_lshlrev_b32 v161, v161, v50
	v_and_b32_e32 v161, 7, v161
	s_delay_alu instid0(VALU_DEP_2) | instskip(NEXT) | instid1(VALU_DEP_2)
	v_lshl_add_u32 v160, v160, 23, 0x3b800000
	v_cndmask_b32_e32 v49, v49, v161, vcc_lo
	v_and_b32_e32 v161, 0x80000000, v163
	s_delay_alu instid0(VALU_DEP_2) | instskip(NEXT) | instid1(VALU_DEP_1)
	v_lshlrev_b32_e32 v49, 20, v49
	v_or3_b32 v49, v161, v160, v49
.LBB6_380:                              ;   in Loop: Header=BB6_143 Depth=2
	s_or_b32 exec_lo, exec_lo, s26
	v_and_b32_e32 v161, 0xff, v38
	s_mov_b32 s11, 0
	s_mov_b32 s27, exec_lo
                                        ; implicit-def: $sgpr26
	s_delay_alu instid0(VALU_DEP_1)
	v_cmpx_lt_i16_e64 0x7f, v161
	s_xor_b32 s27, exec_lo, s27
	s_cbranch_execnz .LBB6_2129
; %bb.381:                              ;   in Loop: Header=BB6_143 Depth=2
	s_or_saveexec_b32 s27, s27
	v_mov_b32_e32 v160, s26
	s_xor_b32 exec_lo, exec_lo, s27
	s_cbranch_execnz .LBB6_2132
.LBB6_382:                              ;   in Loop: Header=BB6_143 Depth=2
	s_or_b32 exec_lo, exec_lo, s27
	s_and_saveexec_b32 s26, s11
	s_cbranch_execz .LBB6_384
.LBB6_383:                              ;   in Loop: Header=BB6_143 Depth=2
	v_bfe_u32 v163, v38, 3, 4
	v_lshlrev_b32_e32 v164, 24, v38
	s_delay_alu instid0(VALU_DEP_2) | instskip(SKIP_1) | instid1(VALU_DEP_1)
	v_cmp_eq_u32_e32 vcc_lo, 0, v163
	v_and_b32_e32 v160, 7, v38
	v_clz_i32_u32_e32 v161, v160
	s_delay_alu instid0(VALU_DEP_1) | instskip(NEXT) | instid1(VALU_DEP_1)
	v_min_u32_e32 v161, 32, v161
	v_subrev_nc_u32_e32 v162, 28, v161
	v_sub_nc_u32_e32 v161, 29, v161
	s_delay_alu instid0(VALU_DEP_1) | instskip(NEXT) | instid1(VALU_DEP_1)
	v_dual_cndmask_b32 v161, v163, v161 :: v_dual_lshlrev_b32 v162, v162, v38
	v_and_b32_e32 v162, 7, v162
	s_delay_alu instid0(VALU_DEP_2) | instskip(NEXT) | instid1(VALU_DEP_2)
	v_lshl_add_u32 v161, v161, 23, 0x3b800000
	v_cndmask_b32_e32 v160, v160, v162, vcc_lo
	v_and_b32_e32 v162, 0x80000000, v164
	s_delay_alu instid0(VALU_DEP_2) | instskip(NEXT) | instid1(VALU_DEP_1)
	v_lshlrev_b32_e32 v160, 20, v160
	v_or3_b32 v160, v162, v161, v160
.LBB6_384:                              ;   in Loop: Header=BB6_143 Depth=2
	s_or_b32 exec_lo, exec_lo, s26
	s_delay_alu instid0(VALU_DEP_1) | instskip(SKIP_1) | instid1(VALU_DEP_1)
	v_dual_max_f32 v160, v160, v160 :: v_dual_max_f32 v49, v49, v49
	s_mov_b32 s11, 0
	v_max_f32_e32 v160, v49, v160
	s_branch .LBB6_386
.LBB6_385:                              ;   in Loop: Header=BB6_143 Depth=2
	s_mov_b32 s11, -1
                                        ; implicit-def: $vgpr160
.LBB6_386:                              ;   in Loop: Header=BB6_143 Depth=2
	s_delay_alu instid0(SALU_CYCLE_1)
	s_and_b32 vcc_lo, exec_lo, s11
	s_cbranch_vccz .LBB6_396
; %bb.387:                              ;   in Loop: Header=BB6_143 Depth=2
	v_and_b32_e32 v160, 0xff, v50
	s_mov_b32 s11, 0
	s_mov_b32 s27, exec_lo
                                        ; implicit-def: $sgpr26
	s_delay_alu instid0(VALU_DEP_1)
	v_cmpx_lt_i16_e64 0x7f, v160
	s_xor_b32 s27, exec_lo, s27
	s_cbranch_execnz .LBB6_2133
; %bb.388:                              ;   in Loop: Header=BB6_143 Depth=2
	s_or_saveexec_b32 s27, s27
	v_mov_b32_e32 v49, s26
	s_xor_b32 exec_lo, exec_lo, s27
	s_cbranch_execnz .LBB6_2136
.LBB6_389:                              ;   in Loop: Header=BB6_143 Depth=2
	s_or_b32 exec_lo, exec_lo, s27
	s_and_saveexec_b32 s26, s11
	s_cbranch_execz .LBB6_391
.LBB6_390:                              ;   in Loop: Header=BB6_143 Depth=2
	v_bfe_u32 v162, v50, 3, 4
	v_lshlrev_b32_e32 v163, 24, v50
	s_delay_alu instid0(VALU_DEP_2) | instskip(SKIP_1) | instid1(VALU_DEP_1)
	v_cmp_eq_u32_e32 vcc_lo, 0, v162
	v_and_b32_e32 v49, 7, v50
	v_clz_i32_u32_e32 v160, v49
	s_delay_alu instid0(VALU_DEP_1) | instskip(NEXT) | instid1(VALU_DEP_1)
	v_min_u32_e32 v160, 32, v160
	v_subrev_nc_u32_e32 v161, 28, v160
	v_sub_nc_u32_e32 v160, 29, v160
	s_delay_alu instid0(VALU_DEP_1) | instskip(NEXT) | instid1(VALU_DEP_1)
	v_dual_cndmask_b32 v160, v162, v160 :: v_dual_lshlrev_b32 v161, v161, v50
	v_and_b32_e32 v161, 7, v161
	s_delay_alu instid0(VALU_DEP_2) | instskip(NEXT) | instid1(VALU_DEP_2)
	v_lshl_add_u32 v160, v160, 23, 0x3b800000
	v_cndmask_b32_e32 v49, v49, v161, vcc_lo
	v_and_b32_e32 v161, 0x80000000, v163
	s_delay_alu instid0(VALU_DEP_2) | instskip(NEXT) | instid1(VALU_DEP_1)
	v_lshlrev_b32_e32 v49, 20, v49
	v_or3_b32 v49, v161, v160, v49
.LBB6_391:                              ;   in Loop: Header=BB6_143 Depth=2
	s_or_b32 exec_lo, exec_lo, s26
	v_and_b32_e32 v161, 0xff, v38
	s_mov_b32 s11, 0
	s_mov_b32 s27, exec_lo
                                        ; implicit-def: $sgpr26
	s_delay_alu instid0(VALU_DEP_1)
	v_cmpx_lt_i16_e64 0x7f, v161
	s_xor_b32 s27, exec_lo, s27
	s_cbranch_execnz .LBB6_2137
; %bb.392:                              ;   in Loop: Header=BB6_143 Depth=2
	s_or_saveexec_b32 s27, s27
	v_mov_b32_e32 v160, s26
	s_xor_b32 exec_lo, exec_lo, s27
	s_cbranch_execnz .LBB6_2140
.LBB6_393:                              ;   in Loop: Header=BB6_143 Depth=2
	s_or_b32 exec_lo, exec_lo, s27
	s_and_saveexec_b32 s26, s11
	s_cbranch_execz .LBB6_395
.LBB6_394:                              ;   in Loop: Header=BB6_143 Depth=2
	v_bfe_u32 v163, v38, 3, 4
	v_lshlrev_b32_e32 v164, 24, v38
	s_delay_alu instid0(VALU_DEP_2) | instskip(SKIP_1) | instid1(VALU_DEP_1)
	v_cmp_eq_u32_e32 vcc_lo, 0, v163
	v_and_b32_e32 v160, 7, v38
	v_clz_i32_u32_e32 v161, v160
	s_delay_alu instid0(VALU_DEP_1) | instskip(NEXT) | instid1(VALU_DEP_1)
	v_min_u32_e32 v161, 32, v161
	v_subrev_nc_u32_e32 v162, 28, v161
	v_sub_nc_u32_e32 v161, 29, v161
	s_delay_alu instid0(VALU_DEP_1) | instskip(NEXT) | instid1(VALU_DEP_1)
	v_dual_cndmask_b32 v161, v163, v161 :: v_dual_lshlrev_b32 v162, v162, v38
	v_and_b32_e32 v162, 7, v162
	s_delay_alu instid0(VALU_DEP_2) | instskip(NEXT) | instid1(VALU_DEP_2)
	v_lshl_add_u32 v161, v161, 23, 0x3b800000
	v_cndmask_b32_e32 v160, v160, v162, vcc_lo
	v_and_b32_e32 v162, 0x80000000, v164
	s_delay_alu instid0(VALU_DEP_2) | instskip(NEXT) | instid1(VALU_DEP_1)
	v_lshlrev_b32_e32 v160, 20, v160
	v_or3_b32 v160, v162, v161, v160
.LBB6_395:                              ;   in Loop: Header=BB6_143 Depth=2
	s_or_b32 exec_lo, exec_lo, s26
	s_delay_alu instid0(VALU_DEP_1) | instskip(NEXT) | instid1(VALU_DEP_1)
	v_dual_max_f32 v160, v160, v160 :: v_dual_max_f32 v49, v49, v49
	v_min_f32_e32 v160, v49, v160
.LBB6_396:                              ;   in Loop: Header=BB6_143 Depth=2
	s_delay_alu instid0(VALU_DEP_1) | instskip(NEXT) | instid1(VALU_DEP_1)
	v_and_b32_e32 v49, 0x7f800000, v160
	v_cmp_ne_u32_e32 vcc_lo, 0x7f800000, v49
	v_mov_b32_e32 v49, 0x80
	s_and_saveexec_b32 s26, vcc_lo
	s_cbranch_execz .LBB6_404
; %bb.397:                              ;   in Loop: Header=BB6_143 Depth=2
	v_mov_b32_e32 v49, 0
	s_mov_b32 s27, exec_lo
	v_cmpx_ne_u32_e32 0, v160
	s_cbranch_execz .LBB6_403
; %bb.398:                              ;   in Loop: Header=BB6_143 Depth=2
	v_bfe_u32 v49, v160, 23, 8
	s_delay_alu instid0(VALU_DEP_1) | instskip(SKIP_1) | instid1(VALU_DEP_2)
	v_sub_nc_u32_e32 v162, 0x78, v49
	v_cmp_gt_u32_e32 vcc_lo, 0x79, v49
	v_dual_cndmask_b32 v162, 0, v162 :: v_dual_and_b32 v161, 0x7fffff, v160
	s_delay_alu instid0(VALU_DEP_1) | instskip(SKIP_2) | instid1(VALU_DEP_4)
	v_or_b32_e32 v163, 0x800000, v161
	v_cmp_eq_u32_e32 vcc_lo, 0, v49
	v_add_nc_u32_e32 v49, 0xffffff89, v49
	v_cndmask_b32_e64 v162, v162, 0x77, vcc_lo
	s_delay_alu instid0(VALU_DEP_4) | instskip(NEXT) | instid1(VALU_DEP_3)
	v_cndmask_b32_e32 v161, v163, v161, vcc_lo
	v_cndmask_b32_e64 v49, v49, 0xffffff8a, vcc_lo
	s_delay_alu instid0(VALU_DEP_3) | instskip(NEXT) | instid1(VALU_DEP_3)
	v_lshl_add_u32 v163, 0x100000, v162, -1
	v_lshrrev_b32_e32 v164, v162, v161
	v_lshlrev_b32_e64 v166, v162, 0x80000
	s_delay_alu instid0(VALU_DEP_4) | instskip(NEXT) | instid1(VALU_DEP_4)
	v_add_nc_u32_e32 v162, v162, v49
	v_and_b32_e32 v161, v163, v161
	s_delay_alu instid0(VALU_DEP_4) | instskip(NEXT) | instid1(VALU_DEP_2)
	v_bfe_u32 v165, v164, 20, 1
	v_cmp_eq_u32_e64 s11, v161, v166
	s_delay_alu instid0(VALU_DEP_2) | instskip(NEXT) | instid1(VALU_DEP_1)
	v_add_nc_u32_e32 v163, -1, v165
	v_cndmask_b32_e64 v161, 0, v163, s11
	v_lshrrev_b32_e32 v163, 23, v164
	s_mov_b32 s11, exec_lo
	s_delay_alu instid0(VALU_DEP_2) | instskip(NEXT) | instid1(VALU_DEP_2)
	v_add_nc_u32_e32 v161, v161, v164
	v_xor_b32_e32 v163, 1, v163
	s_delay_alu instid0(VALU_DEP_2) | instskip(NEXT) | instid1(VALU_DEP_1)
	v_and_b32_e32 v49, 0xfffff, v161
	v_add_nc_u32_e32 v161, v49, v164
                                        ; implicit-def: $vgpr49
	s_delay_alu instid0(VALU_DEP_3)
	v_cmpx_ne_u32_e64 v162, v163
	s_xor_b32 s11, exec_lo, s11
; %bb.399:                              ;   in Loop: Header=BB6_143 Depth=2
	s_delay_alu instid0(VALU_DEP_2) | instskip(SKIP_2) | instid1(VALU_DEP_2)
	v_cmp_lt_u32_e32 vcc_lo, 0xffffff, v161
	v_sub_nc_u32_e32 v49, v162, v163
	v_cndmask_b32_e64 v162, 0, 1, vcc_lo
	v_add_co_ci_u32_e32 v49, vcc_lo, 0, v49, vcc_lo
	s_delay_alu instid0(VALU_DEP_2)
	v_lshrrev_b32_e32 v161, v162, v161
; %bb.400:                              ;   in Loop: Header=BB6_143 Depth=2
	s_and_not1_saveexec_b32 s11, s11
; %bb.401:                              ;   in Loop: Header=BB6_143 Depth=2
	s_delay_alu instid0(VALU_DEP_1)
	v_bfe_u32 v49, v161, 23, 1
; %bb.402:                              ;   in Loop: Header=BB6_143 Depth=2
	s_or_b32 exec_lo, exec_lo, s11
	v_lshrrev_b32_e32 v161, 20, v161
	s_delay_alu instid0(VALU_DEP_2) | instskip(SKIP_2) | instid1(VALU_DEP_2)
	v_cmp_gt_i32_e32 vcc_lo, 16, v49
	v_lshrrev_b32_e32 v160, 24, v160
	v_min_i32_e32 v162, 15, v49
	v_dual_cndmask_b32 v161, 7, v161 :: v_dual_and_b32 v160, 0x80, v160
	s_delay_alu instid0(VALU_DEP_1) | instskip(SKIP_1) | instid1(VALU_DEP_2)
	v_or_b32_e32 v49, v49, v161
	v_and_b32_e32 v163, 7, v161
	v_cmp_ne_u32_e32 vcc_lo, 0, v49
	v_lshlrev_b32_e32 v162, 3, v162
	s_delay_alu instid0(VALU_DEP_1) | instskip(NEXT) | instid1(VALU_DEP_1)
	v_or3_b32 v160, v162, v160, v163
	v_cndmask_b32_e32 v49, 0, v160, vcc_lo
.LBB6_403:                              ;   in Loop: Header=BB6_143 Depth=2
	s_or_b32 exec_lo, exec_lo, s27
.LBB6_404:                              ;   in Loop: Header=BB6_143 Depth=2
	s_delay_alu instid0(SALU_CYCLE_1)
	s_or_b32 exec_lo, exec_lo, s26
	v_lshrrev_b16 v161, 8, v50
	v_lshrrev_b16 v160, 8, v38
	s_and_b32 vcc_lo, exec_lo, s25
	s_cbranch_vccz .LBB6_414
; %bb.405:                              ;   in Loop: Header=BB6_143 Depth=2
	s_mov_b32 s11, 0
	s_mov_b32 s27, exec_lo
                                        ; implicit-def: $sgpr26
	v_cmpx_lt_i16_e64 0x7f, v161
	s_xor_b32 s27, exec_lo, s27
	s_cbranch_execnz .LBB6_2141
; %bb.406:                              ;   in Loop: Header=BB6_143 Depth=2
	s_or_saveexec_b32 s27, s27
	v_mov_b32_e32 v162, s26
	s_xor_b32 exec_lo, exec_lo, s27
	s_cbranch_execnz .LBB6_2144
.LBB6_407:                              ;   in Loop: Header=BB6_143 Depth=2
	s_or_b32 exec_lo, exec_lo, s27
	s_and_saveexec_b32 s26, s11
	s_cbranch_execz .LBB6_409
.LBB6_408:                              ;   in Loop: Header=BB6_143 Depth=2
	v_and_b32_e32 v162, 0xffff, v161
	s_delay_alu instid0(VALU_DEP_1) | instskip(NEXT) | instid1(VALU_DEP_1)
	v_and_b32_e32 v163, 7, v162
	v_clz_i32_u32_e32 v164, v163
	s_delay_alu instid0(VALU_DEP_1) | instskip(NEXT) | instid1(VALU_DEP_1)
	v_min_u32_e32 v164, 32, v164
	v_subrev_nc_u32_e32 v165, 28, v164
	v_sub_nc_u32_e32 v164, 29, v164
	s_delay_alu instid0(VALU_DEP_2) | instskip(SKIP_1) | instid1(VALU_DEP_2)
	v_lshlrev_b32_e32 v165, v165, v162
	v_bfe_u32 v162, v162, 3, 4
	v_and_b32_e32 v165, 7, v165
	s_delay_alu instid0(VALU_DEP_2) | instskip(SKIP_1) | instid1(VALU_DEP_3)
	v_cmp_eq_u32_e32 vcc_lo, 0, v162
	v_cndmask_b32_e32 v162, v162, v164, vcc_lo
	v_dual_cndmask_b32 v163, v163, v165 :: v_dual_lshlrev_b32 v166, 16, v50
	s_delay_alu instid0(VALU_DEP_2) | instskip(NEXT) | instid1(VALU_DEP_2)
	v_lshl_add_u32 v162, v162, 23, 0x3b800000
	v_and_b32_e32 v164, 0x80000000, v166
	s_delay_alu instid0(VALU_DEP_3) | instskip(NEXT) | instid1(VALU_DEP_1)
	v_lshlrev_b32_e32 v163, 20, v163
	v_or3_b32 v162, v164, v162, v163
.LBB6_409:                              ;   in Loop: Header=BB6_143 Depth=2
	s_or_b32 exec_lo, exec_lo, s26
	s_mov_b32 s11, 0
	s_mov_b32 s27, exec_lo
                                        ; implicit-def: $sgpr26
	v_cmpx_lt_i16_e64 0x7f, v160
	s_xor_b32 s27, exec_lo, s27
	s_cbranch_execnz .LBB6_2145
; %bb.410:                              ;   in Loop: Header=BB6_143 Depth=2
	s_or_saveexec_b32 s27, s27
	v_mov_b32_e32 v163, s26
	s_xor_b32 exec_lo, exec_lo, s27
	s_cbranch_execnz .LBB6_2148
.LBB6_411:                              ;   in Loop: Header=BB6_143 Depth=2
	s_or_b32 exec_lo, exec_lo, s27
	s_and_saveexec_b32 s26, s11
	s_cbranch_execz .LBB6_413
.LBB6_412:                              ;   in Loop: Header=BB6_143 Depth=2
	v_and_b32_e32 v163, 0xffff, v160
	v_lshlrev_b32_e32 v167, 16, v38
	s_delay_alu instid0(VALU_DEP_2) | instskip(NEXT) | instid1(VALU_DEP_1)
	v_and_b32_e32 v164, 7, v163
	v_clz_i32_u32_e32 v165, v164
	s_delay_alu instid0(VALU_DEP_1) | instskip(NEXT) | instid1(VALU_DEP_1)
	v_min_u32_e32 v165, 32, v165
	v_subrev_nc_u32_e32 v166, 28, v165
	v_sub_nc_u32_e32 v165, 29, v165
	s_delay_alu instid0(VALU_DEP_2) | instskip(SKIP_1) | instid1(VALU_DEP_2)
	v_lshlrev_b32_e32 v166, v166, v163
	v_bfe_u32 v163, v163, 3, 4
	v_and_b32_e32 v166, 7, v166
	s_delay_alu instid0(VALU_DEP_2) | instskip(NEXT) | instid1(VALU_DEP_2)
	v_cmp_eq_u32_e32 vcc_lo, 0, v163
	v_dual_cndmask_b32 v163, v163, v165 :: v_dual_cndmask_b32 v164, v164, v166
	v_and_b32_e32 v165, 0x80000000, v167
	s_delay_alu instid0(VALU_DEP_2) | instskip(NEXT) | instid1(VALU_DEP_3)
	v_lshl_add_u32 v163, v163, 23, 0x3b800000
	v_lshlrev_b32_e32 v164, 20, v164
	s_delay_alu instid0(VALU_DEP_1)
	v_or3_b32 v163, v165, v163, v164
.LBB6_413:                              ;   in Loop: Header=BB6_143 Depth=2
	s_or_b32 exec_lo, exec_lo, s26
	s_delay_alu instid0(VALU_DEP_1) | instskip(SKIP_1) | instid1(VALU_DEP_1)
	v_dual_max_f32 v163, v163, v163 :: v_dual_max_f32 v162, v162, v162
	s_mov_b32 s11, 0
	v_max_f32_e32 v162, v162, v163
	s_branch .LBB6_415
.LBB6_414:                              ;   in Loop: Header=BB6_143 Depth=2
	s_mov_b32 s11, -1
                                        ; implicit-def: $vgpr162
.LBB6_415:                              ;   in Loop: Header=BB6_143 Depth=2
	s_delay_alu instid0(SALU_CYCLE_1)
	s_and_b32 vcc_lo, exec_lo, s11
	s_cbranch_vccz .LBB6_425
; %bb.416:                              ;   in Loop: Header=BB6_143 Depth=2
	s_mov_b32 s11, 0
	s_mov_b32 s27, exec_lo
                                        ; implicit-def: $sgpr26
	v_cmpx_lt_i16_e64 0x7f, v161
	s_xor_b32 s27, exec_lo, s27
	s_cbranch_execnz .LBB6_2149
; %bb.417:                              ;   in Loop: Header=BB6_143 Depth=2
	s_or_saveexec_b32 s27, s27
	v_mov_b32_e32 v162, s26
	s_xor_b32 exec_lo, exec_lo, s27
	s_cbranch_execnz .LBB6_2152
.LBB6_418:                              ;   in Loop: Header=BB6_143 Depth=2
	s_or_b32 exec_lo, exec_lo, s27
	s_and_saveexec_b32 s26, s11
	s_cbranch_execz .LBB6_420
.LBB6_419:                              ;   in Loop: Header=BB6_143 Depth=2
	v_and_b32_e32 v161, 0xffff, v161
	v_lshlrev_b32_e32 v165, 16, v50
	s_delay_alu instid0(VALU_DEP_2) | instskip(NEXT) | instid1(VALU_DEP_1)
	v_and_b32_e32 v162, 7, v161
	v_clz_i32_u32_e32 v163, v162
	s_delay_alu instid0(VALU_DEP_1) | instskip(NEXT) | instid1(VALU_DEP_1)
	v_min_u32_e32 v163, 32, v163
	v_subrev_nc_u32_e32 v164, 28, v163
	v_sub_nc_u32_e32 v163, 29, v163
	s_delay_alu instid0(VALU_DEP_2) | instskip(SKIP_1) | instid1(VALU_DEP_2)
	v_lshlrev_b32_e32 v164, v164, v161
	v_bfe_u32 v161, v161, 3, 4
	v_and_b32_e32 v164, 7, v164
	s_delay_alu instid0(VALU_DEP_2) | instskip(NEXT) | instid1(VALU_DEP_2)
	v_cmp_eq_u32_e32 vcc_lo, 0, v161
	v_dual_cndmask_b32 v161, v161, v163 :: v_dual_cndmask_b32 v162, v162, v164
	v_and_b32_e32 v163, 0x80000000, v165
	s_delay_alu instid0(VALU_DEP_2) | instskip(NEXT) | instid1(VALU_DEP_3)
	v_lshl_add_u32 v161, v161, 23, 0x3b800000
	v_lshlrev_b32_e32 v162, 20, v162
	s_delay_alu instid0(VALU_DEP_1)
	v_or3_b32 v162, v163, v161, v162
.LBB6_420:                              ;   in Loop: Header=BB6_143 Depth=2
	s_or_b32 exec_lo, exec_lo, s26
	s_mov_b32 s11, 0
	s_mov_b32 s27, exec_lo
                                        ; implicit-def: $sgpr26
	v_cmpx_lt_i16_e64 0x7f, v160
	s_xor_b32 s27, exec_lo, s27
	s_cbranch_execnz .LBB6_2153
; %bb.421:                              ;   in Loop: Header=BB6_143 Depth=2
	s_or_saveexec_b32 s27, s27
	v_mov_b32_e32 v161, s26
	s_xor_b32 exec_lo, exec_lo, s27
	s_cbranch_execnz .LBB6_2156
.LBB6_422:                              ;   in Loop: Header=BB6_143 Depth=2
	s_or_b32 exec_lo, exec_lo, s27
	s_and_saveexec_b32 s26, s11
	s_cbranch_execz .LBB6_424
.LBB6_423:                              ;   in Loop: Header=BB6_143 Depth=2
	v_and_b32_e32 v160, 0xffff, v160
	v_lshlrev_b32_e32 v165, 16, v38
	s_delay_alu instid0(VALU_DEP_2) | instskip(NEXT) | instid1(VALU_DEP_1)
	v_and_b32_e32 v161, 7, v160
	v_clz_i32_u32_e32 v163, v161
	s_delay_alu instid0(VALU_DEP_1) | instskip(NEXT) | instid1(VALU_DEP_1)
	v_min_u32_e32 v163, 32, v163
	v_subrev_nc_u32_e32 v164, 28, v163
	v_sub_nc_u32_e32 v163, 29, v163
	s_delay_alu instid0(VALU_DEP_2) | instskip(SKIP_1) | instid1(VALU_DEP_2)
	v_lshlrev_b32_e32 v164, v164, v160
	v_bfe_u32 v160, v160, 3, 4
	v_and_b32_e32 v164, 7, v164
	s_delay_alu instid0(VALU_DEP_2) | instskip(NEXT) | instid1(VALU_DEP_2)
	v_cmp_eq_u32_e32 vcc_lo, 0, v160
	v_dual_cndmask_b32 v160, v160, v163 :: v_dual_cndmask_b32 v161, v161, v164
	v_and_b32_e32 v163, 0x80000000, v165
	s_delay_alu instid0(VALU_DEP_2) | instskip(NEXT) | instid1(VALU_DEP_3)
	v_lshl_add_u32 v160, v160, 23, 0x3b800000
	v_lshlrev_b32_e32 v161, 20, v161
	s_delay_alu instid0(VALU_DEP_1)
	v_or3_b32 v161, v163, v160, v161
.LBB6_424:                              ;   in Loop: Header=BB6_143 Depth=2
	s_or_b32 exec_lo, exec_lo, s26
	s_delay_alu instid0(VALU_DEP_1) | instskip(NEXT) | instid1(VALU_DEP_1)
	v_dual_max_f32 v160, v161, v161 :: v_dual_max_f32 v161, v162, v162
	v_min_f32_e32 v162, v161, v160
.LBB6_425:                              ;   in Loop: Header=BB6_143 Depth=2
	s_delay_alu instid0(VALU_DEP_1) | instskip(NEXT) | instid1(VALU_DEP_1)
	v_and_b32_e32 v160, 0x7f800000, v162
	v_cmp_ne_u32_e32 vcc_lo, 0x7f800000, v160
	v_mov_b32_e32 v160, 0x80
	s_and_saveexec_b32 s26, vcc_lo
	s_cbranch_execz .LBB6_433
; %bb.426:                              ;   in Loop: Header=BB6_143 Depth=2
	v_mov_b32_e32 v160, 0
	s_mov_b32 s27, exec_lo
	v_cmpx_ne_u32_e32 0, v162
	s_cbranch_execz .LBB6_432
; %bb.427:                              ;   in Loop: Header=BB6_143 Depth=2
	v_bfe_u32 v160, v162, 23, 8
	v_and_b32_e32 v161, 0x7fffff, v162
	s_delay_alu instid0(VALU_DEP_2) | instskip(SKIP_1) | instid1(VALU_DEP_3)
	v_sub_nc_u32_e32 v163, 0x78, v160
	v_cmp_gt_u32_e32 vcc_lo, 0x79, v160
	v_or_b32_e32 v164, 0x800000, v161
	s_delay_alu instid0(VALU_DEP_3) | instskip(SKIP_2) | instid1(VALU_DEP_3)
	v_cndmask_b32_e32 v163, 0, v163, vcc_lo
	v_cmp_eq_u32_e32 vcc_lo, 0, v160
	v_add_nc_u32_e32 v160, 0xffffff89, v160
	v_cndmask_b32_e64 v163, v163, 0x77, vcc_lo
	v_cndmask_b32_e32 v161, v164, v161, vcc_lo
	s_delay_alu instid0(VALU_DEP_3) | instskip(NEXT) | instid1(VALU_DEP_3)
	v_cndmask_b32_e64 v160, v160, 0xffffff8a, vcc_lo
	v_lshl_add_u32 v164, 0x100000, v163, -1
	s_delay_alu instid0(VALU_DEP_3) | instskip(SKIP_1) | instid1(VALU_DEP_4)
	v_lshrrev_b32_e32 v165, v163, v161
	v_lshlrev_b32_e64 v167, v163, 0x80000
	v_add_nc_u32_e32 v163, v163, v160
	s_delay_alu instid0(VALU_DEP_4) | instskip(NEXT) | instid1(VALU_DEP_4)
	v_and_b32_e32 v161, v164, v161
	v_bfe_u32 v166, v165, 20, 1
	s_delay_alu instid0(VALU_DEP_2) | instskip(NEXT) | instid1(VALU_DEP_2)
	v_cmp_eq_u32_e64 s11, v161, v167
	v_add_nc_u32_e32 v164, -1, v166
	s_delay_alu instid0(VALU_DEP_1) | instskip(SKIP_2) | instid1(VALU_DEP_2)
	v_cndmask_b32_e64 v161, 0, v164, s11
	v_lshrrev_b32_e32 v164, 23, v165
	s_mov_b32 s11, exec_lo
	v_add_nc_u32_e32 v161, v161, v165
	s_delay_alu instid0(VALU_DEP_2) | instskip(NEXT) | instid1(VALU_DEP_2)
	v_xor_b32_e32 v164, 1, v164
	v_and_b32_e32 v160, 0xfffff, v161
	s_delay_alu instid0(VALU_DEP_1) | instskip(NEXT) | instid1(VALU_DEP_3)
	v_add_nc_u32_e32 v161, v160, v165
                                        ; implicit-def: $vgpr160
	v_cmpx_ne_u32_e64 v163, v164
	s_xor_b32 s11, exec_lo, s11
; %bb.428:                              ;   in Loop: Header=BB6_143 Depth=2
	s_delay_alu instid0(VALU_DEP_2) | instskip(SKIP_2) | instid1(VALU_DEP_2)
	v_cmp_lt_u32_e32 vcc_lo, 0xffffff, v161
	v_sub_nc_u32_e32 v160, v163, v164
	v_cndmask_b32_e64 v163, 0, 1, vcc_lo
	v_add_co_ci_u32_e32 v160, vcc_lo, 0, v160, vcc_lo
	s_delay_alu instid0(VALU_DEP_2)
	v_lshrrev_b32_e32 v161, v163, v161
; %bb.429:                              ;   in Loop: Header=BB6_143 Depth=2
	s_and_not1_saveexec_b32 s11, s11
; %bb.430:                              ;   in Loop: Header=BB6_143 Depth=2
	s_delay_alu instid0(VALU_DEP_1)
	v_bfe_u32 v160, v161, 23, 1
; %bb.431:                              ;   in Loop: Header=BB6_143 Depth=2
	s_or_b32 exec_lo, exec_lo, s11
	v_lshrrev_b32_e32 v161, 20, v161
	s_delay_alu instid0(VALU_DEP_2) | instskip(SKIP_2) | instid1(VALU_DEP_2)
	v_cmp_gt_i32_e32 vcc_lo, 16, v160
	v_lshrrev_b32_e32 v162, 24, v162
	v_min_i32_e32 v163, 15, v160
	v_dual_cndmask_b32 v161, 7, v161 :: v_dual_and_b32 v162, 0x80, v162
	s_delay_alu instid0(VALU_DEP_1) | instskip(SKIP_1) | instid1(VALU_DEP_2)
	v_or_b32_e32 v160, v160, v161
	v_and_b32_e32 v164, 7, v161
	v_cmp_ne_u32_e32 vcc_lo, 0, v160
	v_lshlrev_b32_e32 v163, 3, v163
	s_delay_alu instid0(VALU_DEP_1) | instskip(NEXT) | instid1(VALU_DEP_1)
	v_or3_b32 v161, v163, v162, v164
	v_cndmask_b32_e32 v160, 0, v161, vcc_lo
.LBB6_432:                              ;   in Loop: Header=BB6_143 Depth=2
	s_or_b32 exec_lo, exec_lo, s27
.LBB6_433:                              ;   in Loop: Header=BB6_143 Depth=2
	s_delay_alu instid0(SALU_CYCLE_1)
	s_or_b32 exec_lo, exec_lo, s26
	v_lshrrev_b32_e32 v162, 16, v50
	v_lshrrev_b32_e32 v161, 16, v38
	s_and_b32 vcc_lo, exec_lo, s25
	s_cbranch_vccz .LBB6_443
; %bb.434:                              ;   in Loop: Header=BB6_143 Depth=2
	s_delay_alu instid0(VALU_DEP_2) | instskip(SKIP_2) | instid1(VALU_DEP_1)
	v_and_b32_e32 v164, 0xff, v162
	s_mov_b32 s11, 0
	s_mov_b32 s27, exec_lo
                                        ; implicit-def: $sgpr26
	v_cmpx_lt_i16_e64 0x7f, v164
	s_xor_b32 s27, exec_lo, s27
	s_cbranch_execnz .LBB6_2157
; %bb.435:                              ;   in Loop: Header=BB6_143 Depth=2
	s_or_saveexec_b32 s27, s27
	v_mov_b32_e32 v163, s26
	s_xor_b32 exec_lo, exec_lo, s27
	s_cbranch_execnz .LBB6_2160
.LBB6_436:                              ;   in Loop: Header=BB6_143 Depth=2
	s_or_b32 exec_lo, exec_lo, s27
	s_and_saveexec_b32 s26, s11
	s_cbranch_execz .LBB6_438
.LBB6_437:                              ;   in Loop: Header=BB6_143 Depth=2
	v_bfe_u32 v163, v50, 16, 3
	v_bfe_u32 v166, v50, 19, 4
	v_lshlrev_b32_e32 v167, 24, v162
	s_delay_alu instid0(VALU_DEP_3) | instskip(NEXT) | instid1(VALU_DEP_3)
	v_clz_i32_u32_e32 v164, v163
	v_cmp_eq_u32_e32 vcc_lo, 0, v166
	s_delay_alu instid0(VALU_DEP_2) | instskip(NEXT) | instid1(VALU_DEP_1)
	v_min_u32_e32 v164, 32, v164
	v_subrev_nc_u32_e32 v165, 28, v164
	v_sub_nc_u32_e32 v164, 29, v164
	s_delay_alu instid0(VALU_DEP_1) | instskip(NEXT) | instid1(VALU_DEP_1)
	v_dual_cndmask_b32 v164, v166, v164 :: v_dual_lshlrev_b32 v165, v165, v162
	v_and_b32_e32 v165, 7, v165
	s_delay_alu instid0(VALU_DEP_2) | instskip(NEXT) | instid1(VALU_DEP_2)
	v_lshl_add_u32 v164, v164, 23, 0x3b800000
	v_cndmask_b32_e32 v163, v163, v165, vcc_lo
	v_and_b32_e32 v165, 0x80000000, v167
	s_delay_alu instid0(VALU_DEP_2) | instskip(NEXT) | instid1(VALU_DEP_1)
	v_lshlrev_b32_e32 v163, 20, v163
	v_or3_b32 v163, v165, v164, v163
.LBB6_438:                              ;   in Loop: Header=BB6_143 Depth=2
	s_or_b32 exec_lo, exec_lo, s26
	v_and_b32_e32 v165, 0xff, v161
	s_mov_b32 s11, 0
	s_mov_b32 s27, exec_lo
                                        ; implicit-def: $sgpr26
	s_delay_alu instid0(VALU_DEP_1)
	v_cmpx_lt_i16_e64 0x7f, v165
	s_xor_b32 s27, exec_lo, s27
	s_cbranch_execnz .LBB6_2161
; %bb.439:                              ;   in Loop: Header=BB6_143 Depth=2
	s_or_saveexec_b32 s27, s27
	v_mov_b32_e32 v164, s26
	s_xor_b32 exec_lo, exec_lo, s27
	s_cbranch_execnz .LBB6_2164
.LBB6_440:                              ;   in Loop: Header=BB6_143 Depth=2
	s_or_b32 exec_lo, exec_lo, s27
	s_and_saveexec_b32 s26, s11
	s_cbranch_execz .LBB6_442
.LBB6_441:                              ;   in Loop: Header=BB6_143 Depth=2
	v_bfe_u32 v164, v38, 16, 3
	v_bfe_u32 v167, v38, 19, 4
	v_lshlrev_b32_e32 v176, 24, v161
	s_delay_alu instid0(VALU_DEP_3) | instskip(NEXT) | instid1(VALU_DEP_3)
	v_clz_i32_u32_e32 v165, v164
	v_cmp_eq_u32_e32 vcc_lo, 0, v167
	s_delay_alu instid0(VALU_DEP_2) | instskip(NEXT) | instid1(VALU_DEP_1)
	v_min_u32_e32 v165, 32, v165
	v_subrev_nc_u32_e32 v166, 28, v165
	v_sub_nc_u32_e32 v165, 29, v165
	s_delay_alu instid0(VALU_DEP_2) | instskip(NEXT) | instid1(VALU_DEP_1)
	v_lshlrev_b32_e32 v166, v166, v161
	v_dual_cndmask_b32 v165, v167, v165 :: v_dual_and_b32 v166, 7, v166
	s_delay_alu instid0(VALU_DEP_1) | instskip(NEXT) | instid1(VALU_DEP_2)
	v_lshl_add_u32 v165, v165, 23, 0x3b800000
	v_cndmask_b32_e32 v164, v164, v166, vcc_lo
	v_and_b32_e32 v166, 0x80000000, v176
	s_delay_alu instid0(VALU_DEP_2) | instskip(NEXT) | instid1(VALU_DEP_1)
	v_lshlrev_b32_e32 v164, 20, v164
	v_or3_b32 v164, v166, v165, v164
.LBB6_442:                              ;   in Loop: Header=BB6_143 Depth=2
	s_or_b32 exec_lo, exec_lo, s26
	s_delay_alu instid0(VALU_DEP_1) | instskip(SKIP_1) | instid1(VALU_DEP_1)
	v_dual_max_f32 v164, v164, v164 :: v_dual_max_f32 v163, v163, v163
	s_mov_b32 s11, 0
	v_max_f32_e32 v163, v163, v164
	s_branch .LBB6_444
.LBB6_443:                              ;   in Loop: Header=BB6_143 Depth=2
	s_mov_b32 s11, -1
                                        ; implicit-def: $vgpr163
.LBB6_444:                              ;   in Loop: Header=BB6_143 Depth=2
	s_delay_alu instid0(SALU_CYCLE_1)
	s_and_b32 vcc_lo, exec_lo, s11
	s_cbranch_vccz .LBB6_454
; %bb.445:                              ;   in Loop: Header=BB6_143 Depth=2
	v_and_b32_e32 v164, 0xff, v162
	s_mov_b32 s11, 0
	s_mov_b32 s27, exec_lo
                                        ; implicit-def: $sgpr26
	s_delay_alu instid0(VALU_DEP_1)
	v_cmpx_lt_i16_e64 0x7f, v164
	s_xor_b32 s27, exec_lo, s27
	s_cbranch_execnz .LBB6_2165
; %bb.446:                              ;   in Loop: Header=BB6_143 Depth=2
	s_or_saveexec_b32 s27, s27
	v_mov_b32_e32 v163, s26
	s_xor_b32 exec_lo, exec_lo, s27
	s_cbranch_execnz .LBB6_2168
.LBB6_447:                              ;   in Loop: Header=BB6_143 Depth=2
	s_or_b32 exec_lo, exec_lo, s27
	s_and_saveexec_b32 s26, s11
	s_cbranch_execz .LBB6_449
.LBB6_448:                              ;   in Loop: Header=BB6_143 Depth=2
	v_bfe_u32 v163, v50, 16, 3
	v_bfe_u32 v166, v50, 19, 4
	s_delay_alu instid0(VALU_DEP_2) | instskip(NEXT) | instid1(VALU_DEP_2)
	v_clz_i32_u32_e32 v164, v163
	v_cmp_eq_u32_e32 vcc_lo, 0, v166
	s_delay_alu instid0(VALU_DEP_2) | instskip(NEXT) | instid1(VALU_DEP_1)
	v_min_u32_e32 v164, 32, v164
	v_subrev_nc_u32_e32 v165, 28, v164
	v_sub_nc_u32_e32 v164, 29, v164
	s_delay_alu instid0(VALU_DEP_1) | instskip(NEXT) | instid1(VALU_DEP_1)
	v_dual_cndmask_b32 v164, v166, v164 :: v_dual_lshlrev_b32 v165, v165, v162
	v_and_b32_e32 v165, 7, v165
	v_lshlrev_b32_e32 v162, 24, v162
	s_delay_alu instid0(VALU_DEP_3) | instskip(NEXT) | instid1(VALU_DEP_2)
	v_lshl_add_u32 v164, v164, 23, 0x3b800000
	v_dual_cndmask_b32 v163, v163, v165 :: v_dual_and_b32 v162, 0x80000000, v162
	s_delay_alu instid0(VALU_DEP_1) | instskip(NEXT) | instid1(VALU_DEP_1)
	v_lshlrev_b32_e32 v163, 20, v163
	v_or3_b32 v163, v162, v164, v163
.LBB6_449:                              ;   in Loop: Header=BB6_143 Depth=2
	s_or_b32 exec_lo, exec_lo, s26
	v_and_b32_e32 v164, 0xff, v161
	s_mov_b32 s11, 0
	s_mov_b32 s27, exec_lo
                                        ; implicit-def: $sgpr26
	s_delay_alu instid0(VALU_DEP_1)
	v_cmpx_lt_i16_e64 0x7f, v164
	s_xor_b32 s27, exec_lo, s27
	s_cbranch_execnz .LBB6_2169
; %bb.450:                              ;   in Loop: Header=BB6_143 Depth=2
	s_or_saveexec_b32 s27, s27
	v_mov_b32_e32 v162, s26
	s_xor_b32 exec_lo, exec_lo, s27
	s_cbranch_execnz .LBB6_2172
.LBB6_451:                              ;   in Loop: Header=BB6_143 Depth=2
	s_or_b32 exec_lo, exec_lo, s27
	s_and_saveexec_b32 s26, s11
	s_cbranch_execz .LBB6_453
.LBB6_452:                              ;   in Loop: Header=BB6_143 Depth=2
	v_bfe_u32 v162, v38, 16, 3
	v_bfe_u32 v166, v38, 19, 4
	s_delay_alu instid0(VALU_DEP_2) | instskip(NEXT) | instid1(VALU_DEP_2)
	v_clz_i32_u32_e32 v164, v162
	v_cmp_eq_u32_e32 vcc_lo, 0, v166
	s_delay_alu instid0(VALU_DEP_2) | instskip(NEXT) | instid1(VALU_DEP_1)
	v_min_u32_e32 v164, 32, v164
	v_subrev_nc_u32_e32 v165, 28, v164
	v_sub_nc_u32_e32 v164, 29, v164
	s_delay_alu instid0(VALU_DEP_1) | instskip(SKIP_1) | instid1(VALU_DEP_2)
	v_dual_cndmask_b32 v164, v166, v164 :: v_dual_lshlrev_b32 v165, v165, v161
	v_lshlrev_b32_e32 v161, 24, v161
	v_and_b32_e32 v165, 7, v165
	s_delay_alu instid0(VALU_DEP_3) | instskip(NEXT) | instid1(VALU_DEP_3)
	v_lshl_add_u32 v164, v164, 23, 0x3b800000
	v_and_b32_e32 v161, 0x80000000, v161
	s_delay_alu instid0(VALU_DEP_3) | instskip(NEXT) | instid1(VALU_DEP_1)
	v_cndmask_b32_e32 v162, v162, v165, vcc_lo
	v_lshlrev_b32_e32 v162, 20, v162
	s_delay_alu instid0(VALU_DEP_1)
	v_or3_b32 v162, v161, v164, v162
.LBB6_453:                              ;   in Loop: Header=BB6_143 Depth=2
	s_or_b32 exec_lo, exec_lo, s26
	s_delay_alu instid0(VALU_DEP_1) | instskip(NEXT) | instid1(VALU_DEP_1)
	v_dual_max_f32 v161, v162, v162 :: v_dual_max_f32 v162, v163, v163
	v_min_f32_e32 v163, v162, v161
.LBB6_454:                              ;   in Loop: Header=BB6_143 Depth=2
	s_delay_alu instid0(VALU_DEP_1) | instskip(NEXT) | instid1(VALU_DEP_1)
	v_and_b32_e32 v161, 0x7f800000, v163
	v_cmp_ne_u32_e32 vcc_lo, 0x7f800000, v161
	v_mov_b32_e32 v161, 0x80
	s_and_saveexec_b32 s26, vcc_lo
	s_cbranch_execz .LBB6_462
; %bb.455:                              ;   in Loop: Header=BB6_143 Depth=2
	v_mov_b32_e32 v161, 0
	s_mov_b32 s27, exec_lo
	v_cmpx_ne_u32_e32 0, v163
	s_cbranch_execz .LBB6_461
; %bb.456:                              ;   in Loop: Header=BB6_143 Depth=2
	v_bfe_u32 v161, v163, 23, 8
	v_and_b32_e32 v162, 0x7fffff, v163
	s_delay_alu instid0(VALU_DEP_2) | instskip(SKIP_1) | instid1(VALU_DEP_3)
	v_sub_nc_u32_e32 v164, 0x78, v161
	v_cmp_gt_u32_e32 vcc_lo, 0x79, v161
	v_or_b32_e32 v165, 0x800000, v162
	s_delay_alu instid0(VALU_DEP_3) | instskip(SKIP_2) | instid1(VALU_DEP_3)
	v_cndmask_b32_e32 v164, 0, v164, vcc_lo
	v_cmp_eq_u32_e32 vcc_lo, 0, v161
	v_add_nc_u32_e32 v161, 0xffffff89, v161
	v_cndmask_b32_e64 v164, v164, 0x77, vcc_lo
	v_cndmask_b32_e32 v162, v165, v162, vcc_lo
	s_delay_alu instid0(VALU_DEP_3) | instskip(NEXT) | instid1(VALU_DEP_3)
	v_cndmask_b32_e64 v161, v161, 0xffffff8a, vcc_lo
	v_lshl_add_u32 v165, 0x100000, v164, -1
	s_delay_alu instid0(VALU_DEP_3) | instskip(SKIP_1) | instid1(VALU_DEP_4)
	v_lshrrev_b32_e32 v166, v164, v162
	v_lshlrev_b32_e64 v176, v164, 0x80000
	v_add_nc_u32_e32 v164, v164, v161
	s_delay_alu instid0(VALU_DEP_4) | instskip(NEXT) | instid1(VALU_DEP_4)
	v_and_b32_e32 v162, v165, v162
	v_bfe_u32 v167, v166, 20, 1
	s_delay_alu instid0(VALU_DEP_2) | instskip(NEXT) | instid1(VALU_DEP_2)
	v_cmp_eq_u32_e64 s11, v162, v176
	v_add_nc_u32_e32 v165, -1, v167
	s_delay_alu instid0(VALU_DEP_1) | instskip(SKIP_2) | instid1(VALU_DEP_2)
	v_cndmask_b32_e64 v162, 0, v165, s11
	v_lshrrev_b32_e32 v165, 23, v166
	s_mov_b32 s11, exec_lo
	v_add_nc_u32_e32 v162, v162, v166
	s_delay_alu instid0(VALU_DEP_2) | instskip(NEXT) | instid1(VALU_DEP_2)
	v_xor_b32_e32 v165, 1, v165
	v_and_b32_e32 v161, 0xfffff, v162
	s_delay_alu instid0(VALU_DEP_1) | instskip(NEXT) | instid1(VALU_DEP_3)
	v_add_nc_u32_e32 v162, v161, v166
                                        ; implicit-def: $vgpr161
	v_cmpx_ne_u32_e64 v164, v165
	s_xor_b32 s11, exec_lo, s11
; %bb.457:                              ;   in Loop: Header=BB6_143 Depth=2
	s_delay_alu instid0(VALU_DEP_2) | instskip(SKIP_2) | instid1(VALU_DEP_2)
	v_cmp_lt_u32_e32 vcc_lo, 0xffffff, v162
	v_sub_nc_u32_e32 v161, v164, v165
	v_cndmask_b32_e64 v164, 0, 1, vcc_lo
	v_add_co_ci_u32_e32 v161, vcc_lo, 0, v161, vcc_lo
	s_delay_alu instid0(VALU_DEP_2)
	v_lshrrev_b32_e32 v162, v164, v162
; %bb.458:                              ;   in Loop: Header=BB6_143 Depth=2
	s_and_not1_saveexec_b32 s11, s11
; %bb.459:                              ;   in Loop: Header=BB6_143 Depth=2
	s_delay_alu instid0(VALU_DEP_1)
	v_bfe_u32 v161, v162, 23, 1
; %bb.460:                              ;   in Loop: Header=BB6_143 Depth=2
	s_or_b32 exec_lo, exec_lo, s11
	v_lshrrev_b32_e32 v162, 20, v162
	s_delay_alu instid0(VALU_DEP_2) | instskip(SKIP_2) | instid1(VALU_DEP_2)
	v_cmp_gt_i32_e32 vcc_lo, 16, v161
	v_lshrrev_b32_e32 v163, 24, v163
	v_min_i32_e32 v164, 15, v161
	v_dual_cndmask_b32 v162, 7, v162 :: v_dual_and_b32 v163, 0x80, v163
	s_delay_alu instid0(VALU_DEP_1) | instskip(SKIP_1) | instid1(VALU_DEP_2)
	v_or_b32_e32 v161, v161, v162
	v_and_b32_e32 v165, 7, v162
	v_cmp_ne_u32_e32 vcc_lo, 0, v161
	v_lshlrev_b32_e32 v164, 3, v164
	s_delay_alu instid0(VALU_DEP_1) | instskip(NEXT) | instid1(VALU_DEP_1)
	v_or3_b32 v162, v164, v163, v165
	v_cndmask_b32_e32 v161, 0, v162, vcc_lo
.LBB6_461:                              ;   in Loop: Header=BB6_143 Depth=2
	s_or_b32 exec_lo, exec_lo, s27
.LBB6_462:                              ;   in Loop: Header=BB6_143 Depth=2
	s_delay_alu instid0(SALU_CYCLE_1)
	s_or_b32 exec_lo, exec_lo, s26
	v_lshrrev_b32_e32 v163, 24, v50
	v_lshrrev_b32_e32 v162, 24, v38
	s_and_b32 vcc_lo, exec_lo, s25
	s_cbranch_vccz .LBB6_472
; %bb.463:                              ;   in Loop: Header=BB6_143 Depth=2
	s_mov_b32 s11, 0
	s_mov_b32 s27, exec_lo
                                        ; implicit-def: $sgpr26
	v_cmpx_lt_i16_e64 0x7f, v163
	s_xor_b32 s27, exec_lo, s27
	s_cbranch_execnz .LBB6_2173
; %bb.464:                              ;   in Loop: Header=BB6_143 Depth=2
	s_or_saveexec_b32 s27, s27
	v_mov_b32_e32 v164, s26
	s_xor_b32 exec_lo, exec_lo, s27
	s_cbranch_execnz .LBB6_2176
.LBB6_465:                              ;   in Loop: Header=BB6_143 Depth=2
	s_or_b32 exec_lo, exec_lo, s27
	s_and_saveexec_b32 s26, s11
	s_cbranch_execz .LBB6_467
.LBB6_466:                              ;   in Loop: Header=BB6_143 Depth=2
	v_bfe_u32 v164, v50, 24, 3
	v_bfe_u32 v167, v50, 27, 4
	s_delay_alu instid0(VALU_DEP_2) | instskip(NEXT) | instid1(VALU_DEP_2)
	v_clz_i32_u32_e32 v165, v164
	v_cmp_eq_u32_e32 vcc_lo, 0, v167
	s_delay_alu instid0(VALU_DEP_2) | instskip(NEXT) | instid1(VALU_DEP_1)
	v_min_u32_e32 v165, 32, v165
	v_subrev_nc_u32_e32 v166, 28, v165
	v_sub_nc_u32_e32 v165, 29, v165
	s_delay_alu instid0(VALU_DEP_1) | instskip(NEXT) | instid1(VALU_DEP_1)
	v_dual_cndmask_b32 v165, v167, v165 :: v_dual_lshlrev_b32 v166, v166, v163
	v_and_b32_e32 v166, 7, v166
	s_delay_alu instid0(VALU_DEP_2) | instskip(NEXT) | instid1(VALU_DEP_2)
	v_lshl_add_u32 v165, v165, 23, 0x3b800000
	v_cndmask_b32_e32 v164, v164, v166, vcc_lo
	v_and_b32_e32 v166, 0x80000000, v50
	s_delay_alu instid0(VALU_DEP_2) | instskip(NEXT) | instid1(VALU_DEP_1)
	v_lshlrev_b32_e32 v164, 20, v164
	v_or3_b32 v164, v166, v165, v164
.LBB6_467:                              ;   in Loop: Header=BB6_143 Depth=2
	s_or_b32 exec_lo, exec_lo, s26
	s_mov_b32 s11, 0
	s_mov_b32 s27, exec_lo
                                        ; implicit-def: $sgpr26
	v_cmpx_lt_i16_e64 0x7f, v162
	s_xor_b32 s27, exec_lo, s27
	s_cbranch_execnz .LBB6_2177
; %bb.468:                              ;   in Loop: Header=BB6_143 Depth=2
	s_or_saveexec_b32 s27, s27
	v_mov_b32_e32 v165, s26
	s_xor_b32 exec_lo, exec_lo, s27
	s_cbranch_execnz .LBB6_2180
.LBB6_469:                              ;   in Loop: Header=BB6_143 Depth=2
	s_or_b32 exec_lo, exec_lo, s27
	s_and_saveexec_b32 s26, s11
	s_cbranch_execz .LBB6_471
.LBB6_470:                              ;   in Loop: Header=BB6_143 Depth=2
	v_bfe_u32 v165, v38, 24, 3
	v_bfe_u32 v176, v38, 27, 4
	s_delay_alu instid0(VALU_DEP_2) | instskip(NEXT) | instid1(VALU_DEP_2)
	v_clz_i32_u32_e32 v166, v165
	v_cmp_eq_u32_e32 vcc_lo, 0, v176
	s_delay_alu instid0(VALU_DEP_2) | instskip(NEXT) | instid1(VALU_DEP_1)
	v_min_u32_e32 v166, 32, v166
	v_subrev_nc_u32_e32 v167, 28, v166
	v_sub_nc_u32_e32 v166, 29, v166
	s_delay_alu instid0(VALU_DEP_2) | instskip(NEXT) | instid1(VALU_DEP_1)
	v_lshlrev_b32_e32 v167, v167, v162
	v_dual_cndmask_b32 v166, v176, v166 :: v_dual_and_b32 v167, 7, v167
	s_delay_alu instid0(VALU_DEP_1) | instskip(NEXT) | instid1(VALU_DEP_2)
	v_lshl_add_u32 v166, v166, 23, 0x3b800000
	v_cndmask_b32_e32 v165, v165, v167, vcc_lo
	v_and_b32_e32 v167, 0x80000000, v38
	s_delay_alu instid0(VALU_DEP_2) | instskip(NEXT) | instid1(VALU_DEP_1)
	v_lshlrev_b32_e32 v165, 20, v165
	v_or3_b32 v165, v167, v166, v165
.LBB6_471:                              ;   in Loop: Header=BB6_143 Depth=2
	s_or_b32 exec_lo, exec_lo, s26
	s_delay_alu instid0(VALU_DEP_1) | instskip(SKIP_1) | instid1(VALU_DEP_1)
	v_dual_max_f32 v165, v165, v165 :: v_dual_max_f32 v164, v164, v164
	s_mov_b32 s11, 0
	v_max_f32_e32 v164, v164, v165
	s_branch .LBB6_473
.LBB6_472:                              ;   in Loop: Header=BB6_143 Depth=2
	s_mov_b32 s11, -1
                                        ; implicit-def: $vgpr164
.LBB6_473:                              ;   in Loop: Header=BB6_143 Depth=2
	s_delay_alu instid0(SALU_CYCLE_1)
	s_and_b32 vcc_lo, exec_lo, s11
	s_cbranch_vccz .LBB6_483
; %bb.474:                              ;   in Loop: Header=BB6_143 Depth=2
	s_mov_b32 s11, 0
	s_mov_b32 s27, exec_lo
                                        ; implicit-def: $sgpr26
	v_cmpx_lt_i16_e64 0x7f, v163
	s_xor_b32 s27, exec_lo, s27
	s_cbranch_execnz .LBB6_2181
; %bb.475:                              ;   in Loop: Header=BB6_143 Depth=2
	s_or_saveexec_b32 s27, s27
	v_mov_b32_e32 v164, s26
	s_xor_b32 exec_lo, exec_lo, s27
	s_cbranch_execnz .LBB6_2184
.LBB6_476:                              ;   in Loop: Header=BB6_143 Depth=2
	s_or_b32 exec_lo, exec_lo, s27
	s_and_saveexec_b32 s26, s11
	s_cbranch_execz .LBB6_478
.LBB6_477:                              ;   in Loop: Header=BB6_143 Depth=2
	v_bfe_u32 v164, v50, 24, 3
	s_delay_alu instid0(VALU_DEP_1) | instskip(NEXT) | instid1(VALU_DEP_1)
	v_clz_i32_u32_e32 v165, v164
	v_min_u32_e32 v165, 32, v165
	s_delay_alu instid0(VALU_DEP_1) | instskip(SKIP_1) | instid1(VALU_DEP_2)
	v_subrev_nc_u32_e32 v166, 28, v165
	v_sub_nc_u32_e32 v165, 29, v165
	v_lshlrev_b32_e32 v163, v166, v163
	v_bfe_u32 v166, v50, 27, 4
	v_and_b32_e32 v50, 0x80000000, v50
	s_delay_alu instid0(VALU_DEP_3) | instskip(NEXT) | instid1(VALU_DEP_3)
	v_and_b32_e32 v163, 7, v163
	v_cmp_eq_u32_e32 vcc_lo, 0, v166
	v_cndmask_b32_e32 v165, v166, v165, vcc_lo
	s_delay_alu instid0(VALU_DEP_3) | instskip(NEXT) | instid1(VALU_DEP_2)
	v_cndmask_b32_e32 v163, v164, v163, vcc_lo
	v_lshl_add_u32 v164, v165, 23, 0x3b800000
	s_delay_alu instid0(VALU_DEP_2) | instskip(NEXT) | instid1(VALU_DEP_1)
	v_lshlrev_b32_e32 v163, 20, v163
	v_or3_b32 v164, v50, v164, v163
.LBB6_478:                              ;   in Loop: Header=BB6_143 Depth=2
	s_or_b32 exec_lo, exec_lo, s26
	s_mov_b32 s11, 0
	s_mov_b32 s27, exec_lo
                                        ; implicit-def: $sgpr26
	v_cmpx_lt_i16_e64 0x7f, v162
	s_xor_b32 s27, exec_lo, s27
	s_cbranch_execnz .LBB6_2185
; %bb.479:                              ;   in Loop: Header=BB6_143 Depth=2
	s_or_saveexec_b32 s27, s27
	v_mov_b32_e32 v50, s26
	s_xor_b32 exec_lo, exec_lo, s27
	s_cbranch_execnz .LBB6_2188
.LBB6_480:                              ;   in Loop: Header=BB6_143 Depth=2
	s_or_b32 exec_lo, exec_lo, s27
	s_and_saveexec_b32 s26, s11
	s_cbranch_execz .LBB6_482
.LBB6_481:                              ;   in Loop: Header=BB6_143 Depth=2
	v_bfe_u32 v50, v38, 24, 3
	s_delay_alu instid0(VALU_DEP_1) | instskip(NEXT) | instid1(VALU_DEP_1)
	v_clz_i32_u32_e32 v163, v50
	v_min_u32_e32 v163, 32, v163
	s_delay_alu instid0(VALU_DEP_1) | instskip(SKIP_1) | instid1(VALU_DEP_2)
	v_subrev_nc_u32_e32 v165, 28, v163
	v_sub_nc_u32_e32 v163, 29, v163
	v_lshlrev_b32_e32 v162, v165, v162
	v_bfe_u32 v165, v38, 27, 4
	v_and_b32_e32 v38, 0x80000000, v38
	s_delay_alu instid0(VALU_DEP_2) | instskip(NEXT) | instid1(VALU_DEP_4)
	v_cmp_eq_u32_e32 vcc_lo, 0, v165
	v_dual_cndmask_b32 v163, v165, v163 :: v_dual_and_b32 v162, 7, v162
	s_delay_alu instid0(VALU_DEP_1) | instskip(NEXT) | instid1(VALU_DEP_2)
	v_cndmask_b32_e32 v50, v50, v162, vcc_lo
	v_lshl_add_u32 v162, v163, 23, 0x3b800000
	s_delay_alu instid0(VALU_DEP_2) | instskip(NEXT) | instid1(VALU_DEP_1)
	v_lshlrev_b32_e32 v50, 20, v50
	v_or3_b32 v50, v38, v162, v50
.LBB6_482:                              ;   in Loop: Header=BB6_143 Depth=2
	s_or_b32 exec_lo, exec_lo, s26
	s_delay_alu instid0(VALU_DEP_1) | instskip(SKIP_1) | instid1(VALU_DEP_1)
	v_max_f32_e32 v38, v50, v50
	v_max_f32_e32 v50, v164, v164
	v_min_f32_e32 v164, v50, v38
.LBB6_483:                              ;   in Loop: Header=BB6_143 Depth=2
	s_delay_alu instid0(VALU_DEP_1) | instskip(NEXT) | instid1(VALU_DEP_1)
	v_and_b32_e32 v38, 0x7f800000, v164
	v_cmp_ne_u32_e32 vcc_lo, 0x7f800000, v38
	v_mov_b32_e32 v38, 0x80
	s_and_saveexec_b32 s26, vcc_lo
	s_cbranch_execz .LBB6_491
; %bb.484:                              ;   in Loop: Header=BB6_143 Depth=2
	v_mov_b32_e32 v38, 0
	s_mov_b32 s27, exec_lo
	v_cmpx_ne_u32_e32 0, v164
	s_cbranch_execz .LBB6_490
; %bb.485:                              ;   in Loop: Header=BB6_143 Depth=2
	v_bfe_u32 v38, v164, 23, 8
	v_and_b32_e32 v50, 0x7fffff, v164
	s_delay_alu instid0(VALU_DEP_2) | instskip(SKIP_1) | instid1(VALU_DEP_3)
	v_sub_nc_u32_e32 v162, 0x78, v38
	v_cmp_gt_u32_e32 vcc_lo, 0x79, v38
	v_or_b32_e32 v163, 0x800000, v50
	s_delay_alu instid0(VALU_DEP_3) | instskip(SKIP_2) | instid1(VALU_DEP_3)
	v_cndmask_b32_e32 v162, 0, v162, vcc_lo
	v_cmp_eq_u32_e32 vcc_lo, 0, v38
	v_add_nc_u32_e32 v38, 0xffffff89, v38
	v_cndmask_b32_e64 v162, v162, 0x77, vcc_lo
	v_cndmask_b32_e32 v50, v163, v50, vcc_lo
	s_delay_alu instid0(VALU_DEP_3) | instskip(NEXT) | instid1(VALU_DEP_3)
	v_cndmask_b32_e64 v38, v38, 0xffffff8a, vcc_lo
	v_lshl_add_u32 v163, 0x100000, v162, -1
	s_delay_alu instid0(VALU_DEP_3) | instskip(SKIP_1) | instid1(VALU_DEP_4)
	v_lshrrev_b32_e32 v165, v162, v50
	v_lshlrev_b32_e64 v167, v162, 0x80000
	v_add_nc_u32_e32 v162, v162, v38
	s_delay_alu instid0(VALU_DEP_4) | instskip(NEXT) | instid1(VALU_DEP_4)
	v_and_b32_e32 v50, v163, v50
	v_bfe_u32 v166, v165, 20, 1
	s_delay_alu instid0(VALU_DEP_2) | instskip(NEXT) | instid1(VALU_DEP_2)
	v_cmp_eq_u32_e64 s11, v50, v167
	v_add_nc_u32_e32 v163, -1, v166
	s_delay_alu instid0(VALU_DEP_1) | instskip(SKIP_2) | instid1(VALU_DEP_2)
	v_cndmask_b32_e64 v50, 0, v163, s11
	v_lshrrev_b32_e32 v163, 23, v165
	s_mov_b32 s11, exec_lo
	v_add_nc_u32_e32 v50, v50, v165
	s_delay_alu instid0(VALU_DEP_2) | instskip(NEXT) | instid1(VALU_DEP_2)
	v_xor_b32_e32 v163, 1, v163
	v_and_b32_e32 v38, 0xfffff, v50
	s_delay_alu instid0(VALU_DEP_1) | instskip(NEXT) | instid1(VALU_DEP_3)
	v_add_nc_u32_e32 v50, v38, v165
                                        ; implicit-def: $vgpr38
	v_cmpx_ne_u32_e64 v162, v163
	s_xor_b32 s11, exec_lo, s11
; %bb.486:                              ;   in Loop: Header=BB6_143 Depth=2
	s_delay_alu instid0(VALU_DEP_2) | instskip(SKIP_2) | instid1(VALU_DEP_2)
	v_cmp_lt_u32_e32 vcc_lo, 0xffffff, v50
	v_sub_nc_u32_e32 v38, v162, v163
	v_cndmask_b32_e64 v162, 0, 1, vcc_lo
	v_add_co_ci_u32_e32 v38, vcc_lo, 0, v38, vcc_lo
	s_delay_alu instid0(VALU_DEP_2)
	v_lshrrev_b32_e32 v50, v162, v50
; %bb.487:                              ;   in Loop: Header=BB6_143 Depth=2
	s_and_not1_saveexec_b32 s11, s11
; %bb.488:                              ;   in Loop: Header=BB6_143 Depth=2
	s_delay_alu instid0(VALU_DEP_1)
	v_bfe_u32 v38, v50, 23, 1
; %bb.489:                              ;   in Loop: Header=BB6_143 Depth=2
	s_or_b32 exec_lo, exec_lo, s11
	v_lshrrev_b32_e32 v50, 20, v50
	s_delay_alu instid0(VALU_DEP_2) | instskip(SKIP_2) | instid1(VALU_DEP_4)
	v_cmp_gt_i32_e32 vcc_lo, 16, v38
	v_lshrrev_b32_e32 v162, 24, v164
	v_min_i32_e32 v163, 15, v38
	v_cndmask_b32_e32 v50, 7, v50, vcc_lo
	s_delay_alu instid0(VALU_DEP_3) | instskip(NEXT) | instid1(VALU_DEP_3)
	v_and_b32_e32 v162, 0x80, v162
	v_lshlrev_b32_e32 v163, 3, v163
	s_delay_alu instid0(VALU_DEP_3) | instskip(SKIP_1) | instid1(VALU_DEP_2)
	v_and_b32_e32 v164, 7, v50
	v_or_b32_e32 v38, v38, v50
	v_or3_b32 v50, v163, v162, v164
	s_delay_alu instid0(VALU_DEP_2) | instskip(NEXT) | instid1(VALU_DEP_2)
	v_cmp_ne_u32_e32 vcc_lo, 0, v38
	v_cndmask_b32_e32 v38, 0, v50, vcc_lo
.LBB6_490:                              ;   in Loop: Header=BB6_143 Depth=2
	s_or_b32 exec_lo, exec_lo, s27
.LBB6_491:                              ;   in Loop: Header=BB6_143 Depth=2
	s_delay_alu instid0(SALU_CYCLE_1) | instskip(NEXT) | instid1(SALU_CYCLE_1)
	s_or_b32 exec_lo, exec_lo, s26
	s_and_b32 vcc_lo, exec_lo, s25
	s_cbranch_vccz .LBB6_501
; %bb.492:                              ;   in Loop: Header=BB6_143 Depth=2
	v_and_b32_e32 v162, 0xff, v51
	s_mov_b32 s11, 0
	s_mov_b32 s27, exec_lo
                                        ; implicit-def: $sgpr26
	s_delay_alu instid0(VALU_DEP_1)
	v_cmpx_lt_i16_e64 0x7f, v162
	s_xor_b32 s27, exec_lo, s27
	s_cbranch_execnz .LBB6_2189
; %bb.493:                              ;   in Loop: Header=BB6_143 Depth=2
	s_or_saveexec_b32 s27, s27
	v_mov_b32_e32 v50, s26
	s_xor_b32 exec_lo, exec_lo, s27
	s_cbranch_execnz .LBB6_2192
.LBB6_494:                              ;   in Loop: Header=BB6_143 Depth=2
	s_or_b32 exec_lo, exec_lo, s27
	s_and_saveexec_b32 s26, s11
	s_cbranch_execz .LBB6_496
.LBB6_495:                              ;   in Loop: Header=BB6_143 Depth=2
	v_and_b32_e32 v50, 7, v51
	v_bfe_u32 v164, v51, 3, 4
	v_lshlrev_b32_e32 v165, 24, v51
	s_delay_alu instid0(VALU_DEP_3) | instskip(NEXT) | instid1(VALU_DEP_3)
	v_clz_i32_u32_e32 v162, v50
	v_cmp_eq_u32_e32 vcc_lo, 0, v164
	s_delay_alu instid0(VALU_DEP_2) | instskip(NEXT) | instid1(VALU_DEP_1)
	v_min_u32_e32 v162, 32, v162
	v_subrev_nc_u32_e32 v163, 28, v162
	v_sub_nc_u32_e32 v162, 29, v162
	s_delay_alu instid0(VALU_DEP_1) | instskip(NEXT) | instid1(VALU_DEP_1)
	v_dual_cndmask_b32 v162, v164, v162 :: v_dual_lshlrev_b32 v163, v163, v51
	v_and_b32_e32 v163, 7, v163
	s_delay_alu instid0(VALU_DEP_2) | instskip(NEXT) | instid1(VALU_DEP_2)
	v_lshl_add_u32 v162, v162, 23, 0x3b800000
	v_dual_cndmask_b32 v50, v50, v163 :: v_dual_and_b32 v163, 0x80000000, v165
	s_delay_alu instid0(VALU_DEP_1) | instskip(NEXT) | instid1(VALU_DEP_1)
	v_lshlrev_b32_e32 v50, 20, v50
	v_or3_b32 v50, v163, v162, v50
.LBB6_496:                              ;   in Loop: Header=BB6_143 Depth=2
	s_or_b32 exec_lo, exec_lo, s26
	v_and_b32_e32 v163, 0xff, v39
	s_mov_b32 s11, 0
	s_mov_b32 s27, exec_lo
                                        ; implicit-def: $sgpr26
	s_delay_alu instid0(VALU_DEP_1)
	v_cmpx_lt_i16_e64 0x7f, v163
	s_xor_b32 s27, exec_lo, s27
	s_cbranch_execnz .LBB6_2193
; %bb.497:                              ;   in Loop: Header=BB6_143 Depth=2
	s_or_saveexec_b32 s27, s27
	v_mov_b32_e32 v162, s26
	s_xor_b32 exec_lo, exec_lo, s27
	s_cbranch_execnz .LBB6_2196
.LBB6_498:                              ;   in Loop: Header=BB6_143 Depth=2
	s_or_b32 exec_lo, exec_lo, s27
	s_and_saveexec_b32 s26, s11
	s_cbranch_execz .LBB6_500
.LBB6_499:                              ;   in Loop: Header=BB6_143 Depth=2
	v_and_b32_e32 v162, 7, v39
	v_bfe_u32 v165, v39, 3, 4
	v_lshlrev_b32_e32 v166, 24, v39
	s_delay_alu instid0(VALU_DEP_3) | instskip(NEXT) | instid1(VALU_DEP_3)
	v_clz_i32_u32_e32 v163, v162
	v_cmp_eq_u32_e32 vcc_lo, 0, v165
	s_delay_alu instid0(VALU_DEP_2) | instskip(NEXT) | instid1(VALU_DEP_1)
	v_min_u32_e32 v163, 32, v163
	v_subrev_nc_u32_e32 v164, 28, v163
	v_sub_nc_u32_e32 v163, 29, v163
	s_delay_alu instid0(VALU_DEP_2) | instskip(NEXT) | instid1(VALU_DEP_1)
	v_lshlrev_b32_e32 v164, v164, v39
	v_dual_cndmask_b32 v163, v165, v163 :: v_dual_and_b32 v164, 7, v164
	s_delay_alu instid0(VALU_DEP_1) | instskip(NEXT) | instid1(VALU_DEP_2)
	v_lshl_add_u32 v163, v163, 23, 0x3b800000
	v_cndmask_b32_e32 v162, v162, v164, vcc_lo
	v_and_b32_e32 v164, 0x80000000, v166
	s_delay_alu instid0(VALU_DEP_2) | instskip(NEXT) | instid1(VALU_DEP_1)
	v_lshlrev_b32_e32 v162, 20, v162
	v_or3_b32 v162, v164, v163, v162
.LBB6_500:                              ;   in Loop: Header=BB6_143 Depth=2
	s_or_b32 exec_lo, exec_lo, s26
	s_delay_alu instid0(VALU_DEP_1) | instskip(SKIP_2) | instid1(VALU_DEP_1)
	v_max_f32_e32 v162, v162, v162
	v_max_f32_e32 v50, v50, v50
	s_mov_b32 s11, 0
	v_max_f32_e32 v162, v50, v162
	s_branch .LBB6_502
.LBB6_501:                              ;   in Loop: Header=BB6_143 Depth=2
	s_mov_b32 s11, -1
                                        ; implicit-def: $vgpr162
.LBB6_502:                              ;   in Loop: Header=BB6_143 Depth=2
	s_delay_alu instid0(SALU_CYCLE_1)
	s_and_b32 vcc_lo, exec_lo, s11
	s_cbranch_vccz .LBB6_512
; %bb.503:                              ;   in Loop: Header=BB6_143 Depth=2
	v_and_b32_e32 v162, 0xff, v51
	s_mov_b32 s11, 0
	s_mov_b32 s27, exec_lo
                                        ; implicit-def: $sgpr26
	s_delay_alu instid0(VALU_DEP_1)
	v_cmpx_lt_i16_e64 0x7f, v162
	s_xor_b32 s27, exec_lo, s27
	s_cbranch_execnz .LBB6_2197
; %bb.504:                              ;   in Loop: Header=BB6_143 Depth=2
	s_or_saveexec_b32 s27, s27
	v_mov_b32_e32 v50, s26
	s_xor_b32 exec_lo, exec_lo, s27
	s_cbranch_execnz .LBB6_2200
.LBB6_505:                              ;   in Loop: Header=BB6_143 Depth=2
	s_or_b32 exec_lo, exec_lo, s27
	s_and_saveexec_b32 s26, s11
	s_cbranch_execz .LBB6_507
.LBB6_506:                              ;   in Loop: Header=BB6_143 Depth=2
	v_and_b32_e32 v50, 7, v51
	v_bfe_u32 v164, v51, 3, 4
	v_lshlrev_b32_e32 v165, 24, v51
	s_delay_alu instid0(VALU_DEP_3) | instskip(NEXT) | instid1(VALU_DEP_3)
	v_clz_i32_u32_e32 v162, v50
	v_cmp_eq_u32_e32 vcc_lo, 0, v164
	s_delay_alu instid0(VALU_DEP_2) | instskip(NEXT) | instid1(VALU_DEP_1)
	v_min_u32_e32 v162, 32, v162
	v_subrev_nc_u32_e32 v163, 28, v162
	v_sub_nc_u32_e32 v162, 29, v162
	s_delay_alu instid0(VALU_DEP_1) | instskip(NEXT) | instid1(VALU_DEP_1)
	v_dual_cndmask_b32 v162, v164, v162 :: v_dual_lshlrev_b32 v163, v163, v51
	v_and_b32_e32 v163, 7, v163
	s_delay_alu instid0(VALU_DEP_2) | instskip(NEXT) | instid1(VALU_DEP_2)
	v_lshl_add_u32 v162, v162, 23, 0x3b800000
	v_dual_cndmask_b32 v50, v50, v163 :: v_dual_and_b32 v163, 0x80000000, v165
	s_delay_alu instid0(VALU_DEP_1) | instskip(NEXT) | instid1(VALU_DEP_1)
	v_lshlrev_b32_e32 v50, 20, v50
	v_or3_b32 v50, v163, v162, v50
.LBB6_507:                              ;   in Loop: Header=BB6_143 Depth=2
	s_or_b32 exec_lo, exec_lo, s26
	v_and_b32_e32 v163, 0xff, v39
	s_mov_b32 s11, 0
	s_mov_b32 s27, exec_lo
                                        ; implicit-def: $sgpr26
	s_delay_alu instid0(VALU_DEP_1)
	v_cmpx_lt_i16_e64 0x7f, v163
	s_xor_b32 s27, exec_lo, s27
	s_cbranch_execnz .LBB6_2201
; %bb.508:                              ;   in Loop: Header=BB6_143 Depth=2
	s_or_saveexec_b32 s27, s27
	v_mov_b32_e32 v162, s26
	s_xor_b32 exec_lo, exec_lo, s27
	s_cbranch_execnz .LBB6_2204
.LBB6_509:                              ;   in Loop: Header=BB6_143 Depth=2
	s_or_b32 exec_lo, exec_lo, s27
	s_and_saveexec_b32 s26, s11
	s_cbranch_execz .LBB6_511
.LBB6_510:                              ;   in Loop: Header=BB6_143 Depth=2
	v_and_b32_e32 v162, 7, v39
	v_bfe_u32 v165, v39, 3, 4
	v_lshlrev_b32_e32 v166, 24, v39
	s_delay_alu instid0(VALU_DEP_3) | instskip(NEXT) | instid1(VALU_DEP_3)
	v_clz_i32_u32_e32 v163, v162
	v_cmp_eq_u32_e32 vcc_lo, 0, v165
	s_delay_alu instid0(VALU_DEP_2) | instskip(NEXT) | instid1(VALU_DEP_1)
	v_min_u32_e32 v163, 32, v163
	v_subrev_nc_u32_e32 v164, 28, v163
	v_sub_nc_u32_e32 v163, 29, v163
	s_delay_alu instid0(VALU_DEP_2) | instskip(NEXT) | instid1(VALU_DEP_1)
	v_lshlrev_b32_e32 v164, v164, v39
	v_dual_cndmask_b32 v163, v165, v163 :: v_dual_and_b32 v164, 7, v164
	s_delay_alu instid0(VALU_DEP_1) | instskip(NEXT) | instid1(VALU_DEP_2)
	v_lshl_add_u32 v163, v163, 23, 0x3b800000
	v_cndmask_b32_e32 v162, v162, v164, vcc_lo
	v_and_b32_e32 v164, 0x80000000, v166
	s_delay_alu instid0(VALU_DEP_2) | instskip(NEXT) | instid1(VALU_DEP_1)
	v_lshlrev_b32_e32 v162, 20, v162
	v_or3_b32 v162, v164, v163, v162
.LBB6_511:                              ;   in Loop: Header=BB6_143 Depth=2
	s_or_b32 exec_lo, exec_lo, s26
	s_delay_alu instid0(VALU_DEP_1) | instskip(SKIP_1) | instid1(VALU_DEP_1)
	v_max_f32_e32 v162, v162, v162
	v_max_f32_e32 v50, v50, v50
	v_min_f32_e32 v162, v50, v162
.LBB6_512:                              ;   in Loop: Header=BB6_143 Depth=2
	s_delay_alu instid0(VALU_DEP_1) | instskip(NEXT) | instid1(VALU_DEP_1)
	v_and_b32_e32 v50, 0x7f800000, v162
	v_cmp_ne_u32_e32 vcc_lo, 0x7f800000, v50
	v_mov_b32_e32 v50, 0x80
	s_and_saveexec_b32 s26, vcc_lo
	s_cbranch_execz .LBB6_520
; %bb.513:                              ;   in Loop: Header=BB6_143 Depth=2
	v_mov_b32_e32 v50, 0
	s_mov_b32 s27, exec_lo
	v_cmpx_ne_u32_e32 0, v162
	s_cbranch_execz .LBB6_519
; %bb.514:                              ;   in Loop: Header=BB6_143 Depth=2
	v_bfe_u32 v50, v162, 23, 8
	s_delay_alu instid0(VALU_DEP_1) | instskip(SKIP_1) | instid1(VALU_DEP_2)
	v_sub_nc_u32_e32 v164, 0x78, v50
	v_cmp_gt_u32_e32 vcc_lo, 0x79, v50
	v_dual_cndmask_b32 v164, 0, v164 :: v_dual_and_b32 v163, 0x7fffff, v162
	s_delay_alu instid0(VALU_DEP_1) | instskip(SKIP_2) | instid1(VALU_DEP_4)
	v_or_b32_e32 v165, 0x800000, v163
	v_cmp_eq_u32_e32 vcc_lo, 0, v50
	v_add_nc_u32_e32 v50, 0xffffff89, v50
	v_cndmask_b32_e64 v164, v164, 0x77, vcc_lo
	s_delay_alu instid0(VALU_DEP_4) | instskip(NEXT) | instid1(VALU_DEP_3)
	v_cndmask_b32_e32 v163, v165, v163, vcc_lo
	v_cndmask_b32_e64 v50, v50, 0xffffff8a, vcc_lo
	s_delay_alu instid0(VALU_DEP_3) | instskip(NEXT) | instid1(VALU_DEP_3)
	v_lshl_add_u32 v165, 0x100000, v164, -1
	v_lshrrev_b32_e32 v166, v164, v163
	v_lshlrev_b32_e64 v176, v164, 0x80000
	s_delay_alu instid0(VALU_DEP_4) | instskip(NEXT) | instid1(VALU_DEP_4)
	v_add_nc_u32_e32 v164, v164, v50
	v_and_b32_e32 v163, v165, v163
	s_delay_alu instid0(VALU_DEP_4) | instskip(NEXT) | instid1(VALU_DEP_2)
	v_bfe_u32 v167, v166, 20, 1
	v_cmp_eq_u32_e64 s11, v163, v176
	s_delay_alu instid0(VALU_DEP_2) | instskip(NEXT) | instid1(VALU_DEP_1)
	v_add_nc_u32_e32 v165, -1, v167
	v_cndmask_b32_e64 v163, 0, v165, s11
	v_lshrrev_b32_e32 v165, 23, v166
	s_mov_b32 s11, exec_lo
	s_delay_alu instid0(VALU_DEP_2) | instskip(NEXT) | instid1(VALU_DEP_2)
	v_add_nc_u32_e32 v163, v163, v166
	v_xor_b32_e32 v165, 1, v165
	s_delay_alu instid0(VALU_DEP_2) | instskip(NEXT) | instid1(VALU_DEP_1)
	v_and_b32_e32 v50, 0xfffff, v163
	v_add_nc_u32_e32 v163, v50, v166
                                        ; implicit-def: $vgpr50
	s_delay_alu instid0(VALU_DEP_3)
	v_cmpx_ne_u32_e64 v164, v165
	s_xor_b32 s11, exec_lo, s11
; %bb.515:                              ;   in Loop: Header=BB6_143 Depth=2
	s_delay_alu instid0(VALU_DEP_2) | instskip(SKIP_2) | instid1(VALU_DEP_2)
	v_cmp_lt_u32_e32 vcc_lo, 0xffffff, v163
	v_sub_nc_u32_e32 v50, v164, v165
	v_cndmask_b32_e64 v164, 0, 1, vcc_lo
	v_add_co_ci_u32_e32 v50, vcc_lo, 0, v50, vcc_lo
	s_delay_alu instid0(VALU_DEP_2)
	v_lshrrev_b32_e32 v163, v164, v163
; %bb.516:                              ;   in Loop: Header=BB6_143 Depth=2
	s_and_not1_saveexec_b32 s11, s11
; %bb.517:                              ;   in Loop: Header=BB6_143 Depth=2
	s_delay_alu instid0(VALU_DEP_1)
	v_bfe_u32 v50, v163, 23, 1
; %bb.518:                              ;   in Loop: Header=BB6_143 Depth=2
	s_or_b32 exec_lo, exec_lo, s11
	v_lshrrev_b32_e32 v163, 20, v163
	s_delay_alu instid0(VALU_DEP_2) | instskip(SKIP_2) | instid1(VALU_DEP_2)
	v_cmp_gt_i32_e32 vcc_lo, 16, v50
	v_lshrrev_b32_e32 v162, 24, v162
	v_min_i32_e32 v164, 15, v50
	v_dual_cndmask_b32 v163, 7, v163 :: v_dual_and_b32 v162, 0x80, v162
	s_delay_alu instid0(VALU_DEP_2) | instskip(NEXT) | instid1(VALU_DEP_2)
	v_lshlrev_b32_e32 v164, 3, v164
	v_or_b32_e32 v50, v50, v163
	s_delay_alu instid0(VALU_DEP_1) | instskip(SKIP_1) | instid1(VALU_DEP_1)
	v_cmp_ne_u32_e32 vcc_lo, 0, v50
	v_and_b32_e32 v165, 7, v163
	v_or3_b32 v162, v164, v162, v165
	s_delay_alu instid0(VALU_DEP_1)
	v_cndmask_b32_e32 v50, 0, v162, vcc_lo
.LBB6_519:                              ;   in Loop: Header=BB6_143 Depth=2
	s_or_b32 exec_lo, exec_lo, s27
.LBB6_520:                              ;   in Loop: Header=BB6_143 Depth=2
	s_delay_alu instid0(SALU_CYCLE_1)
	s_or_b32 exec_lo, exec_lo, s26
	v_lshrrev_b16 v163, 8, v51
	v_lshrrev_b16 v162, 8, v39
	s_and_b32 vcc_lo, exec_lo, s25
	s_cbranch_vccz .LBB6_530
; %bb.521:                              ;   in Loop: Header=BB6_143 Depth=2
	s_mov_b32 s11, 0
	s_mov_b32 s27, exec_lo
                                        ; implicit-def: $sgpr26
	v_cmpx_lt_i16_e64 0x7f, v163
	s_xor_b32 s27, exec_lo, s27
	s_cbranch_execnz .LBB6_2205
; %bb.522:                              ;   in Loop: Header=BB6_143 Depth=2
	s_or_saveexec_b32 s27, s27
	v_mov_b32_e32 v164, s26
	s_xor_b32 exec_lo, exec_lo, s27
	s_cbranch_execnz .LBB6_2208
.LBB6_523:                              ;   in Loop: Header=BB6_143 Depth=2
	s_or_b32 exec_lo, exec_lo, s27
	s_and_saveexec_b32 s26, s11
	s_cbranch_execz .LBB6_525
.LBB6_524:                              ;   in Loop: Header=BB6_143 Depth=2
	v_and_b32_e32 v164, 0xffff, v163
	v_lshlrev_b32_e32 v176, 16, v51
	s_delay_alu instid0(VALU_DEP_2) | instskip(NEXT) | instid1(VALU_DEP_1)
	v_and_b32_e32 v165, 7, v164
	v_clz_i32_u32_e32 v166, v165
	s_delay_alu instid0(VALU_DEP_1) | instskip(NEXT) | instid1(VALU_DEP_1)
	v_min_u32_e32 v166, 32, v166
	v_subrev_nc_u32_e32 v167, 28, v166
	v_sub_nc_u32_e32 v166, 29, v166
	s_delay_alu instid0(VALU_DEP_2) | instskip(SKIP_1) | instid1(VALU_DEP_2)
	v_lshlrev_b32_e32 v167, v167, v164
	v_bfe_u32 v164, v164, 3, 4
	v_and_b32_e32 v167, 7, v167
	s_delay_alu instid0(VALU_DEP_2) | instskip(NEXT) | instid1(VALU_DEP_2)
	v_cmp_eq_u32_e32 vcc_lo, 0, v164
	v_dual_cndmask_b32 v164, v164, v166 :: v_dual_cndmask_b32 v165, v165, v167
	v_and_b32_e32 v166, 0x80000000, v176
	s_delay_alu instid0(VALU_DEP_2) | instskip(NEXT) | instid1(VALU_DEP_3)
	v_lshl_add_u32 v164, v164, 23, 0x3b800000
	v_lshlrev_b32_e32 v165, 20, v165
	s_delay_alu instid0(VALU_DEP_1)
	v_or3_b32 v164, v166, v164, v165
.LBB6_525:                              ;   in Loop: Header=BB6_143 Depth=2
	s_or_b32 exec_lo, exec_lo, s26
	s_mov_b32 s11, 0
	s_mov_b32 s27, exec_lo
                                        ; implicit-def: $sgpr26
	v_cmpx_lt_i16_e64 0x7f, v162
	s_xor_b32 s27, exec_lo, s27
	s_cbranch_execnz .LBB6_2209
; %bb.526:                              ;   in Loop: Header=BB6_143 Depth=2
	s_or_saveexec_b32 s27, s27
	v_mov_b32_e32 v165, s26
	s_xor_b32 exec_lo, exec_lo, s27
	s_cbranch_execnz .LBB6_2212
.LBB6_527:                              ;   in Loop: Header=BB6_143 Depth=2
	s_or_b32 exec_lo, exec_lo, s27
	s_and_saveexec_b32 s26, s11
	s_cbranch_execz .LBB6_529
.LBB6_528:                              ;   in Loop: Header=BB6_143 Depth=2
	v_and_b32_e32 v165, 0xffff, v162
	v_lshlrev_b32_e32 v177, 16, v39
	s_delay_alu instid0(VALU_DEP_2) | instskip(NEXT) | instid1(VALU_DEP_1)
	v_and_b32_e32 v166, 7, v165
	v_clz_i32_u32_e32 v167, v166
	s_delay_alu instid0(VALU_DEP_1) | instskip(NEXT) | instid1(VALU_DEP_1)
	v_min_u32_e32 v167, 32, v167
	v_subrev_nc_u32_e32 v176, 28, v167
	v_sub_nc_u32_e32 v167, 29, v167
	s_delay_alu instid0(VALU_DEP_2) | instskip(SKIP_1) | instid1(VALU_DEP_2)
	v_lshlrev_b32_e32 v176, v176, v165
	v_bfe_u32 v165, v165, 3, 4
	v_and_b32_e32 v176, 7, v176
	s_delay_alu instid0(VALU_DEP_2) | instskip(NEXT) | instid1(VALU_DEP_2)
	v_cmp_eq_u32_e32 vcc_lo, 0, v165
	v_dual_cndmask_b32 v165, v165, v167 :: v_dual_cndmask_b32 v166, v166, v176
	v_and_b32_e32 v167, 0x80000000, v177
	s_delay_alu instid0(VALU_DEP_2) | instskip(NEXT) | instid1(VALU_DEP_3)
	v_lshl_add_u32 v165, v165, 23, 0x3b800000
	v_lshlrev_b32_e32 v166, 20, v166
	s_delay_alu instid0(VALU_DEP_1)
	v_or3_b32 v165, v167, v165, v166
.LBB6_529:                              ;   in Loop: Header=BB6_143 Depth=2
	s_or_b32 exec_lo, exec_lo, s26
	s_delay_alu instid0(VALU_DEP_1) | instskip(SKIP_1) | instid1(VALU_DEP_1)
	v_dual_max_f32 v165, v165, v165 :: v_dual_max_f32 v164, v164, v164
	s_mov_b32 s11, 0
	v_max_f32_e32 v164, v164, v165
	s_branch .LBB6_531
.LBB6_530:                              ;   in Loop: Header=BB6_143 Depth=2
	s_mov_b32 s11, -1
                                        ; implicit-def: $vgpr164
.LBB6_531:                              ;   in Loop: Header=BB6_143 Depth=2
	s_delay_alu instid0(SALU_CYCLE_1)
	s_and_b32 vcc_lo, exec_lo, s11
	s_cbranch_vccz .LBB6_541
; %bb.532:                              ;   in Loop: Header=BB6_143 Depth=2
	s_mov_b32 s11, 0
	s_mov_b32 s27, exec_lo
                                        ; implicit-def: $sgpr26
	v_cmpx_lt_i16_e64 0x7f, v163
	s_xor_b32 s27, exec_lo, s27
	s_cbranch_execnz .LBB6_2213
; %bb.533:                              ;   in Loop: Header=BB6_143 Depth=2
	s_or_saveexec_b32 s27, s27
	v_mov_b32_e32 v164, s26
	s_xor_b32 exec_lo, exec_lo, s27
	s_cbranch_execnz .LBB6_2216
.LBB6_534:                              ;   in Loop: Header=BB6_143 Depth=2
	s_or_b32 exec_lo, exec_lo, s27
	s_and_saveexec_b32 s26, s11
	s_cbranch_execz .LBB6_536
.LBB6_535:                              ;   in Loop: Header=BB6_143 Depth=2
	v_and_b32_e32 v163, 0xffff, v163
	v_lshlrev_b32_e32 v167, 16, v51
	s_delay_alu instid0(VALU_DEP_2) | instskip(NEXT) | instid1(VALU_DEP_1)
	v_and_b32_e32 v164, 7, v163
	v_clz_i32_u32_e32 v165, v164
	s_delay_alu instid0(VALU_DEP_1) | instskip(NEXT) | instid1(VALU_DEP_1)
	v_min_u32_e32 v165, 32, v165
	v_subrev_nc_u32_e32 v166, 28, v165
	v_sub_nc_u32_e32 v165, 29, v165
	s_delay_alu instid0(VALU_DEP_2) | instskip(SKIP_1) | instid1(VALU_DEP_2)
	v_lshlrev_b32_e32 v166, v166, v163
	v_bfe_u32 v163, v163, 3, 4
	v_and_b32_e32 v166, 7, v166
	s_delay_alu instid0(VALU_DEP_2) | instskip(NEXT) | instid1(VALU_DEP_2)
	v_cmp_eq_u32_e32 vcc_lo, 0, v163
	v_dual_cndmask_b32 v163, v163, v165 :: v_dual_cndmask_b32 v164, v164, v166
	v_and_b32_e32 v165, 0x80000000, v167
	s_delay_alu instid0(VALU_DEP_2) | instskip(NEXT) | instid1(VALU_DEP_3)
	v_lshl_add_u32 v163, v163, 23, 0x3b800000
	v_lshlrev_b32_e32 v164, 20, v164
	s_delay_alu instid0(VALU_DEP_1)
	v_or3_b32 v164, v165, v163, v164
.LBB6_536:                              ;   in Loop: Header=BB6_143 Depth=2
	s_or_b32 exec_lo, exec_lo, s26
	s_mov_b32 s11, 0
	s_mov_b32 s27, exec_lo
                                        ; implicit-def: $sgpr26
	v_cmpx_lt_i16_e64 0x7f, v162
	s_xor_b32 s27, exec_lo, s27
	s_cbranch_execnz .LBB6_2217
; %bb.537:                              ;   in Loop: Header=BB6_143 Depth=2
	s_or_saveexec_b32 s27, s27
	v_mov_b32_e32 v163, s26
	s_xor_b32 exec_lo, exec_lo, s27
	s_cbranch_execnz .LBB6_2220
.LBB6_538:                              ;   in Loop: Header=BB6_143 Depth=2
	s_or_b32 exec_lo, exec_lo, s27
	s_and_saveexec_b32 s26, s11
	s_cbranch_execz .LBB6_540
.LBB6_539:                              ;   in Loop: Header=BB6_143 Depth=2
	v_and_b32_e32 v162, 0xffff, v162
	v_lshlrev_b32_e32 v167, 16, v39
	s_delay_alu instid0(VALU_DEP_2) | instskip(NEXT) | instid1(VALU_DEP_1)
	v_and_b32_e32 v163, 7, v162
	v_clz_i32_u32_e32 v165, v163
	s_delay_alu instid0(VALU_DEP_1) | instskip(NEXT) | instid1(VALU_DEP_1)
	v_min_u32_e32 v165, 32, v165
	v_subrev_nc_u32_e32 v166, 28, v165
	v_sub_nc_u32_e32 v165, 29, v165
	s_delay_alu instid0(VALU_DEP_2) | instskip(SKIP_1) | instid1(VALU_DEP_2)
	v_lshlrev_b32_e32 v166, v166, v162
	v_bfe_u32 v162, v162, 3, 4
	v_and_b32_e32 v166, 7, v166
	s_delay_alu instid0(VALU_DEP_2) | instskip(NEXT) | instid1(VALU_DEP_2)
	v_cmp_eq_u32_e32 vcc_lo, 0, v162
	v_dual_cndmask_b32 v162, v162, v165 :: v_dual_cndmask_b32 v163, v163, v166
	v_and_b32_e32 v165, 0x80000000, v167
	s_delay_alu instid0(VALU_DEP_2) | instskip(NEXT) | instid1(VALU_DEP_3)
	v_lshl_add_u32 v162, v162, 23, 0x3b800000
	v_lshlrev_b32_e32 v163, 20, v163
	s_delay_alu instid0(VALU_DEP_1)
	v_or3_b32 v163, v165, v162, v163
.LBB6_540:                              ;   in Loop: Header=BB6_143 Depth=2
	s_or_b32 exec_lo, exec_lo, s26
	s_delay_alu instid0(VALU_DEP_1) | instskip(NEXT) | instid1(VALU_DEP_1)
	v_dual_max_f32 v162, v163, v163 :: v_dual_max_f32 v163, v164, v164
	v_min_f32_e32 v164, v163, v162
.LBB6_541:                              ;   in Loop: Header=BB6_143 Depth=2
	s_delay_alu instid0(VALU_DEP_1) | instskip(NEXT) | instid1(VALU_DEP_1)
	v_and_b32_e32 v162, 0x7f800000, v164
	v_cmp_ne_u32_e32 vcc_lo, 0x7f800000, v162
	v_mov_b32_e32 v162, 0x80
	s_and_saveexec_b32 s26, vcc_lo
	s_cbranch_execz .LBB6_549
; %bb.542:                              ;   in Loop: Header=BB6_143 Depth=2
	v_mov_b32_e32 v162, 0
	s_mov_b32 s27, exec_lo
	v_cmpx_ne_u32_e32 0, v164
	s_cbranch_execz .LBB6_548
; %bb.543:                              ;   in Loop: Header=BB6_143 Depth=2
	v_bfe_u32 v162, v164, 23, 8
	v_and_b32_e32 v163, 0x7fffff, v164
	s_delay_alu instid0(VALU_DEP_2) | instskip(SKIP_1) | instid1(VALU_DEP_3)
	v_sub_nc_u32_e32 v165, 0x78, v162
	v_cmp_gt_u32_e32 vcc_lo, 0x79, v162
	v_or_b32_e32 v166, 0x800000, v163
	s_delay_alu instid0(VALU_DEP_3) | instskip(SKIP_2) | instid1(VALU_DEP_3)
	v_cndmask_b32_e32 v165, 0, v165, vcc_lo
	v_cmp_eq_u32_e32 vcc_lo, 0, v162
	v_add_nc_u32_e32 v162, 0xffffff89, v162
	v_cndmask_b32_e64 v165, v165, 0x77, vcc_lo
	v_cndmask_b32_e32 v163, v166, v163, vcc_lo
	s_delay_alu instid0(VALU_DEP_3) | instskip(NEXT) | instid1(VALU_DEP_3)
	v_cndmask_b32_e64 v162, v162, 0xffffff8a, vcc_lo
	v_lshl_add_u32 v166, 0x100000, v165, -1
	s_delay_alu instid0(VALU_DEP_3) | instskip(SKIP_1) | instid1(VALU_DEP_4)
	v_lshrrev_b32_e32 v167, v165, v163
	v_lshlrev_b32_e64 v177, v165, 0x80000
	v_add_nc_u32_e32 v165, v165, v162
	s_delay_alu instid0(VALU_DEP_4) | instskip(NEXT) | instid1(VALU_DEP_4)
	v_and_b32_e32 v163, v166, v163
	v_bfe_u32 v176, v167, 20, 1
	s_delay_alu instid0(VALU_DEP_2) | instskip(NEXT) | instid1(VALU_DEP_2)
	v_cmp_eq_u32_e64 s11, v163, v177
	v_add_nc_u32_e32 v166, -1, v176
	s_delay_alu instid0(VALU_DEP_1) | instskip(SKIP_2) | instid1(VALU_DEP_2)
	v_cndmask_b32_e64 v163, 0, v166, s11
	v_lshrrev_b32_e32 v166, 23, v167
	s_mov_b32 s11, exec_lo
	v_add_nc_u32_e32 v163, v163, v167
	s_delay_alu instid0(VALU_DEP_2) | instskip(NEXT) | instid1(VALU_DEP_2)
	v_xor_b32_e32 v166, 1, v166
	v_and_b32_e32 v162, 0xfffff, v163
	s_delay_alu instid0(VALU_DEP_1) | instskip(NEXT) | instid1(VALU_DEP_3)
	v_add_nc_u32_e32 v163, v162, v167
                                        ; implicit-def: $vgpr162
	v_cmpx_ne_u32_e64 v165, v166
	s_xor_b32 s11, exec_lo, s11
; %bb.544:                              ;   in Loop: Header=BB6_143 Depth=2
	s_delay_alu instid0(VALU_DEP_2) | instskip(SKIP_2) | instid1(VALU_DEP_2)
	v_cmp_lt_u32_e32 vcc_lo, 0xffffff, v163
	v_sub_nc_u32_e32 v162, v165, v166
	v_cndmask_b32_e64 v165, 0, 1, vcc_lo
	v_add_co_ci_u32_e32 v162, vcc_lo, 0, v162, vcc_lo
	s_delay_alu instid0(VALU_DEP_2)
	v_lshrrev_b32_e32 v163, v165, v163
; %bb.545:                              ;   in Loop: Header=BB6_143 Depth=2
	s_and_not1_saveexec_b32 s11, s11
; %bb.546:                              ;   in Loop: Header=BB6_143 Depth=2
	s_delay_alu instid0(VALU_DEP_1)
	v_bfe_u32 v162, v163, 23, 1
; %bb.547:                              ;   in Loop: Header=BB6_143 Depth=2
	s_or_b32 exec_lo, exec_lo, s11
	v_lshrrev_b32_e32 v163, 20, v163
	s_delay_alu instid0(VALU_DEP_2) | instskip(SKIP_2) | instid1(VALU_DEP_2)
	v_cmp_gt_i32_e32 vcc_lo, 16, v162
	v_lshrrev_b32_e32 v164, 24, v164
	v_min_i32_e32 v165, 15, v162
	v_dual_cndmask_b32 v163, 7, v163 :: v_dual_and_b32 v164, 0x80, v164
	s_delay_alu instid0(VALU_DEP_1) | instskip(SKIP_1) | instid1(VALU_DEP_2)
	v_or_b32_e32 v162, v162, v163
	v_and_b32_e32 v166, 7, v163
	v_cmp_ne_u32_e32 vcc_lo, 0, v162
	v_lshlrev_b32_e32 v165, 3, v165
	s_delay_alu instid0(VALU_DEP_1) | instskip(NEXT) | instid1(VALU_DEP_1)
	v_or3_b32 v163, v165, v164, v166
	v_cndmask_b32_e32 v162, 0, v163, vcc_lo
.LBB6_548:                              ;   in Loop: Header=BB6_143 Depth=2
	s_or_b32 exec_lo, exec_lo, s27
.LBB6_549:                              ;   in Loop: Header=BB6_143 Depth=2
	s_delay_alu instid0(SALU_CYCLE_1)
	s_or_b32 exec_lo, exec_lo, s26
	v_lshrrev_b32_e32 v164, 16, v51
	v_lshrrev_b32_e32 v163, 16, v39
	s_and_b32 vcc_lo, exec_lo, s25
	s_cbranch_vccz .LBB6_559
; %bb.550:                              ;   in Loop: Header=BB6_143 Depth=2
	s_delay_alu instid0(VALU_DEP_2) | instskip(SKIP_2) | instid1(VALU_DEP_1)
	v_and_b32_e32 v166, 0xff, v164
	s_mov_b32 s11, 0
	s_mov_b32 s27, exec_lo
                                        ; implicit-def: $sgpr26
	v_cmpx_lt_i16_e64 0x7f, v166
	s_xor_b32 s27, exec_lo, s27
	s_cbranch_execnz .LBB6_2221
; %bb.551:                              ;   in Loop: Header=BB6_143 Depth=2
	s_or_saveexec_b32 s27, s27
	v_mov_b32_e32 v165, s26
	s_xor_b32 exec_lo, exec_lo, s27
	s_cbranch_execnz .LBB6_2224
.LBB6_552:                              ;   in Loop: Header=BB6_143 Depth=2
	s_or_b32 exec_lo, exec_lo, s27
	s_and_saveexec_b32 s26, s11
	s_cbranch_execz .LBB6_554
.LBB6_553:                              ;   in Loop: Header=BB6_143 Depth=2
	v_bfe_u32 v165, v51, 16, 3
	v_bfe_u32 v176, v51, 19, 4
	v_lshlrev_b32_e32 v177, 24, v164
	s_delay_alu instid0(VALU_DEP_3) | instskip(NEXT) | instid1(VALU_DEP_3)
	v_clz_i32_u32_e32 v166, v165
	v_cmp_eq_u32_e32 vcc_lo, 0, v176
	s_delay_alu instid0(VALU_DEP_2) | instskip(NEXT) | instid1(VALU_DEP_1)
	v_min_u32_e32 v166, 32, v166
	v_subrev_nc_u32_e32 v167, 28, v166
	v_sub_nc_u32_e32 v166, 29, v166
	s_delay_alu instid0(VALU_DEP_1) | instskip(NEXT) | instid1(VALU_DEP_1)
	v_dual_cndmask_b32 v166, v176, v166 :: v_dual_lshlrev_b32 v167, v167, v164
	v_and_b32_e32 v167, 7, v167
	s_delay_alu instid0(VALU_DEP_2) | instskip(NEXT) | instid1(VALU_DEP_2)
	v_lshl_add_u32 v166, v166, 23, 0x3b800000
	v_cndmask_b32_e32 v165, v165, v167, vcc_lo
	v_and_b32_e32 v167, 0x80000000, v177
	s_delay_alu instid0(VALU_DEP_2) | instskip(NEXT) | instid1(VALU_DEP_1)
	v_lshlrev_b32_e32 v165, 20, v165
	v_or3_b32 v165, v167, v166, v165
.LBB6_554:                              ;   in Loop: Header=BB6_143 Depth=2
	s_or_b32 exec_lo, exec_lo, s26
	v_and_b32_e32 v167, 0xff, v163
	s_mov_b32 s11, 0
	s_mov_b32 s27, exec_lo
                                        ; implicit-def: $sgpr26
	s_delay_alu instid0(VALU_DEP_1)
	v_cmpx_lt_i16_e64 0x7f, v167
	s_xor_b32 s27, exec_lo, s27
	s_cbranch_execnz .LBB6_2225
; %bb.555:                              ;   in Loop: Header=BB6_143 Depth=2
	s_or_saveexec_b32 s27, s27
	v_mov_b32_e32 v166, s26
	s_xor_b32 exec_lo, exec_lo, s27
	s_cbranch_execnz .LBB6_2228
.LBB6_556:                              ;   in Loop: Header=BB6_143 Depth=2
	s_or_b32 exec_lo, exec_lo, s27
	s_and_saveexec_b32 s26, s11
	s_cbranch_execz .LBB6_558
.LBB6_557:                              ;   in Loop: Header=BB6_143 Depth=2
	v_bfe_u32 v166, v39, 16, 3
	v_bfe_u32 v177, v39, 19, 4
	v_lshlrev_b32_e32 v178, 24, v163
	s_delay_alu instid0(VALU_DEP_3) | instskip(NEXT) | instid1(VALU_DEP_3)
	v_clz_i32_u32_e32 v167, v166
	v_cmp_eq_u32_e32 vcc_lo, 0, v177
	s_delay_alu instid0(VALU_DEP_2) | instskip(NEXT) | instid1(VALU_DEP_1)
	v_min_u32_e32 v167, 32, v167
	v_subrev_nc_u32_e32 v176, 28, v167
	v_sub_nc_u32_e32 v167, 29, v167
	s_delay_alu instid0(VALU_DEP_2) | instskip(NEXT) | instid1(VALU_DEP_1)
	v_lshlrev_b32_e32 v176, v176, v163
	v_dual_cndmask_b32 v167, v177, v167 :: v_dual_and_b32 v176, 7, v176
	s_delay_alu instid0(VALU_DEP_1) | instskip(NEXT) | instid1(VALU_DEP_2)
	v_lshl_add_u32 v167, v167, 23, 0x3b800000
	v_cndmask_b32_e32 v166, v166, v176, vcc_lo
	v_and_b32_e32 v176, 0x80000000, v178
	s_delay_alu instid0(VALU_DEP_2) | instskip(NEXT) | instid1(VALU_DEP_1)
	v_lshlrev_b32_e32 v166, 20, v166
	v_or3_b32 v166, v176, v167, v166
.LBB6_558:                              ;   in Loop: Header=BB6_143 Depth=2
	s_or_b32 exec_lo, exec_lo, s26
	s_delay_alu instid0(VALU_DEP_1) | instskip(SKIP_1) | instid1(VALU_DEP_1)
	v_dual_max_f32 v166, v166, v166 :: v_dual_max_f32 v165, v165, v165
	s_mov_b32 s11, 0
	v_max_f32_e32 v165, v165, v166
	s_branch .LBB6_560
.LBB6_559:                              ;   in Loop: Header=BB6_143 Depth=2
	s_mov_b32 s11, -1
                                        ; implicit-def: $vgpr165
.LBB6_560:                              ;   in Loop: Header=BB6_143 Depth=2
	s_delay_alu instid0(SALU_CYCLE_1)
	s_and_b32 vcc_lo, exec_lo, s11
	s_cbranch_vccz .LBB6_570
; %bb.561:                              ;   in Loop: Header=BB6_143 Depth=2
	v_and_b32_e32 v166, 0xff, v164
	s_mov_b32 s11, 0
	s_mov_b32 s27, exec_lo
                                        ; implicit-def: $sgpr26
	s_delay_alu instid0(VALU_DEP_1)
	v_cmpx_lt_i16_e64 0x7f, v166
	s_xor_b32 s27, exec_lo, s27
	s_cbranch_execnz .LBB6_2229
; %bb.562:                              ;   in Loop: Header=BB6_143 Depth=2
	s_or_saveexec_b32 s27, s27
	v_mov_b32_e32 v165, s26
	s_xor_b32 exec_lo, exec_lo, s27
	s_cbranch_execnz .LBB6_2232
.LBB6_563:                              ;   in Loop: Header=BB6_143 Depth=2
	s_or_b32 exec_lo, exec_lo, s27
	s_and_saveexec_b32 s26, s11
	s_cbranch_execz .LBB6_565
.LBB6_564:                              ;   in Loop: Header=BB6_143 Depth=2
	v_bfe_u32 v165, v51, 16, 3
	v_bfe_u32 v176, v51, 19, 4
	s_delay_alu instid0(VALU_DEP_2) | instskip(NEXT) | instid1(VALU_DEP_2)
	v_clz_i32_u32_e32 v166, v165
	v_cmp_eq_u32_e32 vcc_lo, 0, v176
	s_delay_alu instid0(VALU_DEP_2) | instskip(NEXT) | instid1(VALU_DEP_1)
	v_min_u32_e32 v166, 32, v166
	v_subrev_nc_u32_e32 v167, 28, v166
	v_sub_nc_u32_e32 v166, 29, v166
	s_delay_alu instid0(VALU_DEP_1) | instskip(NEXT) | instid1(VALU_DEP_1)
	v_dual_cndmask_b32 v166, v176, v166 :: v_dual_lshlrev_b32 v167, v167, v164
	v_and_b32_e32 v167, 7, v167
	v_lshlrev_b32_e32 v164, 24, v164
	s_delay_alu instid0(VALU_DEP_3) | instskip(NEXT) | instid1(VALU_DEP_2)
	v_lshl_add_u32 v166, v166, 23, 0x3b800000
	v_dual_cndmask_b32 v165, v165, v167 :: v_dual_and_b32 v164, 0x80000000, v164
	s_delay_alu instid0(VALU_DEP_1) | instskip(NEXT) | instid1(VALU_DEP_1)
	v_lshlrev_b32_e32 v165, 20, v165
	v_or3_b32 v165, v164, v166, v165
.LBB6_565:                              ;   in Loop: Header=BB6_143 Depth=2
	s_or_b32 exec_lo, exec_lo, s26
	v_and_b32_e32 v166, 0xff, v163
	s_mov_b32 s11, 0
	s_mov_b32 s27, exec_lo
                                        ; implicit-def: $sgpr26
	s_delay_alu instid0(VALU_DEP_1)
	v_cmpx_lt_i16_e64 0x7f, v166
	s_xor_b32 s27, exec_lo, s27
	s_cbranch_execnz .LBB6_2233
; %bb.566:                              ;   in Loop: Header=BB6_143 Depth=2
	s_or_saveexec_b32 s27, s27
	v_mov_b32_e32 v164, s26
	s_xor_b32 exec_lo, exec_lo, s27
	s_cbranch_execnz .LBB6_2236
.LBB6_567:                              ;   in Loop: Header=BB6_143 Depth=2
	s_or_b32 exec_lo, exec_lo, s27
	s_and_saveexec_b32 s26, s11
	s_cbranch_execz .LBB6_569
.LBB6_568:                              ;   in Loop: Header=BB6_143 Depth=2
	v_bfe_u32 v164, v39, 16, 3
	v_bfe_u32 v176, v39, 19, 4
	s_delay_alu instid0(VALU_DEP_2) | instskip(NEXT) | instid1(VALU_DEP_2)
	v_clz_i32_u32_e32 v166, v164
	v_cmp_eq_u32_e32 vcc_lo, 0, v176
	s_delay_alu instid0(VALU_DEP_2) | instskip(NEXT) | instid1(VALU_DEP_1)
	v_min_u32_e32 v166, 32, v166
	v_subrev_nc_u32_e32 v167, 28, v166
	v_sub_nc_u32_e32 v166, 29, v166
	s_delay_alu instid0(VALU_DEP_1) | instskip(SKIP_1) | instid1(VALU_DEP_2)
	v_dual_cndmask_b32 v166, v176, v166 :: v_dual_lshlrev_b32 v167, v167, v163
	v_lshlrev_b32_e32 v163, 24, v163
	v_and_b32_e32 v167, 7, v167
	s_delay_alu instid0(VALU_DEP_3) | instskip(NEXT) | instid1(VALU_DEP_3)
	v_lshl_add_u32 v166, v166, 23, 0x3b800000
	v_and_b32_e32 v163, 0x80000000, v163
	s_delay_alu instid0(VALU_DEP_3) | instskip(NEXT) | instid1(VALU_DEP_1)
	v_cndmask_b32_e32 v164, v164, v167, vcc_lo
	v_lshlrev_b32_e32 v164, 20, v164
	s_delay_alu instid0(VALU_DEP_1)
	v_or3_b32 v164, v163, v166, v164
.LBB6_569:                              ;   in Loop: Header=BB6_143 Depth=2
	s_or_b32 exec_lo, exec_lo, s26
	s_delay_alu instid0(VALU_DEP_1) | instskip(NEXT) | instid1(VALU_DEP_1)
	v_dual_max_f32 v163, v164, v164 :: v_dual_max_f32 v164, v165, v165
	v_min_f32_e32 v165, v164, v163
.LBB6_570:                              ;   in Loop: Header=BB6_143 Depth=2
	s_delay_alu instid0(VALU_DEP_1) | instskip(NEXT) | instid1(VALU_DEP_1)
	v_and_b32_e32 v163, 0x7f800000, v165
	v_cmp_ne_u32_e32 vcc_lo, 0x7f800000, v163
	v_mov_b32_e32 v163, 0x80
	s_and_saveexec_b32 s26, vcc_lo
	s_cbranch_execz .LBB6_578
; %bb.571:                              ;   in Loop: Header=BB6_143 Depth=2
	v_mov_b32_e32 v163, 0
	s_mov_b32 s27, exec_lo
	v_cmpx_ne_u32_e32 0, v165
	s_cbranch_execz .LBB6_577
; %bb.572:                              ;   in Loop: Header=BB6_143 Depth=2
	v_bfe_u32 v163, v165, 23, 8
	v_and_b32_e32 v164, 0x7fffff, v165
	s_delay_alu instid0(VALU_DEP_2) | instskip(SKIP_1) | instid1(VALU_DEP_3)
	v_sub_nc_u32_e32 v166, 0x78, v163
	v_cmp_gt_u32_e32 vcc_lo, 0x79, v163
	v_or_b32_e32 v167, 0x800000, v164
	s_delay_alu instid0(VALU_DEP_3) | instskip(SKIP_2) | instid1(VALU_DEP_3)
	v_cndmask_b32_e32 v166, 0, v166, vcc_lo
	v_cmp_eq_u32_e32 vcc_lo, 0, v163
	v_add_nc_u32_e32 v163, 0xffffff89, v163
	v_cndmask_b32_e64 v166, v166, 0x77, vcc_lo
	v_cndmask_b32_e32 v164, v167, v164, vcc_lo
	s_delay_alu instid0(VALU_DEP_3) | instskip(NEXT) | instid1(VALU_DEP_3)
	v_cndmask_b32_e64 v163, v163, 0xffffff8a, vcc_lo
	v_lshl_add_u32 v167, 0x100000, v166, -1
	s_delay_alu instid0(VALU_DEP_3) | instskip(SKIP_1) | instid1(VALU_DEP_4)
	v_lshrrev_b32_e32 v176, v166, v164
	v_lshlrev_b32_e64 v178, v166, 0x80000
	v_add_nc_u32_e32 v166, v166, v163
	s_delay_alu instid0(VALU_DEP_4) | instskip(NEXT) | instid1(VALU_DEP_4)
	v_and_b32_e32 v164, v167, v164
	v_bfe_u32 v177, v176, 20, 1
	s_delay_alu instid0(VALU_DEP_2) | instskip(NEXT) | instid1(VALU_DEP_2)
	v_cmp_eq_u32_e64 s11, v164, v178
	v_add_nc_u32_e32 v167, -1, v177
	s_delay_alu instid0(VALU_DEP_1) | instskip(SKIP_2) | instid1(VALU_DEP_2)
	v_cndmask_b32_e64 v164, 0, v167, s11
	v_lshrrev_b32_e32 v167, 23, v176
	s_mov_b32 s11, exec_lo
	v_add_nc_u32_e32 v164, v164, v176
	s_delay_alu instid0(VALU_DEP_2) | instskip(NEXT) | instid1(VALU_DEP_2)
	v_xor_b32_e32 v167, 1, v167
	v_and_b32_e32 v163, 0xfffff, v164
	s_delay_alu instid0(VALU_DEP_1) | instskip(NEXT) | instid1(VALU_DEP_3)
	v_add_nc_u32_e32 v164, v163, v176
                                        ; implicit-def: $vgpr163
	v_cmpx_ne_u32_e64 v166, v167
	s_xor_b32 s11, exec_lo, s11
; %bb.573:                              ;   in Loop: Header=BB6_143 Depth=2
	s_delay_alu instid0(VALU_DEP_2) | instskip(SKIP_2) | instid1(VALU_DEP_2)
	v_cmp_lt_u32_e32 vcc_lo, 0xffffff, v164
	v_sub_nc_u32_e32 v163, v166, v167
	v_cndmask_b32_e64 v166, 0, 1, vcc_lo
	v_add_co_ci_u32_e32 v163, vcc_lo, 0, v163, vcc_lo
	s_delay_alu instid0(VALU_DEP_2)
	v_lshrrev_b32_e32 v164, v166, v164
; %bb.574:                              ;   in Loop: Header=BB6_143 Depth=2
	s_and_not1_saveexec_b32 s11, s11
; %bb.575:                              ;   in Loop: Header=BB6_143 Depth=2
	s_delay_alu instid0(VALU_DEP_1)
	v_bfe_u32 v163, v164, 23, 1
; %bb.576:                              ;   in Loop: Header=BB6_143 Depth=2
	s_or_b32 exec_lo, exec_lo, s11
	v_lshrrev_b32_e32 v164, 20, v164
	s_delay_alu instid0(VALU_DEP_2) | instskip(SKIP_2) | instid1(VALU_DEP_2)
	v_cmp_gt_i32_e32 vcc_lo, 16, v163
	v_lshrrev_b32_e32 v165, 24, v165
	v_min_i32_e32 v166, 15, v163
	v_dual_cndmask_b32 v164, 7, v164 :: v_dual_and_b32 v165, 0x80, v165
	s_delay_alu instid0(VALU_DEP_1) | instskip(SKIP_1) | instid1(VALU_DEP_2)
	v_or_b32_e32 v163, v163, v164
	v_and_b32_e32 v167, 7, v164
	v_cmp_ne_u32_e32 vcc_lo, 0, v163
	v_lshlrev_b32_e32 v166, 3, v166
	s_delay_alu instid0(VALU_DEP_1) | instskip(NEXT) | instid1(VALU_DEP_1)
	v_and_b32_e32 v166, 0xf8, v166
	v_or3_b32 v164, v166, v165, v167
	s_delay_alu instid0(VALU_DEP_1)
	v_cndmask_b32_e32 v163, 0, v164, vcc_lo
.LBB6_577:                              ;   in Loop: Header=BB6_143 Depth=2
	s_or_b32 exec_lo, exec_lo, s27
.LBB6_578:                              ;   in Loop: Header=BB6_143 Depth=2
	s_delay_alu instid0(SALU_CYCLE_1)
	s_or_b32 exec_lo, exec_lo, s26
	v_lshrrev_b32_e32 v165, 24, v51
	v_lshrrev_b32_e32 v164, 24, v39
	s_and_b32 vcc_lo, exec_lo, s25
	s_cbranch_vccz .LBB6_588
; %bb.579:                              ;   in Loop: Header=BB6_143 Depth=2
	s_mov_b32 s11, 0
	s_mov_b32 s27, exec_lo
                                        ; implicit-def: $sgpr26
	v_cmpx_lt_i16_e64 0x7f, v165
	s_xor_b32 s27, exec_lo, s27
	s_cbranch_execnz .LBB6_2237
; %bb.580:                              ;   in Loop: Header=BB6_143 Depth=2
	s_or_saveexec_b32 s27, s27
	v_mov_b32_e32 v166, s26
	s_xor_b32 exec_lo, exec_lo, s27
	s_cbranch_execnz .LBB6_2240
.LBB6_581:                              ;   in Loop: Header=BB6_143 Depth=2
	s_or_b32 exec_lo, exec_lo, s27
	s_and_saveexec_b32 s26, s11
	s_cbranch_execz .LBB6_583
.LBB6_582:                              ;   in Loop: Header=BB6_143 Depth=2
	v_bfe_u32 v166, v51, 24, 3
	v_bfe_u32 v177, v51, 27, 4
	s_delay_alu instid0(VALU_DEP_2) | instskip(NEXT) | instid1(VALU_DEP_2)
	v_clz_i32_u32_e32 v167, v166
	v_cmp_eq_u32_e32 vcc_lo, 0, v177
	s_delay_alu instid0(VALU_DEP_2) | instskip(NEXT) | instid1(VALU_DEP_1)
	v_min_u32_e32 v167, 32, v167
	v_subrev_nc_u32_e32 v176, 28, v167
	v_sub_nc_u32_e32 v167, 29, v167
	s_delay_alu instid0(VALU_DEP_1) | instskip(NEXT) | instid1(VALU_DEP_1)
	v_dual_cndmask_b32 v167, v177, v167 :: v_dual_lshlrev_b32 v176, v176, v165
	v_and_b32_e32 v176, 7, v176
	s_delay_alu instid0(VALU_DEP_2) | instskip(NEXT) | instid1(VALU_DEP_2)
	v_lshl_add_u32 v167, v167, 23, 0x3b800000
	v_cndmask_b32_e32 v166, v166, v176, vcc_lo
	v_and_b32_e32 v176, 0x80000000, v51
	s_delay_alu instid0(VALU_DEP_2) | instskip(NEXT) | instid1(VALU_DEP_1)
	v_lshlrev_b32_e32 v166, 20, v166
	v_or3_b32 v166, v176, v167, v166
.LBB6_583:                              ;   in Loop: Header=BB6_143 Depth=2
	s_or_b32 exec_lo, exec_lo, s26
	s_mov_b32 s11, 0
	s_mov_b32 s27, exec_lo
                                        ; implicit-def: $sgpr26
	v_cmpx_lt_i16_e64 0x7f, v164
	s_xor_b32 s27, exec_lo, s27
	s_cbranch_execnz .LBB6_2241
; %bb.584:                              ;   in Loop: Header=BB6_143 Depth=2
	s_or_saveexec_b32 s27, s27
	v_mov_b32_e32 v167, s26
	s_xor_b32 exec_lo, exec_lo, s27
	s_cbranch_execnz .LBB6_2244
.LBB6_585:                              ;   in Loop: Header=BB6_143 Depth=2
	s_or_b32 exec_lo, exec_lo, s27
	s_and_saveexec_b32 s26, s11
	s_cbranch_execz .LBB6_587
.LBB6_586:                              ;   in Loop: Header=BB6_143 Depth=2
	v_bfe_u32 v167, v39, 24, 3
	v_bfe_u32 v178, v39, 27, 4
	s_delay_alu instid0(VALU_DEP_2) | instskip(NEXT) | instid1(VALU_DEP_2)
	v_clz_i32_u32_e32 v176, v167
	v_cmp_eq_u32_e32 vcc_lo, 0, v178
	s_delay_alu instid0(VALU_DEP_2) | instskip(NEXT) | instid1(VALU_DEP_1)
	v_min_u32_e32 v176, 32, v176
	v_subrev_nc_u32_e32 v177, 28, v176
	v_sub_nc_u32_e32 v176, 29, v176
	s_delay_alu instid0(VALU_DEP_2) | instskip(NEXT) | instid1(VALU_DEP_1)
	v_lshlrev_b32_e32 v177, v177, v164
	v_dual_cndmask_b32 v176, v178, v176 :: v_dual_and_b32 v177, 7, v177
	s_delay_alu instid0(VALU_DEP_1) | instskip(NEXT) | instid1(VALU_DEP_2)
	v_lshl_add_u32 v176, v176, 23, 0x3b800000
	v_cndmask_b32_e32 v167, v167, v177, vcc_lo
	v_and_b32_e32 v177, 0x80000000, v39
	s_delay_alu instid0(VALU_DEP_2) | instskip(NEXT) | instid1(VALU_DEP_1)
	v_lshlrev_b32_e32 v167, 20, v167
	v_or3_b32 v167, v177, v176, v167
.LBB6_587:                              ;   in Loop: Header=BB6_143 Depth=2
	s_or_b32 exec_lo, exec_lo, s26
	s_delay_alu instid0(VALU_DEP_1) | instskip(SKIP_1) | instid1(VALU_DEP_1)
	v_dual_max_f32 v167, v167, v167 :: v_dual_max_f32 v166, v166, v166
	s_mov_b32 s11, 0
	v_max_f32_e32 v166, v166, v167
	s_branch .LBB6_589
.LBB6_588:                              ;   in Loop: Header=BB6_143 Depth=2
	s_mov_b32 s11, -1
                                        ; implicit-def: $vgpr166
.LBB6_589:                              ;   in Loop: Header=BB6_143 Depth=2
	s_delay_alu instid0(SALU_CYCLE_1)
	s_and_b32 vcc_lo, exec_lo, s11
	s_cbranch_vccz .LBB6_599
; %bb.590:                              ;   in Loop: Header=BB6_143 Depth=2
	s_mov_b32 s11, 0
	s_mov_b32 s27, exec_lo
                                        ; implicit-def: $sgpr26
	v_cmpx_lt_i16_e64 0x7f, v165
	s_xor_b32 s27, exec_lo, s27
	s_cbranch_execnz .LBB6_2245
; %bb.591:                              ;   in Loop: Header=BB6_143 Depth=2
	s_or_saveexec_b32 s27, s27
	v_mov_b32_e32 v166, s26
	s_xor_b32 exec_lo, exec_lo, s27
	s_cbranch_execnz .LBB6_2248
.LBB6_592:                              ;   in Loop: Header=BB6_143 Depth=2
	s_or_b32 exec_lo, exec_lo, s27
	s_and_saveexec_b32 s26, s11
	s_cbranch_execz .LBB6_594
.LBB6_593:                              ;   in Loop: Header=BB6_143 Depth=2
	v_bfe_u32 v166, v51, 24, 3
	s_delay_alu instid0(VALU_DEP_1) | instskip(NEXT) | instid1(VALU_DEP_1)
	v_clz_i32_u32_e32 v167, v166
	v_min_u32_e32 v167, 32, v167
	s_delay_alu instid0(VALU_DEP_1) | instskip(SKIP_1) | instid1(VALU_DEP_2)
	v_subrev_nc_u32_e32 v176, 28, v167
	v_sub_nc_u32_e32 v167, 29, v167
	v_lshlrev_b32_e32 v165, v176, v165
	v_bfe_u32 v176, v51, 27, 4
	v_and_b32_e32 v51, 0x80000000, v51
	s_delay_alu instid0(VALU_DEP_3) | instskip(NEXT) | instid1(VALU_DEP_3)
	v_and_b32_e32 v165, 7, v165
	v_cmp_eq_u32_e32 vcc_lo, 0, v176
	v_cndmask_b32_e32 v167, v176, v167, vcc_lo
	s_delay_alu instid0(VALU_DEP_3) | instskip(NEXT) | instid1(VALU_DEP_2)
	v_cndmask_b32_e32 v165, v166, v165, vcc_lo
	v_lshl_add_u32 v166, v167, 23, 0x3b800000
	s_delay_alu instid0(VALU_DEP_2) | instskip(NEXT) | instid1(VALU_DEP_1)
	v_lshlrev_b32_e32 v165, 20, v165
	v_or3_b32 v166, v51, v166, v165
.LBB6_594:                              ;   in Loop: Header=BB6_143 Depth=2
	s_or_b32 exec_lo, exec_lo, s26
	s_mov_b32 s11, 0
	s_mov_b32 s27, exec_lo
                                        ; implicit-def: $sgpr26
	v_cmpx_lt_i16_e64 0x7f, v164
	s_xor_b32 s27, exec_lo, s27
	s_cbranch_execnz .LBB6_2249
; %bb.595:                              ;   in Loop: Header=BB6_143 Depth=2
	s_or_saveexec_b32 s27, s27
	v_mov_b32_e32 v51, s26
	s_xor_b32 exec_lo, exec_lo, s27
	s_cbranch_execnz .LBB6_2252
.LBB6_596:                              ;   in Loop: Header=BB6_143 Depth=2
	s_or_b32 exec_lo, exec_lo, s27
	s_and_saveexec_b32 s26, s11
	s_cbranch_execz .LBB6_598
.LBB6_597:                              ;   in Loop: Header=BB6_143 Depth=2
	v_bfe_u32 v51, v39, 24, 3
	s_delay_alu instid0(VALU_DEP_1) | instskip(NEXT) | instid1(VALU_DEP_1)
	v_clz_i32_u32_e32 v165, v51
	v_min_u32_e32 v165, 32, v165
	s_delay_alu instid0(VALU_DEP_1) | instskip(SKIP_1) | instid1(VALU_DEP_2)
	v_subrev_nc_u32_e32 v167, 28, v165
	v_sub_nc_u32_e32 v165, 29, v165
	v_lshlrev_b32_e32 v164, v167, v164
	v_bfe_u32 v167, v39, 27, 4
	v_and_b32_e32 v39, 0x80000000, v39
	s_delay_alu instid0(VALU_DEP_2) | instskip(NEXT) | instid1(VALU_DEP_4)
	v_cmp_eq_u32_e32 vcc_lo, 0, v167
	v_dual_cndmask_b32 v165, v167, v165 :: v_dual_and_b32 v164, 7, v164
	s_delay_alu instid0(VALU_DEP_1) | instskip(NEXT) | instid1(VALU_DEP_2)
	v_cndmask_b32_e32 v51, v51, v164, vcc_lo
	v_lshl_add_u32 v164, v165, 23, 0x3b800000
	s_delay_alu instid0(VALU_DEP_2) | instskip(NEXT) | instid1(VALU_DEP_1)
	v_lshlrev_b32_e32 v51, 20, v51
	v_or3_b32 v51, v39, v164, v51
.LBB6_598:                              ;   in Loop: Header=BB6_143 Depth=2
	s_or_b32 exec_lo, exec_lo, s26
	s_delay_alu instid0(VALU_DEP_1) | instskip(SKIP_1) | instid1(VALU_DEP_1)
	v_max_f32_e32 v39, v51, v51
	v_max_f32_e32 v51, v166, v166
	v_min_f32_e32 v166, v51, v39
.LBB6_599:                              ;   in Loop: Header=BB6_143 Depth=2
	s_delay_alu instid0(VALU_DEP_1) | instskip(NEXT) | instid1(VALU_DEP_1)
	v_and_b32_e32 v39, 0x7f800000, v166
	v_cmp_ne_u32_e32 vcc_lo, 0x7f800000, v39
	v_mov_b32_e32 v39, 0x8000
	s_and_saveexec_b32 s26, vcc_lo
	s_cbranch_execz .LBB6_607
; %bb.600:                              ;   in Loop: Header=BB6_143 Depth=2
	v_mov_b32_e32 v39, 0
	s_mov_b32 s27, exec_lo
	v_cmpx_ne_u32_e32 0, v166
	s_cbranch_execz .LBB6_606
; %bb.601:                              ;   in Loop: Header=BB6_143 Depth=2
	v_bfe_u32 v39, v166, 23, 8
	s_delay_alu instid0(VALU_DEP_1) | instskip(SKIP_1) | instid1(VALU_DEP_2)
	v_sub_nc_u32_e32 v164, 0x78, v39
	v_cmp_gt_u32_e32 vcc_lo, 0x79, v39
	v_dual_cndmask_b32 v164, 0, v164 :: v_dual_and_b32 v51, 0x7fffff, v166
	s_delay_alu instid0(VALU_DEP_1) | instskip(SKIP_2) | instid1(VALU_DEP_4)
	v_or_b32_e32 v165, 0x800000, v51
	v_cmp_eq_u32_e32 vcc_lo, 0, v39
	v_add_nc_u32_e32 v39, 0xffffff89, v39
	v_cndmask_b32_e64 v164, v164, 0x77, vcc_lo
	s_delay_alu instid0(VALU_DEP_4) | instskip(NEXT) | instid1(VALU_DEP_3)
	v_cndmask_b32_e32 v51, v165, v51, vcc_lo
	v_cndmask_b32_e64 v39, v39, 0xffffff8a, vcc_lo
	s_delay_alu instid0(VALU_DEP_3) | instskip(NEXT) | instid1(VALU_DEP_3)
	v_lshl_add_u32 v165, 0x100000, v164, -1
	v_lshrrev_b32_e32 v167, v164, v51
	v_lshlrev_b32_e64 v177, v164, 0x80000
	s_delay_alu instid0(VALU_DEP_4) | instskip(NEXT) | instid1(VALU_DEP_4)
	v_add_nc_u32_e32 v164, v164, v39
	v_and_b32_e32 v51, v165, v51
	s_delay_alu instid0(VALU_DEP_4) | instskip(NEXT) | instid1(VALU_DEP_2)
	v_bfe_u32 v176, v167, 20, 1
	v_cmp_eq_u32_e64 s11, v51, v177
	s_delay_alu instid0(VALU_DEP_2) | instskip(NEXT) | instid1(VALU_DEP_1)
	v_add_nc_u32_e32 v165, -1, v176
	v_cndmask_b32_e64 v51, 0, v165, s11
	v_lshrrev_b32_e32 v165, 23, v167
	s_mov_b32 s11, exec_lo
	s_delay_alu instid0(VALU_DEP_2) | instskip(NEXT) | instid1(VALU_DEP_2)
	v_add_nc_u32_e32 v51, v51, v167
	v_xor_b32_e32 v165, 1, v165
	s_delay_alu instid0(VALU_DEP_2) | instskip(NEXT) | instid1(VALU_DEP_1)
	v_and_b32_e32 v39, 0xfffff, v51
	v_add_nc_u32_e32 v51, v39, v167
                                        ; implicit-def: $vgpr39
	s_delay_alu instid0(VALU_DEP_3)
	v_cmpx_ne_u32_e64 v164, v165
	s_xor_b32 s11, exec_lo, s11
; %bb.602:                              ;   in Loop: Header=BB6_143 Depth=2
	s_delay_alu instid0(VALU_DEP_2) | instskip(SKIP_2) | instid1(VALU_DEP_2)
	v_cmp_lt_u32_e32 vcc_lo, 0xffffff, v51
	v_sub_nc_u32_e32 v39, v164, v165
	v_cndmask_b32_e64 v164, 0, 1, vcc_lo
	v_add_co_ci_u32_e32 v39, vcc_lo, 0, v39, vcc_lo
	s_delay_alu instid0(VALU_DEP_2)
	v_lshrrev_b32_e32 v51, v164, v51
; %bb.603:                              ;   in Loop: Header=BB6_143 Depth=2
	s_and_not1_saveexec_b32 s11, s11
; %bb.604:                              ;   in Loop: Header=BB6_143 Depth=2
	s_delay_alu instid0(VALU_DEP_1)
	v_bfe_u32 v39, v51, 23, 1
; %bb.605:                              ;   in Loop: Header=BB6_143 Depth=2
	s_or_b32 exec_lo, exec_lo, s11
	v_lshrrev_b32_e32 v51, 20, v51
	s_delay_alu instid0(VALU_DEP_2) | instskip(SKIP_2) | instid1(VALU_DEP_2)
	v_cmp_gt_i32_e32 vcc_lo, 16, v39
	v_min_i32_e32 v164, 15, v39
	v_lshrrev_b32_e32 v165, 24, v166
	v_dual_cndmask_b32 v51, 7, v51 :: v_dual_lshlrev_b32 v164, 3, v164
	s_delay_alu instid0(VALU_DEP_2) | instskip(NEXT) | instid1(VALU_DEP_2)
	v_and_b32_e32 v165, 0x80, v165
	v_or_b32_e32 v39, v39, v51
	v_and_b32_e32 v166, 7, v51
	s_delay_alu instid0(VALU_DEP_2) | instskip(SKIP_1) | instid1(VALU_DEP_1)
	v_cmp_ne_u32_e32 vcc_lo, 0, v39
	v_and_b32_e32 v164, 0xf8, v164
	v_or3_b32 v164, v165, v164, v166
	s_delay_alu instid0(VALU_DEP_1) | instskip(NEXT) | instid1(VALU_DEP_1)
	v_lshlrev_b32_e32 v51, 8, v164
	v_cndmask_b32_e32 v39, 0, v51, vcc_lo
.LBB6_606:                              ;   in Loop: Header=BB6_143 Depth=2
	s_or_b32 exec_lo, exec_lo, s27
.LBB6_607:                              ;   in Loop: Header=BB6_143 Depth=2
	s_delay_alu instid0(SALU_CYCLE_1) | instskip(NEXT) | instid1(SALU_CYCLE_1)
	s_or_b32 exec_lo, exec_lo, s26
	s_and_not1_b32 vcc_lo, exec_lo, s25
	s_cbranch_vccnz .LBB6_617
; %bb.608:                              ;   in Loop: Header=BB6_143 Depth=2
	v_and_b32_e32 v164, 0xff, v32
	s_mov_b32 s11, 0
	s_mov_b32 s27, exec_lo
                                        ; implicit-def: $sgpr26
	s_delay_alu instid0(VALU_DEP_1)
	v_cmpx_lt_i16_e64 0x7f, v164
	s_xor_b32 s27, exec_lo, s27
	s_cbranch_execnz .LBB6_2253
; %bb.609:                              ;   in Loop: Header=BB6_143 Depth=2
	s_or_saveexec_b32 s27, s27
	v_mov_b32_e32 v51, s26
	s_xor_b32 exec_lo, exec_lo, s27
	s_cbranch_execnz .LBB6_2256
.LBB6_610:                              ;   in Loop: Header=BB6_143 Depth=2
	s_or_b32 exec_lo, exec_lo, s27
	s_and_saveexec_b32 s26, s11
	s_cbranch_execz .LBB6_612
.LBB6_611:                              ;   in Loop: Header=BB6_143 Depth=2
	v_and_b32_e32 v51, 7, v32
	v_bfe_u32 v166, v32, 3, 4
	v_lshlrev_b32_e32 v167, 24, v32
	s_delay_alu instid0(VALU_DEP_3) | instskip(NEXT) | instid1(VALU_DEP_3)
	v_clz_i32_u32_e32 v164, v51
	v_cmp_eq_u32_e32 vcc_lo, 0, v166
	s_delay_alu instid0(VALU_DEP_2) | instskip(NEXT) | instid1(VALU_DEP_1)
	v_min_u32_e32 v164, 32, v164
	v_subrev_nc_u32_e32 v165, 28, v164
	v_sub_nc_u32_e32 v164, 29, v164
	s_delay_alu instid0(VALU_DEP_2) | instskip(NEXT) | instid1(VALU_DEP_1)
	v_lshlrev_b32_e32 v165, v165, v32
	v_dual_cndmask_b32 v164, v166, v164 :: v_dual_and_b32 v165, 7, v165
	s_delay_alu instid0(VALU_DEP_1) | instskip(NEXT) | instid1(VALU_DEP_2)
	v_lshl_add_u32 v164, v164, 23, 0x3b800000
	v_cndmask_b32_e32 v51, v51, v165, vcc_lo
	v_and_b32_e32 v165, 0x80000000, v167
	s_delay_alu instid0(VALU_DEP_2) | instskip(NEXT) | instid1(VALU_DEP_1)
	v_lshlrev_b32_e32 v51, 20, v51
	v_or3_b32 v51, v165, v164, v51
.LBB6_612:                              ;   in Loop: Header=BB6_143 Depth=2
	s_or_b32 exec_lo, exec_lo, s26
	s_waitcnt vmcnt(2)
	v_and_b32_e32 v165, 0xff, v26
	s_mov_b32 s11, 0
	s_mov_b32 s27, exec_lo
                                        ; implicit-def: $sgpr26
	s_delay_alu instid0(VALU_DEP_1)
	v_cmpx_lt_i16_e64 0x7f, v165
	s_xor_b32 s27, exec_lo, s27
	s_cbranch_execnz .LBB6_2257
; %bb.613:                              ;   in Loop: Header=BB6_143 Depth=2
	s_or_saveexec_b32 s27, s27
	v_mov_b32_e32 v164, s26
	s_xor_b32 exec_lo, exec_lo, s27
	s_cbranch_execnz .LBB6_2260
.LBB6_614:                              ;   in Loop: Header=BB6_143 Depth=2
	s_or_b32 exec_lo, exec_lo, s27
	s_and_saveexec_b32 s26, s11
	s_cbranch_execz .LBB6_616
.LBB6_615:                              ;   in Loop: Header=BB6_143 Depth=2
	v_bfe_u32 v167, v26, 3, 4
	v_lshlrev_b32_e32 v176, 24, v26
	s_delay_alu instid0(VALU_DEP_2) | instskip(SKIP_1) | instid1(VALU_DEP_1)
	v_cmp_eq_u32_e32 vcc_lo, 0, v167
	v_and_b32_e32 v164, 7, v26
	v_clz_i32_u32_e32 v165, v164
	s_delay_alu instid0(VALU_DEP_1) | instskip(NEXT) | instid1(VALU_DEP_1)
	v_min_u32_e32 v165, 32, v165
	v_subrev_nc_u32_e32 v166, 28, v165
	v_sub_nc_u32_e32 v165, 29, v165
	s_delay_alu instid0(VALU_DEP_1) | instskip(NEXT) | instid1(VALU_DEP_1)
	v_dual_cndmask_b32 v165, v167, v165 :: v_dual_lshlrev_b32 v166, v166, v26
	v_and_b32_e32 v166, 7, v166
	s_delay_alu instid0(VALU_DEP_2) | instskip(NEXT) | instid1(VALU_DEP_2)
	v_lshl_add_u32 v165, v165, 23, 0x3b800000
	v_cndmask_b32_e32 v164, v164, v166, vcc_lo
	v_and_b32_e32 v166, 0x80000000, v176
	s_delay_alu instid0(VALU_DEP_2) | instskip(NEXT) | instid1(VALU_DEP_1)
	v_lshlrev_b32_e32 v164, 20, v164
	v_or3_b32 v164, v166, v165, v164
.LBB6_616:                              ;   in Loop: Header=BB6_143 Depth=2
	s_or_b32 exec_lo, exec_lo, s26
	s_delay_alu instid0(VALU_DEP_1) | instskip(SKIP_1) | instid1(VALU_DEP_1)
	v_dual_max_f32 v164, v164, v164 :: v_dual_max_f32 v51, v51, v51
	s_mov_b32 s11, 0
	v_max_f32_e32 v164, v51, v164
	s_branch .LBB6_618
.LBB6_617:                              ;   in Loop: Header=BB6_143 Depth=2
	s_mov_b32 s11, -1
                                        ; implicit-def: $vgpr164
.LBB6_618:                              ;   in Loop: Header=BB6_143 Depth=2
	s_delay_alu instid0(SALU_CYCLE_1)
	s_and_b32 vcc_lo, exec_lo, s11
	s_cbranch_vccz .LBB6_628
; %bb.619:                              ;   in Loop: Header=BB6_143 Depth=2
	v_and_b32_e32 v164, 0xff, v32
	s_mov_b32 s11, 0
	s_mov_b32 s27, exec_lo
                                        ; implicit-def: $sgpr26
	s_delay_alu instid0(VALU_DEP_1)
	v_cmpx_lt_i16_e64 0x7f, v164
	s_xor_b32 s27, exec_lo, s27
	s_cbranch_execnz .LBB6_2261
; %bb.620:                              ;   in Loop: Header=BB6_143 Depth=2
	s_or_saveexec_b32 s27, s27
	v_mov_b32_e32 v51, s26
	s_xor_b32 exec_lo, exec_lo, s27
	s_cbranch_execnz .LBB6_2264
.LBB6_621:                              ;   in Loop: Header=BB6_143 Depth=2
	s_or_b32 exec_lo, exec_lo, s27
	s_and_saveexec_b32 s26, s11
	s_cbranch_execz .LBB6_623
.LBB6_622:                              ;   in Loop: Header=BB6_143 Depth=2
	v_and_b32_e32 v51, 7, v32
	v_bfe_u32 v166, v32, 3, 4
	v_lshlrev_b32_e32 v167, 24, v32
	s_delay_alu instid0(VALU_DEP_3) | instskip(NEXT) | instid1(VALU_DEP_3)
	v_clz_i32_u32_e32 v164, v51
	v_cmp_eq_u32_e32 vcc_lo, 0, v166
	s_delay_alu instid0(VALU_DEP_2) | instskip(NEXT) | instid1(VALU_DEP_1)
	v_min_u32_e32 v164, 32, v164
	v_subrev_nc_u32_e32 v165, 28, v164
	v_sub_nc_u32_e32 v164, 29, v164
	s_delay_alu instid0(VALU_DEP_2) | instskip(NEXT) | instid1(VALU_DEP_1)
	v_lshlrev_b32_e32 v165, v165, v32
	v_dual_cndmask_b32 v164, v166, v164 :: v_dual_and_b32 v165, 7, v165
	s_delay_alu instid0(VALU_DEP_1) | instskip(NEXT) | instid1(VALU_DEP_2)
	v_lshl_add_u32 v164, v164, 23, 0x3b800000
	v_cndmask_b32_e32 v51, v51, v165, vcc_lo
	v_and_b32_e32 v165, 0x80000000, v167
	s_delay_alu instid0(VALU_DEP_2) | instskip(NEXT) | instid1(VALU_DEP_1)
	v_lshlrev_b32_e32 v51, 20, v51
	v_or3_b32 v51, v165, v164, v51
.LBB6_623:                              ;   in Loop: Header=BB6_143 Depth=2
	s_or_b32 exec_lo, exec_lo, s26
	s_waitcnt vmcnt(2)
	v_and_b32_e32 v165, 0xff, v26
	s_mov_b32 s11, 0
	s_mov_b32 s27, exec_lo
                                        ; implicit-def: $sgpr26
	s_delay_alu instid0(VALU_DEP_1)
	v_cmpx_lt_i16_e64 0x7f, v165
	s_xor_b32 s27, exec_lo, s27
	s_cbranch_execnz .LBB6_2265
; %bb.624:                              ;   in Loop: Header=BB6_143 Depth=2
	s_or_saveexec_b32 s27, s27
	v_mov_b32_e32 v164, s26
	s_xor_b32 exec_lo, exec_lo, s27
	s_cbranch_execnz .LBB6_2268
.LBB6_625:                              ;   in Loop: Header=BB6_143 Depth=2
	s_or_b32 exec_lo, exec_lo, s27
	s_and_saveexec_b32 s26, s11
	s_cbranch_execz .LBB6_627
.LBB6_626:                              ;   in Loop: Header=BB6_143 Depth=2
	v_bfe_u32 v167, v26, 3, 4
	v_lshlrev_b32_e32 v176, 24, v26
	s_delay_alu instid0(VALU_DEP_2) | instskip(SKIP_1) | instid1(VALU_DEP_1)
	v_cmp_eq_u32_e32 vcc_lo, 0, v167
	v_and_b32_e32 v164, 7, v26
	v_clz_i32_u32_e32 v165, v164
	s_delay_alu instid0(VALU_DEP_1) | instskip(NEXT) | instid1(VALU_DEP_1)
	v_min_u32_e32 v165, 32, v165
	v_subrev_nc_u32_e32 v166, 28, v165
	v_sub_nc_u32_e32 v165, 29, v165
	s_delay_alu instid0(VALU_DEP_1) | instskip(NEXT) | instid1(VALU_DEP_1)
	v_dual_cndmask_b32 v165, v167, v165 :: v_dual_lshlrev_b32 v166, v166, v26
	v_and_b32_e32 v166, 7, v166
	s_delay_alu instid0(VALU_DEP_2) | instskip(NEXT) | instid1(VALU_DEP_2)
	v_lshl_add_u32 v165, v165, 23, 0x3b800000
	v_cndmask_b32_e32 v164, v164, v166, vcc_lo
	v_and_b32_e32 v166, 0x80000000, v176
	s_delay_alu instid0(VALU_DEP_2) | instskip(NEXT) | instid1(VALU_DEP_1)
	v_lshlrev_b32_e32 v164, 20, v164
	v_or3_b32 v164, v166, v165, v164
.LBB6_627:                              ;   in Loop: Header=BB6_143 Depth=2
	s_or_b32 exec_lo, exec_lo, s26
	s_delay_alu instid0(VALU_DEP_1) | instskip(NEXT) | instid1(VALU_DEP_1)
	v_dual_max_f32 v164, v164, v164 :: v_dual_max_f32 v51, v51, v51
	v_min_f32_e32 v164, v51, v164
.LBB6_628:                              ;   in Loop: Header=BB6_143 Depth=2
	s_delay_alu instid0(VALU_DEP_1) | instskip(NEXT) | instid1(VALU_DEP_1)
	v_and_b32_e32 v51, 0x7f800000, v164
	v_cmp_ne_u32_e32 vcc_lo, 0x7f800000, v51
	v_mov_b32_e32 v51, 0x80
	s_and_saveexec_b32 s26, vcc_lo
	s_cbranch_execz .LBB6_636
; %bb.629:                              ;   in Loop: Header=BB6_143 Depth=2
	v_mov_b32_e32 v51, 0
	s_mov_b32 s27, exec_lo
	v_cmpx_ne_u32_e32 0, v164
	s_cbranch_execz .LBB6_635
; %bb.630:                              ;   in Loop: Header=BB6_143 Depth=2
	v_bfe_u32 v51, v164, 23, 8
	s_delay_alu instid0(VALU_DEP_1) | instskip(SKIP_1) | instid1(VALU_DEP_2)
	v_sub_nc_u32_e32 v166, 0x78, v51
	v_cmp_gt_u32_e32 vcc_lo, 0x79, v51
	v_dual_cndmask_b32 v166, 0, v166 :: v_dual_and_b32 v165, 0x7fffff, v164
	s_delay_alu instid0(VALU_DEP_1) | instskip(SKIP_2) | instid1(VALU_DEP_4)
	v_or_b32_e32 v167, 0x800000, v165
	v_cmp_eq_u32_e32 vcc_lo, 0, v51
	v_add_nc_u32_e32 v51, 0xffffff89, v51
	v_cndmask_b32_e64 v166, v166, 0x77, vcc_lo
	s_delay_alu instid0(VALU_DEP_2) | instskip(SKIP_1) | instid1(VALU_DEP_3)
	v_cndmask_b32_e64 v51, v51, 0xffffff8a, vcc_lo
	v_cndmask_b32_e32 v165, v167, v165, vcc_lo
	v_lshl_add_u32 v167, 0x100000, v166, -1
	v_lshlrev_b32_e64 v178, v166, 0x80000
	s_delay_alu instid0(VALU_DEP_3) | instskip(SKIP_1) | instid1(VALU_DEP_4)
	v_lshrrev_b32_e32 v176, v166, v165
	v_add_nc_u32_e32 v166, v166, v51
	v_and_b32_e32 v165, v167, v165
	s_delay_alu instid0(VALU_DEP_3) | instskip(NEXT) | instid1(VALU_DEP_2)
	v_bfe_u32 v177, v176, 20, 1
	v_cmp_eq_u32_e64 s11, v165, v178
	s_delay_alu instid0(VALU_DEP_2) | instskip(NEXT) | instid1(VALU_DEP_1)
	v_add_nc_u32_e32 v167, -1, v177
	v_cndmask_b32_e64 v165, 0, v167, s11
	v_lshrrev_b32_e32 v167, 23, v176
	s_mov_b32 s11, exec_lo
	s_delay_alu instid0(VALU_DEP_2) | instskip(NEXT) | instid1(VALU_DEP_2)
	v_add_nc_u32_e32 v165, v165, v176
	v_xor_b32_e32 v167, 1, v167
	s_delay_alu instid0(VALU_DEP_2) | instskip(NEXT) | instid1(VALU_DEP_1)
	v_and_b32_e32 v51, 0xfffff, v165
	v_add_nc_u32_e32 v165, v51, v176
                                        ; implicit-def: $vgpr51
	s_delay_alu instid0(VALU_DEP_3)
	v_cmpx_ne_u32_e64 v166, v167
	s_xor_b32 s11, exec_lo, s11
; %bb.631:                              ;   in Loop: Header=BB6_143 Depth=2
	s_delay_alu instid0(VALU_DEP_2) | instskip(SKIP_2) | instid1(VALU_DEP_2)
	v_cmp_lt_u32_e32 vcc_lo, 0xffffff, v165
	v_sub_nc_u32_e32 v51, v166, v167
	v_cndmask_b32_e64 v166, 0, 1, vcc_lo
	v_add_co_ci_u32_e32 v51, vcc_lo, 0, v51, vcc_lo
	s_delay_alu instid0(VALU_DEP_2)
	v_lshrrev_b32_e32 v165, v166, v165
; %bb.632:                              ;   in Loop: Header=BB6_143 Depth=2
	s_and_not1_saveexec_b32 s11, s11
; %bb.633:                              ;   in Loop: Header=BB6_143 Depth=2
	s_delay_alu instid0(VALU_DEP_1)
	v_bfe_u32 v51, v165, 23, 1
; %bb.634:                              ;   in Loop: Header=BB6_143 Depth=2
	s_or_b32 exec_lo, exec_lo, s11
	v_lshrrev_b32_e32 v165, 20, v165
	s_delay_alu instid0(VALU_DEP_2) | instskip(SKIP_2) | instid1(VALU_DEP_2)
	v_cmp_gt_i32_e32 vcc_lo, 16, v51
	v_lshrrev_b32_e32 v164, 24, v164
	v_min_i32_e32 v166, 15, v51
	v_dual_cndmask_b32 v165, 7, v165 :: v_dual_and_b32 v164, 0x80, v164
	s_delay_alu instid0(VALU_DEP_1) | instskip(SKIP_1) | instid1(VALU_DEP_2)
	v_or_b32_e32 v51, v51, v165
	v_and_b32_e32 v167, 7, v165
	v_cmp_ne_u32_e32 vcc_lo, 0, v51
	v_lshlrev_b32_e32 v166, 3, v166
	s_delay_alu instid0(VALU_DEP_1) | instskip(NEXT) | instid1(VALU_DEP_1)
	v_or3_b32 v164, v166, v164, v167
	v_cndmask_b32_e32 v51, 0, v164, vcc_lo
.LBB6_635:                              ;   in Loop: Header=BB6_143 Depth=2
	s_or_b32 exec_lo, exec_lo, s27
.LBB6_636:                              ;   in Loop: Header=BB6_143 Depth=2
	s_delay_alu instid0(SALU_CYCLE_1)
	s_or_b32 exec_lo, exec_lo, s26
	v_lshrrev_b16 v165, 8, v32
	s_waitcnt vmcnt(2)
	v_lshrrev_b16 v164, 8, v26
	s_and_not1_b32 vcc_lo, exec_lo, s25
	s_cbranch_vccnz .LBB6_646
; %bb.637:                              ;   in Loop: Header=BB6_143 Depth=2
	s_mov_b32 s11, 0
	s_mov_b32 s27, exec_lo
                                        ; implicit-def: $sgpr26
	v_cmpx_lt_i16_e64 0x7f, v165
	s_xor_b32 s27, exec_lo, s27
	s_cbranch_execnz .LBB6_2269
; %bb.638:                              ;   in Loop: Header=BB6_143 Depth=2
	s_or_saveexec_b32 s27, s27
	v_mov_b32_e32 v166, s26
	s_xor_b32 exec_lo, exec_lo, s27
	s_cbranch_execnz .LBB6_2272
.LBB6_639:                              ;   in Loop: Header=BB6_143 Depth=2
	s_or_b32 exec_lo, exec_lo, s27
	s_and_saveexec_b32 s26, s11
	s_cbranch_execz .LBB6_641
.LBB6_640:                              ;   in Loop: Header=BB6_143 Depth=2
	v_and_b32_e32 v166, 0xffff, v165
	s_delay_alu instid0(VALU_DEP_1) | instskip(NEXT) | instid1(VALU_DEP_1)
	v_and_b32_e32 v167, 7, v166
	v_clz_i32_u32_e32 v176, v167
	s_delay_alu instid0(VALU_DEP_1) | instskip(NEXT) | instid1(VALU_DEP_1)
	v_min_u32_e32 v176, 32, v176
	v_subrev_nc_u32_e32 v177, 28, v176
	v_sub_nc_u32_e32 v176, 29, v176
	s_delay_alu instid0(VALU_DEP_2) | instskip(SKIP_1) | instid1(VALU_DEP_2)
	v_lshlrev_b32_e32 v177, v177, v166
	v_bfe_u32 v166, v166, 3, 4
	v_and_b32_e32 v177, 7, v177
	s_delay_alu instid0(VALU_DEP_2) | instskip(SKIP_1) | instid1(VALU_DEP_3)
	v_cmp_eq_u32_e32 vcc_lo, 0, v166
	v_cndmask_b32_e32 v166, v166, v176, vcc_lo
	v_dual_cndmask_b32 v167, v167, v177 :: v_dual_lshlrev_b32 v178, 16, v32
	s_delay_alu instid0(VALU_DEP_2) | instskip(NEXT) | instid1(VALU_DEP_2)
	v_lshl_add_u32 v166, v166, 23, 0x3b800000
	v_and_b32_e32 v176, 0x80000000, v178
	s_delay_alu instid0(VALU_DEP_3) | instskip(NEXT) | instid1(VALU_DEP_1)
	v_lshlrev_b32_e32 v167, 20, v167
	v_or3_b32 v166, v176, v166, v167
.LBB6_641:                              ;   in Loop: Header=BB6_143 Depth=2
	s_or_b32 exec_lo, exec_lo, s26
	s_mov_b32 s11, 0
	s_mov_b32 s27, exec_lo
                                        ; implicit-def: $sgpr26
	v_cmpx_lt_i16_e64 0x7f, v164
	s_xor_b32 s27, exec_lo, s27
	s_cbranch_execnz .LBB6_2273
; %bb.642:                              ;   in Loop: Header=BB6_143 Depth=2
	s_or_saveexec_b32 s27, s27
	v_mov_b32_e32 v167, s26
	s_xor_b32 exec_lo, exec_lo, s27
	s_cbranch_execnz .LBB6_2276
.LBB6_643:                              ;   in Loop: Header=BB6_143 Depth=2
	s_or_b32 exec_lo, exec_lo, s27
	s_and_saveexec_b32 s26, s11
	s_cbranch_execz .LBB6_645
.LBB6_644:                              ;   in Loop: Header=BB6_143 Depth=2
	v_and_b32_e32 v167, 0xffff, v164
	v_lshlrev_b32_e32 v179, 16, v26
	s_delay_alu instid0(VALU_DEP_2) | instskip(NEXT) | instid1(VALU_DEP_1)
	v_and_b32_e32 v176, 7, v167
	v_clz_i32_u32_e32 v177, v176
	s_delay_alu instid0(VALU_DEP_1) | instskip(NEXT) | instid1(VALU_DEP_1)
	v_min_u32_e32 v177, 32, v177
	v_subrev_nc_u32_e32 v178, 28, v177
	v_sub_nc_u32_e32 v177, 29, v177
	s_delay_alu instid0(VALU_DEP_2) | instskip(SKIP_1) | instid1(VALU_DEP_2)
	v_lshlrev_b32_e32 v178, v178, v167
	v_bfe_u32 v167, v167, 3, 4
	v_and_b32_e32 v178, 7, v178
	s_delay_alu instid0(VALU_DEP_2) | instskip(NEXT) | instid1(VALU_DEP_2)
	v_cmp_eq_u32_e32 vcc_lo, 0, v167
	v_dual_cndmask_b32 v167, v167, v177 :: v_dual_cndmask_b32 v176, v176, v178
	v_and_b32_e32 v177, 0x80000000, v179
	s_delay_alu instid0(VALU_DEP_2) | instskip(NEXT) | instid1(VALU_DEP_3)
	v_lshl_add_u32 v167, v167, 23, 0x3b800000
	v_lshlrev_b32_e32 v176, 20, v176
	s_delay_alu instid0(VALU_DEP_1)
	v_or3_b32 v167, v177, v167, v176
.LBB6_645:                              ;   in Loop: Header=BB6_143 Depth=2
	s_or_b32 exec_lo, exec_lo, s26
	s_delay_alu instid0(VALU_DEP_1) | instskip(SKIP_1) | instid1(VALU_DEP_1)
	v_dual_max_f32 v167, v167, v167 :: v_dual_max_f32 v166, v166, v166
	s_mov_b32 s11, 0
	v_max_f32_e32 v166, v166, v167
	s_branch .LBB6_647
.LBB6_646:                              ;   in Loop: Header=BB6_143 Depth=2
	s_mov_b32 s11, -1
                                        ; implicit-def: $vgpr166
.LBB6_647:                              ;   in Loop: Header=BB6_143 Depth=2
	s_delay_alu instid0(SALU_CYCLE_1)
	s_and_b32 vcc_lo, exec_lo, s11
	s_cbranch_vccz .LBB6_657
; %bb.648:                              ;   in Loop: Header=BB6_143 Depth=2
	s_mov_b32 s11, 0
	s_mov_b32 s27, exec_lo
                                        ; implicit-def: $sgpr26
	v_cmpx_lt_i16_e64 0x7f, v165
	s_xor_b32 s27, exec_lo, s27
	s_cbranch_execnz .LBB6_2277
; %bb.649:                              ;   in Loop: Header=BB6_143 Depth=2
	s_or_saveexec_b32 s27, s27
	v_mov_b32_e32 v166, s26
	s_xor_b32 exec_lo, exec_lo, s27
	s_cbranch_execnz .LBB6_2280
.LBB6_650:                              ;   in Loop: Header=BB6_143 Depth=2
	s_or_b32 exec_lo, exec_lo, s27
	s_and_saveexec_b32 s26, s11
	s_cbranch_execz .LBB6_652
.LBB6_651:                              ;   in Loop: Header=BB6_143 Depth=2
	v_and_b32_e32 v165, 0xffff, v165
	v_lshlrev_b32_e32 v177, 16, v32
	s_delay_alu instid0(VALU_DEP_2) | instskip(NEXT) | instid1(VALU_DEP_1)
	v_and_b32_e32 v166, 7, v165
	v_clz_i32_u32_e32 v167, v166
	s_delay_alu instid0(VALU_DEP_1) | instskip(NEXT) | instid1(VALU_DEP_1)
	v_min_u32_e32 v167, 32, v167
	v_subrev_nc_u32_e32 v176, 28, v167
	v_sub_nc_u32_e32 v167, 29, v167
	s_delay_alu instid0(VALU_DEP_2) | instskip(SKIP_1) | instid1(VALU_DEP_2)
	v_lshlrev_b32_e32 v176, v176, v165
	v_bfe_u32 v165, v165, 3, 4
	v_and_b32_e32 v176, 7, v176
	s_delay_alu instid0(VALU_DEP_2) | instskip(NEXT) | instid1(VALU_DEP_2)
	v_cmp_eq_u32_e32 vcc_lo, 0, v165
	v_dual_cndmask_b32 v165, v165, v167 :: v_dual_cndmask_b32 v166, v166, v176
	v_and_b32_e32 v167, 0x80000000, v177
	s_delay_alu instid0(VALU_DEP_2) | instskip(NEXT) | instid1(VALU_DEP_3)
	v_lshl_add_u32 v165, v165, 23, 0x3b800000
	v_lshlrev_b32_e32 v166, 20, v166
	s_delay_alu instid0(VALU_DEP_1)
	v_or3_b32 v166, v167, v165, v166
.LBB6_652:                              ;   in Loop: Header=BB6_143 Depth=2
	s_or_b32 exec_lo, exec_lo, s26
	s_mov_b32 s11, 0
	s_mov_b32 s27, exec_lo
                                        ; implicit-def: $sgpr26
	v_cmpx_lt_i16_e64 0x7f, v164
	s_xor_b32 s27, exec_lo, s27
	s_cbranch_execnz .LBB6_2281
; %bb.653:                              ;   in Loop: Header=BB6_143 Depth=2
	s_or_saveexec_b32 s27, s27
	v_mov_b32_e32 v165, s26
	s_xor_b32 exec_lo, exec_lo, s27
	s_cbranch_execnz .LBB6_2284
.LBB6_654:                              ;   in Loop: Header=BB6_143 Depth=2
	s_or_b32 exec_lo, exec_lo, s27
	s_and_saveexec_b32 s26, s11
	s_cbranch_execz .LBB6_656
.LBB6_655:                              ;   in Loop: Header=BB6_143 Depth=2
	v_and_b32_e32 v164, 0xffff, v164
	v_lshlrev_b32_e32 v177, 16, v26
	s_delay_alu instid0(VALU_DEP_2) | instskip(NEXT) | instid1(VALU_DEP_1)
	v_and_b32_e32 v165, 7, v164
	v_clz_i32_u32_e32 v167, v165
	s_delay_alu instid0(VALU_DEP_1) | instskip(NEXT) | instid1(VALU_DEP_1)
	v_min_u32_e32 v167, 32, v167
	v_subrev_nc_u32_e32 v176, 28, v167
	v_sub_nc_u32_e32 v167, 29, v167
	s_delay_alu instid0(VALU_DEP_2) | instskip(SKIP_1) | instid1(VALU_DEP_2)
	v_lshlrev_b32_e32 v176, v176, v164
	v_bfe_u32 v164, v164, 3, 4
	v_and_b32_e32 v176, 7, v176
	s_delay_alu instid0(VALU_DEP_2) | instskip(NEXT) | instid1(VALU_DEP_2)
	v_cmp_eq_u32_e32 vcc_lo, 0, v164
	v_dual_cndmask_b32 v164, v164, v167 :: v_dual_cndmask_b32 v165, v165, v176
	v_and_b32_e32 v167, 0x80000000, v177
	s_delay_alu instid0(VALU_DEP_2) | instskip(NEXT) | instid1(VALU_DEP_3)
	v_lshl_add_u32 v164, v164, 23, 0x3b800000
	v_lshlrev_b32_e32 v165, 20, v165
	s_delay_alu instid0(VALU_DEP_1)
	v_or3_b32 v165, v167, v164, v165
.LBB6_656:                              ;   in Loop: Header=BB6_143 Depth=2
	s_or_b32 exec_lo, exec_lo, s26
	s_delay_alu instid0(VALU_DEP_1) | instskip(NEXT) | instid1(VALU_DEP_1)
	v_dual_max_f32 v164, v165, v165 :: v_dual_max_f32 v165, v166, v166
	v_min_f32_e32 v166, v165, v164
.LBB6_657:                              ;   in Loop: Header=BB6_143 Depth=2
	s_delay_alu instid0(VALU_DEP_1) | instskip(NEXT) | instid1(VALU_DEP_1)
	v_and_b32_e32 v164, 0x7f800000, v166
	v_cmp_ne_u32_e32 vcc_lo, 0x7f800000, v164
	v_mov_b32_e32 v164, 0x80
	s_and_saveexec_b32 s26, vcc_lo
	s_cbranch_execz .LBB6_665
; %bb.658:                              ;   in Loop: Header=BB6_143 Depth=2
	v_mov_b32_e32 v164, 0
	s_mov_b32 s27, exec_lo
	v_cmpx_ne_u32_e32 0, v166
	s_cbranch_execz .LBB6_664
; %bb.659:                              ;   in Loop: Header=BB6_143 Depth=2
	v_bfe_u32 v164, v166, 23, 8
	v_and_b32_e32 v165, 0x7fffff, v166
	s_delay_alu instid0(VALU_DEP_2) | instskip(SKIP_1) | instid1(VALU_DEP_3)
	v_sub_nc_u32_e32 v167, 0x78, v164
	v_cmp_gt_u32_e32 vcc_lo, 0x79, v164
	v_or_b32_e32 v176, 0x800000, v165
	s_delay_alu instid0(VALU_DEP_3) | instskip(SKIP_2) | instid1(VALU_DEP_3)
	v_cndmask_b32_e32 v167, 0, v167, vcc_lo
	v_cmp_eq_u32_e32 vcc_lo, 0, v164
	v_add_nc_u32_e32 v164, 0xffffff89, v164
	v_cndmask_b32_e64 v167, v167, 0x77, vcc_lo
	v_cndmask_b32_e32 v165, v176, v165, vcc_lo
	s_delay_alu instid0(VALU_DEP_3) | instskip(NEXT) | instid1(VALU_DEP_3)
	v_cndmask_b32_e64 v164, v164, 0xffffff8a, vcc_lo
	v_lshl_add_u32 v176, 0x100000, v167, -1
	s_delay_alu instid0(VALU_DEP_3) | instskip(SKIP_1) | instid1(VALU_DEP_4)
	v_lshrrev_b32_e32 v177, v167, v165
	v_lshlrev_b32_e64 v179, v167, 0x80000
	v_add_nc_u32_e32 v167, v167, v164
	s_delay_alu instid0(VALU_DEP_4) | instskip(NEXT) | instid1(VALU_DEP_4)
	v_and_b32_e32 v165, v176, v165
	v_bfe_u32 v178, v177, 20, 1
	s_delay_alu instid0(VALU_DEP_2) | instskip(NEXT) | instid1(VALU_DEP_2)
	v_cmp_eq_u32_e64 s11, v165, v179
	v_add_nc_u32_e32 v176, -1, v178
	s_delay_alu instid0(VALU_DEP_1) | instskip(SKIP_2) | instid1(VALU_DEP_2)
	v_cndmask_b32_e64 v165, 0, v176, s11
	v_lshrrev_b32_e32 v176, 23, v177
	s_mov_b32 s11, exec_lo
	v_add_nc_u32_e32 v165, v165, v177
	s_delay_alu instid0(VALU_DEP_2) | instskip(NEXT) | instid1(VALU_DEP_2)
	v_xor_b32_e32 v176, 1, v176
	v_and_b32_e32 v164, 0xfffff, v165
	s_delay_alu instid0(VALU_DEP_1) | instskip(NEXT) | instid1(VALU_DEP_3)
	v_add_nc_u32_e32 v165, v164, v177
                                        ; implicit-def: $vgpr164
	v_cmpx_ne_u32_e64 v167, v176
	s_xor_b32 s11, exec_lo, s11
; %bb.660:                              ;   in Loop: Header=BB6_143 Depth=2
	s_delay_alu instid0(VALU_DEP_2) | instskip(SKIP_2) | instid1(VALU_DEP_2)
	v_cmp_lt_u32_e32 vcc_lo, 0xffffff, v165
	v_sub_nc_u32_e32 v164, v167, v176
	v_cndmask_b32_e64 v167, 0, 1, vcc_lo
	v_add_co_ci_u32_e32 v164, vcc_lo, 0, v164, vcc_lo
	s_delay_alu instid0(VALU_DEP_2)
	v_lshrrev_b32_e32 v165, v167, v165
; %bb.661:                              ;   in Loop: Header=BB6_143 Depth=2
	s_and_not1_saveexec_b32 s11, s11
; %bb.662:                              ;   in Loop: Header=BB6_143 Depth=2
	s_delay_alu instid0(VALU_DEP_1)
	v_bfe_u32 v164, v165, 23, 1
; %bb.663:                              ;   in Loop: Header=BB6_143 Depth=2
	s_or_b32 exec_lo, exec_lo, s11
	v_lshrrev_b32_e32 v165, 20, v165
	s_delay_alu instid0(VALU_DEP_2) | instskip(SKIP_2) | instid1(VALU_DEP_2)
	v_cmp_gt_i32_e32 vcc_lo, 16, v164
	v_lshrrev_b32_e32 v166, 24, v166
	v_min_i32_e32 v167, 15, v164
	v_dual_cndmask_b32 v165, 7, v165 :: v_dual_and_b32 v166, 0x80, v166
	s_delay_alu instid0(VALU_DEP_1) | instskip(SKIP_1) | instid1(VALU_DEP_2)
	v_or_b32_e32 v164, v164, v165
	v_and_b32_e32 v176, 7, v165
	v_cmp_ne_u32_e32 vcc_lo, 0, v164
	v_lshlrev_b32_e32 v167, 3, v167
	s_delay_alu instid0(VALU_DEP_1) | instskip(NEXT) | instid1(VALU_DEP_1)
	v_or3_b32 v165, v167, v166, v176
	v_cndmask_b32_e32 v164, 0, v165, vcc_lo
.LBB6_664:                              ;   in Loop: Header=BB6_143 Depth=2
	s_or_b32 exec_lo, exec_lo, s27
.LBB6_665:                              ;   in Loop: Header=BB6_143 Depth=2
	s_delay_alu instid0(SALU_CYCLE_1)
	s_or_b32 exec_lo, exec_lo, s26
	v_lshrrev_b32_e32 v166, 16, v32
	v_lshrrev_b32_e32 v165, 16, v26
	s_and_not1_b32 vcc_lo, exec_lo, s25
	s_cbranch_vccnz .LBB6_675
; %bb.666:                              ;   in Loop: Header=BB6_143 Depth=2
	s_delay_alu instid0(VALU_DEP_2) | instskip(SKIP_2) | instid1(VALU_DEP_1)
	v_and_b32_e32 v176, 0xff, v166
	s_mov_b32 s11, 0
	s_mov_b32 s27, exec_lo
                                        ; implicit-def: $sgpr26
	v_cmpx_lt_i16_e64 0x7f, v176
	s_xor_b32 s27, exec_lo, s27
	s_cbranch_execnz .LBB6_2285
; %bb.667:                              ;   in Loop: Header=BB6_143 Depth=2
	s_or_saveexec_b32 s27, s27
	v_mov_b32_e32 v167, s26
	s_xor_b32 exec_lo, exec_lo, s27
	s_cbranch_execnz .LBB6_2288
.LBB6_668:                              ;   in Loop: Header=BB6_143 Depth=2
	s_or_b32 exec_lo, exec_lo, s27
	s_and_saveexec_b32 s26, s11
	s_cbranch_execz .LBB6_670
.LBB6_669:                              ;   in Loop: Header=BB6_143 Depth=2
	v_bfe_u32 v167, v32, 16, 3
	v_bfe_u32 v178, v32, 19, 4
	v_lshlrev_b32_e32 v179, 24, v166
	s_delay_alu instid0(VALU_DEP_3) | instskip(NEXT) | instid1(VALU_DEP_3)
	v_clz_i32_u32_e32 v176, v167
	v_cmp_eq_u32_e32 vcc_lo, 0, v178
	s_delay_alu instid0(VALU_DEP_2) | instskip(NEXT) | instid1(VALU_DEP_1)
	v_min_u32_e32 v176, 32, v176
	v_subrev_nc_u32_e32 v177, 28, v176
	v_sub_nc_u32_e32 v176, 29, v176
	s_delay_alu instid0(VALU_DEP_1) | instskip(NEXT) | instid1(VALU_DEP_1)
	v_dual_cndmask_b32 v176, v178, v176 :: v_dual_lshlrev_b32 v177, v177, v166
	v_and_b32_e32 v177, 7, v177
	s_delay_alu instid0(VALU_DEP_2) | instskip(NEXT) | instid1(VALU_DEP_2)
	v_lshl_add_u32 v176, v176, 23, 0x3b800000
	v_cndmask_b32_e32 v167, v167, v177, vcc_lo
	v_and_b32_e32 v177, 0x80000000, v179
	s_delay_alu instid0(VALU_DEP_2) | instskip(NEXT) | instid1(VALU_DEP_1)
	v_lshlrev_b32_e32 v167, 20, v167
	v_or3_b32 v167, v177, v176, v167
.LBB6_670:                              ;   in Loop: Header=BB6_143 Depth=2
	s_or_b32 exec_lo, exec_lo, s26
	v_and_b32_e32 v177, 0xff, v165
	s_mov_b32 s11, 0
	s_mov_b32 s27, exec_lo
                                        ; implicit-def: $sgpr26
	s_delay_alu instid0(VALU_DEP_1)
	v_cmpx_lt_i16_e64 0x7f, v177
	s_xor_b32 s27, exec_lo, s27
	s_cbranch_execnz .LBB6_2289
; %bb.671:                              ;   in Loop: Header=BB6_143 Depth=2
	s_or_saveexec_b32 s27, s27
	v_mov_b32_e32 v176, s26
	s_xor_b32 exec_lo, exec_lo, s27
	s_cbranch_execnz .LBB6_2292
.LBB6_672:                              ;   in Loop: Header=BB6_143 Depth=2
	s_or_b32 exec_lo, exec_lo, s27
	s_and_saveexec_b32 s26, s11
	s_cbranch_execz .LBB6_674
.LBB6_673:                              ;   in Loop: Header=BB6_143 Depth=2
	v_bfe_u32 v176, v26, 16, 3
	v_bfe_u32 v179, v26, 19, 4
	v_lshlrev_b32_e32 v180, 24, v165
	s_delay_alu instid0(VALU_DEP_3) | instskip(NEXT) | instid1(VALU_DEP_3)
	v_clz_i32_u32_e32 v177, v176
	v_cmp_eq_u32_e32 vcc_lo, 0, v179
	s_delay_alu instid0(VALU_DEP_2) | instskip(NEXT) | instid1(VALU_DEP_1)
	v_min_u32_e32 v177, 32, v177
	v_subrev_nc_u32_e32 v178, 28, v177
	v_sub_nc_u32_e32 v177, 29, v177
	s_delay_alu instid0(VALU_DEP_2) | instskip(NEXT) | instid1(VALU_DEP_1)
	v_lshlrev_b32_e32 v178, v178, v165
	v_dual_cndmask_b32 v177, v179, v177 :: v_dual_and_b32 v178, 7, v178
	s_delay_alu instid0(VALU_DEP_1) | instskip(NEXT) | instid1(VALU_DEP_2)
	v_lshl_add_u32 v177, v177, 23, 0x3b800000
	v_cndmask_b32_e32 v176, v176, v178, vcc_lo
	v_and_b32_e32 v178, 0x80000000, v180
	s_delay_alu instid0(VALU_DEP_2) | instskip(NEXT) | instid1(VALU_DEP_1)
	v_lshlrev_b32_e32 v176, 20, v176
	v_or3_b32 v176, v178, v177, v176
.LBB6_674:                              ;   in Loop: Header=BB6_143 Depth=2
	s_or_b32 exec_lo, exec_lo, s26
	s_delay_alu instid0(VALU_DEP_1) | instskip(SKIP_1) | instid1(VALU_DEP_1)
	v_dual_max_f32 v176, v176, v176 :: v_dual_max_f32 v167, v167, v167
	s_mov_b32 s11, 0
	v_max_f32_e32 v167, v167, v176
	s_branch .LBB6_676
.LBB6_675:                              ;   in Loop: Header=BB6_143 Depth=2
	s_mov_b32 s11, -1
                                        ; implicit-def: $vgpr167
.LBB6_676:                              ;   in Loop: Header=BB6_143 Depth=2
	s_delay_alu instid0(SALU_CYCLE_1)
	s_and_b32 vcc_lo, exec_lo, s11
	s_cbranch_vccz .LBB6_686
; %bb.677:                              ;   in Loop: Header=BB6_143 Depth=2
	v_and_b32_e32 v176, 0xff, v166
	s_mov_b32 s11, 0
	s_mov_b32 s27, exec_lo
                                        ; implicit-def: $sgpr26
	s_delay_alu instid0(VALU_DEP_1)
	v_cmpx_lt_i16_e64 0x7f, v176
	s_xor_b32 s27, exec_lo, s27
	s_cbranch_execnz .LBB6_2293
; %bb.678:                              ;   in Loop: Header=BB6_143 Depth=2
	s_or_saveexec_b32 s27, s27
	v_mov_b32_e32 v167, s26
	s_xor_b32 exec_lo, exec_lo, s27
	s_cbranch_execnz .LBB6_2296
.LBB6_679:                              ;   in Loop: Header=BB6_143 Depth=2
	s_or_b32 exec_lo, exec_lo, s27
	s_and_saveexec_b32 s26, s11
	s_cbranch_execz .LBB6_681
.LBB6_680:                              ;   in Loop: Header=BB6_143 Depth=2
	v_bfe_u32 v167, v32, 16, 3
	v_bfe_u32 v178, v32, 19, 4
	s_delay_alu instid0(VALU_DEP_2) | instskip(NEXT) | instid1(VALU_DEP_2)
	v_clz_i32_u32_e32 v176, v167
	v_cmp_eq_u32_e32 vcc_lo, 0, v178
	s_delay_alu instid0(VALU_DEP_2) | instskip(NEXT) | instid1(VALU_DEP_1)
	v_min_u32_e32 v176, 32, v176
	v_subrev_nc_u32_e32 v177, 28, v176
	v_sub_nc_u32_e32 v176, 29, v176
	s_delay_alu instid0(VALU_DEP_1) | instskip(NEXT) | instid1(VALU_DEP_1)
	v_dual_cndmask_b32 v176, v178, v176 :: v_dual_lshlrev_b32 v177, v177, v166
	v_and_b32_e32 v177, 7, v177
	v_lshlrev_b32_e32 v166, 24, v166
	s_delay_alu instid0(VALU_DEP_3) | instskip(NEXT) | instid1(VALU_DEP_2)
	v_lshl_add_u32 v176, v176, 23, 0x3b800000
	v_dual_cndmask_b32 v167, v167, v177 :: v_dual_and_b32 v166, 0x80000000, v166
	s_delay_alu instid0(VALU_DEP_1) | instskip(NEXT) | instid1(VALU_DEP_1)
	v_lshlrev_b32_e32 v167, 20, v167
	v_or3_b32 v167, v166, v176, v167
.LBB6_681:                              ;   in Loop: Header=BB6_143 Depth=2
	s_or_b32 exec_lo, exec_lo, s26
	v_and_b32_e32 v176, 0xff, v165
	s_mov_b32 s11, 0
	s_mov_b32 s27, exec_lo
                                        ; implicit-def: $sgpr26
	s_delay_alu instid0(VALU_DEP_1)
	v_cmpx_lt_i16_e64 0x7f, v176
	s_xor_b32 s27, exec_lo, s27
	s_cbranch_execnz .LBB6_2297
; %bb.682:                              ;   in Loop: Header=BB6_143 Depth=2
	s_or_saveexec_b32 s27, s27
	v_mov_b32_e32 v166, s26
	s_xor_b32 exec_lo, exec_lo, s27
	s_cbranch_execnz .LBB6_2300
.LBB6_683:                              ;   in Loop: Header=BB6_143 Depth=2
	s_or_b32 exec_lo, exec_lo, s27
	s_and_saveexec_b32 s26, s11
	s_cbranch_execz .LBB6_685
.LBB6_684:                              ;   in Loop: Header=BB6_143 Depth=2
	v_bfe_u32 v166, v26, 16, 3
	v_bfe_u32 v178, v26, 19, 4
	s_delay_alu instid0(VALU_DEP_2) | instskip(NEXT) | instid1(VALU_DEP_2)
	v_clz_i32_u32_e32 v176, v166
	v_cmp_eq_u32_e32 vcc_lo, 0, v178
	s_delay_alu instid0(VALU_DEP_2) | instskip(NEXT) | instid1(VALU_DEP_1)
	v_min_u32_e32 v176, 32, v176
	v_subrev_nc_u32_e32 v177, 28, v176
	v_sub_nc_u32_e32 v176, 29, v176
	s_delay_alu instid0(VALU_DEP_1) | instskip(SKIP_1) | instid1(VALU_DEP_2)
	v_dual_cndmask_b32 v176, v178, v176 :: v_dual_lshlrev_b32 v177, v177, v165
	v_lshlrev_b32_e32 v165, 24, v165
	v_and_b32_e32 v177, 7, v177
	s_delay_alu instid0(VALU_DEP_3) | instskip(NEXT) | instid1(VALU_DEP_3)
	v_lshl_add_u32 v176, v176, 23, 0x3b800000
	v_and_b32_e32 v165, 0x80000000, v165
	s_delay_alu instid0(VALU_DEP_3) | instskip(NEXT) | instid1(VALU_DEP_1)
	v_cndmask_b32_e32 v166, v166, v177, vcc_lo
	v_lshlrev_b32_e32 v166, 20, v166
	s_delay_alu instid0(VALU_DEP_1)
	v_or3_b32 v166, v165, v176, v166
.LBB6_685:                              ;   in Loop: Header=BB6_143 Depth=2
	s_or_b32 exec_lo, exec_lo, s26
	s_delay_alu instid0(VALU_DEP_1) | instskip(NEXT) | instid1(VALU_DEP_1)
	v_dual_max_f32 v165, v166, v166 :: v_dual_max_f32 v166, v167, v167
	v_min_f32_e32 v167, v166, v165
.LBB6_686:                              ;   in Loop: Header=BB6_143 Depth=2
	s_delay_alu instid0(VALU_DEP_1) | instskip(NEXT) | instid1(VALU_DEP_1)
	v_and_b32_e32 v165, 0x7f800000, v167
	v_cmp_ne_u32_e32 vcc_lo, 0x7f800000, v165
	v_mov_b32_e32 v165, 0x80
	s_and_saveexec_b32 s26, vcc_lo
	s_cbranch_execz .LBB6_694
; %bb.687:                              ;   in Loop: Header=BB6_143 Depth=2
	v_mov_b32_e32 v165, 0
	s_mov_b32 s27, exec_lo
	v_cmpx_ne_u32_e32 0, v167
	s_cbranch_execz .LBB6_693
; %bb.688:                              ;   in Loop: Header=BB6_143 Depth=2
	v_bfe_u32 v165, v167, 23, 8
	v_and_b32_e32 v166, 0x7fffff, v167
	s_delay_alu instid0(VALU_DEP_2) | instskip(SKIP_1) | instid1(VALU_DEP_3)
	v_sub_nc_u32_e32 v176, 0x78, v165
	v_cmp_gt_u32_e32 vcc_lo, 0x79, v165
	v_or_b32_e32 v177, 0x800000, v166
	s_delay_alu instid0(VALU_DEP_3) | instskip(SKIP_2) | instid1(VALU_DEP_3)
	v_cndmask_b32_e32 v176, 0, v176, vcc_lo
	v_cmp_eq_u32_e32 vcc_lo, 0, v165
	v_add_nc_u32_e32 v165, 0xffffff89, v165
	v_cndmask_b32_e64 v176, v176, 0x77, vcc_lo
	v_cndmask_b32_e32 v166, v177, v166, vcc_lo
	s_delay_alu instid0(VALU_DEP_3) | instskip(NEXT) | instid1(VALU_DEP_3)
	v_cndmask_b32_e64 v165, v165, 0xffffff8a, vcc_lo
	v_lshl_add_u32 v177, 0x100000, v176, -1
	s_delay_alu instid0(VALU_DEP_3) | instskip(SKIP_1) | instid1(VALU_DEP_4)
	v_lshrrev_b32_e32 v178, v176, v166
	v_lshlrev_b32_e64 v180, v176, 0x80000
	v_add_nc_u32_e32 v176, v176, v165
	s_delay_alu instid0(VALU_DEP_4) | instskip(NEXT) | instid1(VALU_DEP_4)
	v_and_b32_e32 v166, v177, v166
	v_bfe_u32 v179, v178, 20, 1
	s_delay_alu instid0(VALU_DEP_2) | instskip(NEXT) | instid1(VALU_DEP_2)
	v_cmp_eq_u32_e64 s11, v166, v180
	v_add_nc_u32_e32 v177, -1, v179
	s_delay_alu instid0(VALU_DEP_1) | instskip(SKIP_2) | instid1(VALU_DEP_2)
	v_cndmask_b32_e64 v166, 0, v177, s11
	v_lshrrev_b32_e32 v177, 23, v178
	s_mov_b32 s11, exec_lo
	v_add_nc_u32_e32 v166, v166, v178
	s_delay_alu instid0(VALU_DEP_2) | instskip(NEXT) | instid1(VALU_DEP_2)
	v_xor_b32_e32 v177, 1, v177
	v_and_b32_e32 v165, 0xfffff, v166
	s_delay_alu instid0(VALU_DEP_1) | instskip(NEXT) | instid1(VALU_DEP_3)
	v_add_nc_u32_e32 v166, v165, v178
                                        ; implicit-def: $vgpr165
	v_cmpx_ne_u32_e64 v176, v177
	s_xor_b32 s11, exec_lo, s11
; %bb.689:                              ;   in Loop: Header=BB6_143 Depth=2
	s_delay_alu instid0(VALU_DEP_2) | instskip(SKIP_2) | instid1(VALU_DEP_2)
	v_cmp_lt_u32_e32 vcc_lo, 0xffffff, v166
	v_sub_nc_u32_e32 v165, v176, v177
	v_cndmask_b32_e64 v176, 0, 1, vcc_lo
	v_add_co_ci_u32_e32 v165, vcc_lo, 0, v165, vcc_lo
	s_delay_alu instid0(VALU_DEP_2)
	v_lshrrev_b32_e32 v166, v176, v166
; %bb.690:                              ;   in Loop: Header=BB6_143 Depth=2
	s_and_not1_saveexec_b32 s11, s11
; %bb.691:                              ;   in Loop: Header=BB6_143 Depth=2
	s_delay_alu instid0(VALU_DEP_1)
	v_bfe_u32 v165, v166, 23, 1
; %bb.692:                              ;   in Loop: Header=BB6_143 Depth=2
	s_or_b32 exec_lo, exec_lo, s11
	v_lshrrev_b32_e32 v166, 20, v166
	s_delay_alu instid0(VALU_DEP_2) | instskip(SKIP_2) | instid1(VALU_DEP_2)
	v_cmp_gt_i32_e32 vcc_lo, 16, v165
	v_lshrrev_b32_e32 v167, 24, v167
	v_min_i32_e32 v176, 15, v165
	v_dual_cndmask_b32 v166, 7, v166 :: v_dual_and_b32 v167, 0x80, v167
	s_delay_alu instid0(VALU_DEP_1) | instskip(SKIP_1) | instid1(VALU_DEP_2)
	v_or_b32_e32 v165, v165, v166
	v_and_b32_e32 v177, 7, v166
	v_cmp_ne_u32_e32 vcc_lo, 0, v165
	v_lshlrev_b32_e32 v176, 3, v176
	s_delay_alu instid0(VALU_DEP_1) | instskip(NEXT) | instid1(VALU_DEP_1)
	v_or3_b32 v166, v176, v167, v177
	v_cndmask_b32_e32 v165, 0, v166, vcc_lo
.LBB6_693:                              ;   in Loop: Header=BB6_143 Depth=2
	s_or_b32 exec_lo, exec_lo, s27
.LBB6_694:                              ;   in Loop: Header=BB6_143 Depth=2
	s_delay_alu instid0(SALU_CYCLE_1)
	s_or_b32 exec_lo, exec_lo, s26
	v_lshrrev_b32_e32 v167, 24, v32
	v_lshrrev_b32_e32 v166, 24, v26
	s_and_not1_b32 vcc_lo, exec_lo, s25
	s_cbranch_vccnz .LBB6_704
; %bb.695:                              ;   in Loop: Header=BB6_143 Depth=2
	s_mov_b32 s11, 0
	s_mov_b32 s27, exec_lo
                                        ; implicit-def: $sgpr26
	v_cmpx_lt_i16_e64 0x7f, v167
	s_xor_b32 s27, exec_lo, s27
	s_cbranch_execnz .LBB6_2301
; %bb.696:                              ;   in Loop: Header=BB6_143 Depth=2
	s_or_saveexec_b32 s27, s27
	v_mov_b32_e32 v176, s26
	s_xor_b32 exec_lo, exec_lo, s27
	s_cbranch_execnz .LBB6_2304
.LBB6_697:                              ;   in Loop: Header=BB6_143 Depth=2
	s_or_b32 exec_lo, exec_lo, s27
	s_and_saveexec_b32 s26, s11
	s_cbranch_execz .LBB6_699
.LBB6_698:                              ;   in Loop: Header=BB6_143 Depth=2
	v_bfe_u32 v176, v32, 24, 3
	v_bfe_u32 v179, v32, 27, 4
	s_delay_alu instid0(VALU_DEP_2) | instskip(NEXT) | instid1(VALU_DEP_2)
	v_clz_i32_u32_e32 v177, v176
	v_cmp_eq_u32_e32 vcc_lo, 0, v179
	s_delay_alu instid0(VALU_DEP_2) | instskip(NEXT) | instid1(VALU_DEP_1)
	v_min_u32_e32 v177, 32, v177
	v_subrev_nc_u32_e32 v178, 28, v177
	v_sub_nc_u32_e32 v177, 29, v177
	s_delay_alu instid0(VALU_DEP_1) | instskip(NEXT) | instid1(VALU_DEP_1)
	v_dual_cndmask_b32 v177, v179, v177 :: v_dual_lshlrev_b32 v178, v178, v167
	v_and_b32_e32 v178, 7, v178
	s_delay_alu instid0(VALU_DEP_2) | instskip(NEXT) | instid1(VALU_DEP_2)
	v_lshl_add_u32 v177, v177, 23, 0x3b800000
	v_cndmask_b32_e32 v176, v176, v178, vcc_lo
	v_and_b32_e32 v178, 0x80000000, v32
	s_delay_alu instid0(VALU_DEP_2) | instskip(NEXT) | instid1(VALU_DEP_1)
	v_lshlrev_b32_e32 v176, 20, v176
	v_or3_b32 v176, v178, v177, v176
.LBB6_699:                              ;   in Loop: Header=BB6_143 Depth=2
	s_or_b32 exec_lo, exec_lo, s26
	s_mov_b32 s11, 0
	s_mov_b32 s27, exec_lo
                                        ; implicit-def: $sgpr26
	v_cmpx_lt_i16_e64 0x7f, v166
	s_xor_b32 s27, exec_lo, s27
	s_cbranch_execnz .LBB6_2305
; %bb.700:                              ;   in Loop: Header=BB6_143 Depth=2
	s_or_saveexec_b32 s27, s27
	v_mov_b32_e32 v177, s26
	s_xor_b32 exec_lo, exec_lo, s27
	s_cbranch_execnz .LBB6_2308
.LBB6_701:                              ;   in Loop: Header=BB6_143 Depth=2
	s_or_b32 exec_lo, exec_lo, s27
	s_and_saveexec_b32 s26, s11
	s_cbranch_execz .LBB6_703
.LBB6_702:                              ;   in Loop: Header=BB6_143 Depth=2
	v_bfe_u32 v177, v26, 24, 3
	v_bfe_u32 v180, v26, 27, 4
	s_delay_alu instid0(VALU_DEP_2) | instskip(NEXT) | instid1(VALU_DEP_2)
	v_clz_i32_u32_e32 v178, v177
	v_cmp_eq_u32_e32 vcc_lo, 0, v180
	s_delay_alu instid0(VALU_DEP_2) | instskip(NEXT) | instid1(VALU_DEP_1)
	v_min_u32_e32 v178, 32, v178
	v_subrev_nc_u32_e32 v179, 28, v178
	v_sub_nc_u32_e32 v178, 29, v178
	s_delay_alu instid0(VALU_DEP_2) | instskip(NEXT) | instid1(VALU_DEP_1)
	v_lshlrev_b32_e32 v179, v179, v166
	v_dual_cndmask_b32 v178, v180, v178 :: v_dual_and_b32 v179, 7, v179
	s_delay_alu instid0(VALU_DEP_1) | instskip(NEXT) | instid1(VALU_DEP_2)
	v_lshl_add_u32 v178, v178, 23, 0x3b800000
	v_cndmask_b32_e32 v177, v177, v179, vcc_lo
	v_and_b32_e32 v179, 0x80000000, v26
	s_delay_alu instid0(VALU_DEP_2) | instskip(NEXT) | instid1(VALU_DEP_1)
	v_lshlrev_b32_e32 v177, 20, v177
	v_or3_b32 v177, v179, v178, v177
.LBB6_703:                              ;   in Loop: Header=BB6_143 Depth=2
	s_or_b32 exec_lo, exec_lo, s26
	s_delay_alu instid0(VALU_DEP_1) | instskip(SKIP_1) | instid1(VALU_DEP_1)
	v_dual_max_f32 v177, v177, v177 :: v_dual_max_f32 v176, v176, v176
	s_mov_b32 s11, 0
	v_max_f32_e32 v176, v176, v177
	s_branch .LBB6_705
.LBB6_704:                              ;   in Loop: Header=BB6_143 Depth=2
	s_mov_b32 s11, -1
                                        ; implicit-def: $vgpr176
.LBB6_705:                              ;   in Loop: Header=BB6_143 Depth=2
	s_delay_alu instid0(SALU_CYCLE_1)
	s_and_b32 vcc_lo, exec_lo, s11
	s_cbranch_vccz .LBB6_715
; %bb.706:                              ;   in Loop: Header=BB6_143 Depth=2
	s_mov_b32 s11, 0
	s_mov_b32 s27, exec_lo
                                        ; implicit-def: $sgpr26
	v_cmpx_lt_i16_e64 0x7f, v167
	s_xor_b32 s27, exec_lo, s27
	s_cbranch_execnz .LBB6_2309
; %bb.707:                              ;   in Loop: Header=BB6_143 Depth=2
	s_or_saveexec_b32 s27, s27
	v_mov_b32_e32 v176, s26
	s_xor_b32 exec_lo, exec_lo, s27
	s_cbranch_execnz .LBB6_2312
.LBB6_708:                              ;   in Loop: Header=BB6_143 Depth=2
	s_or_b32 exec_lo, exec_lo, s27
	s_and_saveexec_b32 s26, s11
	s_cbranch_execz .LBB6_710
.LBB6_709:                              ;   in Loop: Header=BB6_143 Depth=2
	v_bfe_u32 v176, v32, 24, 3
	s_delay_alu instid0(VALU_DEP_1) | instskip(NEXT) | instid1(VALU_DEP_1)
	v_clz_i32_u32_e32 v177, v176
	v_min_u32_e32 v177, 32, v177
	s_delay_alu instid0(VALU_DEP_1) | instskip(SKIP_1) | instid1(VALU_DEP_2)
	v_subrev_nc_u32_e32 v178, 28, v177
	v_sub_nc_u32_e32 v177, 29, v177
	v_lshlrev_b32_e32 v167, v178, v167
	v_bfe_u32 v178, v32, 27, 4
	v_and_b32_e32 v32, 0x80000000, v32
	s_delay_alu instid0(VALU_DEP_3) | instskip(NEXT) | instid1(VALU_DEP_3)
	v_and_b32_e32 v167, 7, v167
	v_cmp_eq_u32_e32 vcc_lo, 0, v178
	v_cndmask_b32_e32 v177, v178, v177, vcc_lo
	s_delay_alu instid0(VALU_DEP_3) | instskip(NEXT) | instid1(VALU_DEP_2)
	v_cndmask_b32_e32 v167, v176, v167, vcc_lo
	v_lshl_add_u32 v176, v177, 23, 0x3b800000
	s_delay_alu instid0(VALU_DEP_2) | instskip(NEXT) | instid1(VALU_DEP_1)
	v_lshlrev_b32_e32 v167, 20, v167
	v_or3_b32 v176, v32, v176, v167
.LBB6_710:                              ;   in Loop: Header=BB6_143 Depth=2
	s_or_b32 exec_lo, exec_lo, s26
	s_mov_b32 s11, 0
	s_mov_b32 s27, exec_lo
                                        ; implicit-def: $sgpr26
	v_cmpx_lt_i16_e64 0x7f, v166
	s_xor_b32 s27, exec_lo, s27
	s_cbranch_execnz .LBB6_2313
; %bb.711:                              ;   in Loop: Header=BB6_143 Depth=2
	s_or_saveexec_b32 s27, s27
	v_mov_b32_e32 v32, s26
	s_xor_b32 exec_lo, exec_lo, s27
	s_cbranch_execnz .LBB6_2316
.LBB6_712:                              ;   in Loop: Header=BB6_143 Depth=2
	s_or_b32 exec_lo, exec_lo, s27
	s_and_saveexec_b32 s26, s11
	s_cbranch_execz .LBB6_714
.LBB6_713:                              ;   in Loop: Header=BB6_143 Depth=2
	v_bfe_u32 v32, v26, 24, 3
	s_delay_alu instid0(VALU_DEP_1) | instskip(NEXT) | instid1(VALU_DEP_1)
	v_clz_i32_u32_e32 v167, v32
	v_min_u32_e32 v167, 32, v167
	s_delay_alu instid0(VALU_DEP_1) | instskip(SKIP_1) | instid1(VALU_DEP_2)
	v_subrev_nc_u32_e32 v177, 28, v167
	v_sub_nc_u32_e32 v167, 29, v167
	v_lshlrev_b32_e32 v166, v177, v166
	v_bfe_u32 v177, v26, 27, 4
	v_and_b32_e32 v26, 0x80000000, v26
	s_delay_alu instid0(VALU_DEP_2) | instskip(NEXT) | instid1(VALU_DEP_4)
	v_cmp_eq_u32_e32 vcc_lo, 0, v177
	v_dual_cndmask_b32 v167, v177, v167 :: v_dual_and_b32 v166, 7, v166
	s_delay_alu instid0(VALU_DEP_1) | instskip(NEXT) | instid1(VALU_DEP_2)
	v_cndmask_b32_e32 v32, v32, v166, vcc_lo
	v_lshl_add_u32 v166, v167, 23, 0x3b800000
	s_delay_alu instid0(VALU_DEP_2) | instskip(NEXT) | instid1(VALU_DEP_1)
	v_lshlrev_b32_e32 v32, 20, v32
	v_or3_b32 v32, v26, v166, v32
.LBB6_714:                              ;   in Loop: Header=BB6_143 Depth=2
	s_or_b32 exec_lo, exec_lo, s26
	s_delay_alu instid0(VALU_DEP_1) | instskip(SKIP_1) | instid1(VALU_DEP_1)
	v_max_f32_e32 v26, v32, v32
	v_max_f32_e32 v32, v176, v176
	v_min_f32_e32 v176, v32, v26
.LBB6_715:                              ;   in Loop: Header=BB6_143 Depth=2
	s_delay_alu instid0(VALU_DEP_1) | instskip(NEXT) | instid1(VALU_DEP_1)
	v_and_b32_e32 v26, 0x7f800000, v176
	v_cmp_ne_u32_e32 vcc_lo, 0x7f800000, v26
	v_mov_b32_e32 v26, 0x80
	s_and_saveexec_b32 s26, vcc_lo
	s_cbranch_execz .LBB6_723
; %bb.716:                              ;   in Loop: Header=BB6_143 Depth=2
	v_mov_b32_e32 v26, 0
	s_mov_b32 s27, exec_lo
	v_cmpx_ne_u32_e32 0, v176
	s_cbranch_execz .LBB6_722
; %bb.717:                              ;   in Loop: Header=BB6_143 Depth=2
	v_bfe_u32 v26, v176, 23, 8
	v_and_b32_e32 v32, 0x7fffff, v176
	s_delay_alu instid0(VALU_DEP_2) | instskip(SKIP_1) | instid1(VALU_DEP_3)
	v_sub_nc_u32_e32 v166, 0x78, v26
	v_cmp_gt_u32_e32 vcc_lo, 0x79, v26
	v_or_b32_e32 v167, 0x800000, v32
	s_delay_alu instid0(VALU_DEP_3) | instskip(SKIP_2) | instid1(VALU_DEP_3)
	v_cndmask_b32_e32 v166, 0, v166, vcc_lo
	v_cmp_eq_u32_e32 vcc_lo, 0, v26
	v_add_nc_u32_e32 v26, 0xffffff89, v26
	v_cndmask_b32_e64 v166, v166, 0x77, vcc_lo
	v_cndmask_b32_e32 v32, v167, v32, vcc_lo
	s_delay_alu instid0(VALU_DEP_3) | instskip(NEXT) | instid1(VALU_DEP_3)
	v_cndmask_b32_e64 v26, v26, 0xffffff8a, vcc_lo
	v_lshl_add_u32 v167, 0x100000, v166, -1
	s_delay_alu instid0(VALU_DEP_3) | instskip(SKIP_1) | instid1(VALU_DEP_4)
	v_lshrrev_b32_e32 v177, v166, v32
	v_lshlrev_b32_e64 v179, v166, 0x80000
	v_add_nc_u32_e32 v166, v166, v26
	s_delay_alu instid0(VALU_DEP_4) | instskip(NEXT) | instid1(VALU_DEP_4)
	v_and_b32_e32 v32, v167, v32
	v_bfe_u32 v178, v177, 20, 1
	s_delay_alu instid0(VALU_DEP_2) | instskip(NEXT) | instid1(VALU_DEP_2)
	v_cmp_eq_u32_e64 s11, v32, v179
	v_add_nc_u32_e32 v167, -1, v178
	s_delay_alu instid0(VALU_DEP_1) | instskip(SKIP_2) | instid1(VALU_DEP_2)
	v_cndmask_b32_e64 v32, 0, v167, s11
	v_lshrrev_b32_e32 v167, 23, v177
	s_mov_b32 s11, exec_lo
	v_add_nc_u32_e32 v32, v32, v177
	s_delay_alu instid0(VALU_DEP_2) | instskip(NEXT) | instid1(VALU_DEP_2)
	v_xor_b32_e32 v167, 1, v167
	v_and_b32_e32 v26, 0xfffff, v32
	s_delay_alu instid0(VALU_DEP_1) | instskip(NEXT) | instid1(VALU_DEP_3)
	v_add_nc_u32_e32 v32, v26, v177
                                        ; implicit-def: $vgpr26
	v_cmpx_ne_u32_e64 v166, v167
	s_xor_b32 s11, exec_lo, s11
; %bb.718:                              ;   in Loop: Header=BB6_143 Depth=2
	s_delay_alu instid0(VALU_DEP_2) | instskip(SKIP_2) | instid1(VALU_DEP_2)
	v_cmp_lt_u32_e32 vcc_lo, 0xffffff, v32
	v_sub_nc_u32_e32 v26, v166, v167
	v_cndmask_b32_e64 v166, 0, 1, vcc_lo
	v_add_co_ci_u32_e32 v26, vcc_lo, 0, v26, vcc_lo
	s_delay_alu instid0(VALU_DEP_2)
	v_lshrrev_b32_e32 v32, v166, v32
; %bb.719:                              ;   in Loop: Header=BB6_143 Depth=2
	s_and_not1_saveexec_b32 s11, s11
; %bb.720:                              ;   in Loop: Header=BB6_143 Depth=2
	s_delay_alu instid0(VALU_DEP_1)
	v_bfe_u32 v26, v32, 23, 1
; %bb.721:                              ;   in Loop: Header=BB6_143 Depth=2
	s_or_b32 exec_lo, exec_lo, s11
	v_lshrrev_b32_e32 v32, 20, v32
	s_delay_alu instid0(VALU_DEP_2) | instskip(SKIP_2) | instid1(VALU_DEP_4)
	v_cmp_gt_i32_e32 vcc_lo, 16, v26
	v_lshrrev_b32_e32 v166, 24, v176
	v_min_i32_e32 v167, 15, v26
	v_cndmask_b32_e32 v32, 7, v32, vcc_lo
	s_delay_alu instid0(VALU_DEP_3) | instskip(NEXT) | instid1(VALU_DEP_3)
	v_and_b32_e32 v166, 0x80, v166
	v_lshlrev_b32_e32 v167, 3, v167
	s_delay_alu instid0(VALU_DEP_3) | instskip(SKIP_1) | instid1(VALU_DEP_2)
	v_and_b32_e32 v176, 7, v32
	v_or_b32_e32 v26, v26, v32
	v_or3_b32 v32, v167, v166, v176
	s_delay_alu instid0(VALU_DEP_2) | instskip(NEXT) | instid1(VALU_DEP_2)
	v_cmp_ne_u32_e32 vcc_lo, 0, v26
	v_cndmask_b32_e32 v26, 0, v32, vcc_lo
.LBB6_722:                              ;   in Loop: Header=BB6_143 Depth=2
	s_or_b32 exec_lo, exec_lo, s27
.LBB6_723:                              ;   in Loop: Header=BB6_143 Depth=2
	s_delay_alu instid0(SALU_CYCLE_1) | instskip(NEXT) | instid1(SALU_CYCLE_1)
	s_or_b32 exec_lo, exec_lo, s26
	s_and_not1_b32 vcc_lo, exec_lo, s25
	s_cbranch_vccnz .LBB6_733
; %bb.724:                              ;   in Loop: Header=BB6_143 Depth=2
	v_and_b32_e32 v166, 0xff, v33
	s_mov_b32 s11, 0
	s_mov_b32 s27, exec_lo
                                        ; implicit-def: $sgpr26
	s_delay_alu instid0(VALU_DEP_1)
	v_cmpx_lt_i16_e64 0x7f, v166
	s_xor_b32 s27, exec_lo, s27
	s_cbranch_execnz .LBB6_2317
; %bb.725:                              ;   in Loop: Header=BB6_143 Depth=2
	s_or_saveexec_b32 s27, s27
	v_mov_b32_e32 v32, s26
	s_xor_b32 exec_lo, exec_lo, s27
	s_cbranch_execnz .LBB6_2320
.LBB6_726:                              ;   in Loop: Header=BB6_143 Depth=2
	s_or_b32 exec_lo, exec_lo, s27
	s_and_saveexec_b32 s26, s11
	s_cbranch_execz .LBB6_728
.LBB6_727:                              ;   in Loop: Header=BB6_143 Depth=2
	v_and_b32_e32 v32, 7, v33
	v_bfe_u32 v176, v33, 3, 4
	s_delay_alu instid0(VALU_DEP_2) | instskip(NEXT) | instid1(VALU_DEP_2)
	v_clz_i32_u32_e32 v166, v32
	v_cmp_eq_u32_e32 vcc_lo, 0, v176
	s_delay_alu instid0(VALU_DEP_2) | instskip(NEXT) | instid1(VALU_DEP_1)
	v_min_u32_e32 v166, 32, v166
	v_subrev_nc_u32_e32 v167, 28, v166
	v_sub_nc_u32_e32 v166, 29, v166
	s_delay_alu instid0(VALU_DEP_1) | instskip(NEXT) | instid1(VALU_DEP_1)
	v_dual_cndmask_b32 v166, v176, v166 :: v_dual_lshlrev_b32 v167, v167, v33
	v_and_b32_e32 v167, 7, v167
	v_lshlrev_b32_e32 v177, 24, v33
	s_delay_alu instid0(VALU_DEP_3) | instskip(NEXT) | instid1(VALU_DEP_2)
	v_lshl_add_u32 v166, v166, 23, 0x3b800000
	v_dual_cndmask_b32 v32, v32, v167 :: v_dual_and_b32 v167, 0x80000000, v177
	s_delay_alu instid0(VALU_DEP_1) | instskip(NEXT) | instid1(VALU_DEP_1)
	v_lshlrev_b32_e32 v32, 20, v32
	v_or3_b32 v32, v167, v166, v32
.LBB6_728:                              ;   in Loop: Header=BB6_143 Depth=2
	s_or_b32 exec_lo, exec_lo, s26
	v_and_b32_e32 v167, 0xff, v27
	s_mov_b32 s11, 0
	s_mov_b32 s27, exec_lo
                                        ; implicit-def: $sgpr26
	s_delay_alu instid0(VALU_DEP_1)
	v_cmpx_lt_i16_e64 0x7f, v167
	s_xor_b32 s27, exec_lo, s27
	s_cbranch_execnz .LBB6_2321
; %bb.729:                              ;   in Loop: Header=BB6_143 Depth=2
	s_or_saveexec_b32 s27, s27
	v_mov_b32_e32 v166, s26
	s_xor_b32 exec_lo, exec_lo, s27
	s_cbranch_execnz .LBB6_2324
.LBB6_730:                              ;   in Loop: Header=BB6_143 Depth=2
	s_or_b32 exec_lo, exec_lo, s27
	s_and_saveexec_b32 s26, s11
	s_cbranch_execz .LBB6_732
.LBB6_731:                              ;   in Loop: Header=BB6_143 Depth=2
	v_and_b32_e32 v166, 7, v27
	v_bfe_u32 v177, v27, 3, 4
	v_lshlrev_b32_e32 v178, 24, v27
	s_delay_alu instid0(VALU_DEP_3) | instskip(NEXT) | instid1(VALU_DEP_3)
	v_clz_i32_u32_e32 v167, v166
	v_cmp_eq_u32_e32 vcc_lo, 0, v177
	s_delay_alu instid0(VALU_DEP_2) | instskip(NEXT) | instid1(VALU_DEP_1)
	v_min_u32_e32 v167, 32, v167
	v_subrev_nc_u32_e32 v176, 28, v167
	v_sub_nc_u32_e32 v167, 29, v167
	s_delay_alu instid0(VALU_DEP_2) | instskip(NEXT) | instid1(VALU_DEP_1)
	v_lshlrev_b32_e32 v176, v176, v27
	v_dual_cndmask_b32 v167, v177, v167 :: v_dual_and_b32 v176, 7, v176
	s_delay_alu instid0(VALU_DEP_1) | instskip(NEXT) | instid1(VALU_DEP_2)
	v_lshl_add_u32 v167, v167, 23, 0x3b800000
	v_cndmask_b32_e32 v166, v166, v176, vcc_lo
	v_and_b32_e32 v176, 0x80000000, v178
	s_delay_alu instid0(VALU_DEP_2) | instskip(NEXT) | instid1(VALU_DEP_1)
	v_lshlrev_b32_e32 v166, 20, v166
	v_or3_b32 v166, v176, v167, v166
.LBB6_732:                              ;   in Loop: Header=BB6_143 Depth=2
	s_or_b32 exec_lo, exec_lo, s26
	s_delay_alu instid0(VALU_DEP_1) | instskip(SKIP_2) | instid1(VALU_DEP_1)
	v_max_f32_e32 v166, v166, v166
	v_max_f32_e32 v32, v32, v32
	s_mov_b32 s11, 0
	v_max_f32_e32 v166, v32, v166
	s_branch .LBB6_734
.LBB6_733:                              ;   in Loop: Header=BB6_143 Depth=2
	s_mov_b32 s11, -1
                                        ; implicit-def: $vgpr166
.LBB6_734:                              ;   in Loop: Header=BB6_143 Depth=2
	s_delay_alu instid0(SALU_CYCLE_1)
	s_and_b32 vcc_lo, exec_lo, s11
	s_cbranch_vccz .LBB6_744
; %bb.735:                              ;   in Loop: Header=BB6_143 Depth=2
	v_and_b32_e32 v166, 0xff, v33
	s_mov_b32 s11, 0
	s_mov_b32 s27, exec_lo
                                        ; implicit-def: $sgpr26
	s_delay_alu instid0(VALU_DEP_1)
	v_cmpx_lt_i16_e64 0x7f, v166
	s_xor_b32 s27, exec_lo, s27
	s_cbranch_execnz .LBB6_2325
; %bb.736:                              ;   in Loop: Header=BB6_143 Depth=2
	s_or_saveexec_b32 s27, s27
	v_mov_b32_e32 v32, s26
	s_xor_b32 exec_lo, exec_lo, s27
	s_cbranch_execnz .LBB6_2328
.LBB6_737:                              ;   in Loop: Header=BB6_143 Depth=2
	s_or_b32 exec_lo, exec_lo, s27
	s_and_saveexec_b32 s26, s11
	s_cbranch_execz .LBB6_739
.LBB6_738:                              ;   in Loop: Header=BB6_143 Depth=2
	v_and_b32_e32 v32, 7, v33
	v_bfe_u32 v176, v33, 3, 4
	s_delay_alu instid0(VALU_DEP_2) | instskip(NEXT) | instid1(VALU_DEP_2)
	v_clz_i32_u32_e32 v166, v32
	v_cmp_eq_u32_e32 vcc_lo, 0, v176
	s_delay_alu instid0(VALU_DEP_2) | instskip(NEXT) | instid1(VALU_DEP_1)
	v_min_u32_e32 v166, 32, v166
	v_subrev_nc_u32_e32 v167, 28, v166
	v_sub_nc_u32_e32 v166, 29, v166
	s_delay_alu instid0(VALU_DEP_1) | instskip(NEXT) | instid1(VALU_DEP_1)
	v_dual_cndmask_b32 v166, v176, v166 :: v_dual_lshlrev_b32 v167, v167, v33
	v_and_b32_e32 v167, 7, v167
	v_lshlrev_b32_e32 v177, 24, v33
	s_delay_alu instid0(VALU_DEP_3) | instskip(NEXT) | instid1(VALU_DEP_2)
	v_lshl_add_u32 v166, v166, 23, 0x3b800000
	v_dual_cndmask_b32 v32, v32, v167 :: v_dual_and_b32 v167, 0x80000000, v177
	s_delay_alu instid0(VALU_DEP_1) | instskip(NEXT) | instid1(VALU_DEP_1)
	v_lshlrev_b32_e32 v32, 20, v32
	v_or3_b32 v32, v167, v166, v32
.LBB6_739:                              ;   in Loop: Header=BB6_143 Depth=2
	s_or_b32 exec_lo, exec_lo, s26
	v_and_b32_e32 v167, 0xff, v27
	s_mov_b32 s11, 0
	s_mov_b32 s27, exec_lo
                                        ; implicit-def: $sgpr26
	s_delay_alu instid0(VALU_DEP_1)
	v_cmpx_lt_i16_e64 0x7f, v167
	s_xor_b32 s27, exec_lo, s27
	s_cbranch_execnz .LBB6_2329
; %bb.740:                              ;   in Loop: Header=BB6_143 Depth=2
	s_or_saveexec_b32 s27, s27
	v_mov_b32_e32 v166, s26
	s_xor_b32 exec_lo, exec_lo, s27
	s_cbranch_execnz .LBB6_2332
.LBB6_741:                              ;   in Loop: Header=BB6_143 Depth=2
	s_or_b32 exec_lo, exec_lo, s27
	s_and_saveexec_b32 s26, s11
	s_cbranch_execz .LBB6_743
.LBB6_742:                              ;   in Loop: Header=BB6_143 Depth=2
	v_and_b32_e32 v166, 7, v27
	v_bfe_u32 v177, v27, 3, 4
	v_lshlrev_b32_e32 v178, 24, v27
	s_delay_alu instid0(VALU_DEP_3) | instskip(NEXT) | instid1(VALU_DEP_3)
	v_clz_i32_u32_e32 v167, v166
	v_cmp_eq_u32_e32 vcc_lo, 0, v177
	s_delay_alu instid0(VALU_DEP_2) | instskip(NEXT) | instid1(VALU_DEP_1)
	v_min_u32_e32 v167, 32, v167
	v_subrev_nc_u32_e32 v176, 28, v167
	v_sub_nc_u32_e32 v167, 29, v167
	s_delay_alu instid0(VALU_DEP_2) | instskip(NEXT) | instid1(VALU_DEP_1)
	v_lshlrev_b32_e32 v176, v176, v27
	v_dual_cndmask_b32 v167, v177, v167 :: v_dual_and_b32 v176, 7, v176
	s_delay_alu instid0(VALU_DEP_1) | instskip(NEXT) | instid1(VALU_DEP_2)
	v_lshl_add_u32 v167, v167, 23, 0x3b800000
	v_cndmask_b32_e32 v166, v166, v176, vcc_lo
	v_and_b32_e32 v176, 0x80000000, v178
	s_delay_alu instid0(VALU_DEP_2) | instskip(NEXT) | instid1(VALU_DEP_1)
	v_lshlrev_b32_e32 v166, 20, v166
	v_or3_b32 v166, v176, v167, v166
.LBB6_743:                              ;   in Loop: Header=BB6_143 Depth=2
	s_or_b32 exec_lo, exec_lo, s26
	s_delay_alu instid0(VALU_DEP_1) | instskip(SKIP_1) | instid1(VALU_DEP_1)
	v_max_f32_e32 v166, v166, v166
	v_max_f32_e32 v32, v32, v32
	v_min_f32_e32 v166, v32, v166
.LBB6_744:                              ;   in Loop: Header=BB6_143 Depth=2
	s_delay_alu instid0(VALU_DEP_1) | instskip(NEXT) | instid1(VALU_DEP_1)
	v_and_b32_e32 v32, 0x7f800000, v166
	v_cmp_ne_u32_e32 vcc_lo, 0x7f800000, v32
	v_mov_b32_e32 v32, 0x80
	s_and_saveexec_b32 s26, vcc_lo
	s_cbranch_execz .LBB6_752
; %bb.745:                              ;   in Loop: Header=BB6_143 Depth=2
	v_mov_b32_e32 v32, 0
	s_mov_b32 s27, exec_lo
	v_cmpx_ne_u32_e32 0, v166
	s_cbranch_execz .LBB6_751
; %bb.746:                              ;   in Loop: Header=BB6_143 Depth=2
	v_bfe_u32 v32, v166, 23, 8
	s_delay_alu instid0(VALU_DEP_1) | instskip(SKIP_1) | instid1(VALU_DEP_2)
	v_sub_nc_u32_e32 v176, 0x78, v32
	v_cmp_gt_u32_e32 vcc_lo, 0x79, v32
	v_dual_cndmask_b32 v176, 0, v176 :: v_dual_and_b32 v167, 0x7fffff, v166
	s_delay_alu instid0(VALU_DEP_1) | instskip(SKIP_2) | instid1(VALU_DEP_4)
	v_or_b32_e32 v177, 0x800000, v167
	v_cmp_eq_u32_e32 vcc_lo, 0, v32
	v_add_nc_u32_e32 v32, 0xffffff89, v32
	v_cndmask_b32_e64 v176, v176, 0x77, vcc_lo
	s_delay_alu instid0(VALU_DEP_4) | instskip(NEXT) | instid1(VALU_DEP_3)
	v_cndmask_b32_e32 v167, v177, v167, vcc_lo
	v_cndmask_b32_e64 v32, v32, 0xffffff8a, vcc_lo
	s_delay_alu instid0(VALU_DEP_3) | instskip(NEXT) | instid1(VALU_DEP_3)
	v_lshl_add_u32 v177, 0x100000, v176, -1
	v_lshrrev_b32_e32 v178, v176, v167
	v_lshlrev_b32_e64 v180, v176, 0x80000
	s_delay_alu instid0(VALU_DEP_4) | instskip(NEXT) | instid1(VALU_DEP_4)
	v_add_nc_u32_e32 v176, v176, v32
	v_and_b32_e32 v167, v177, v167
	s_delay_alu instid0(VALU_DEP_4) | instskip(NEXT) | instid1(VALU_DEP_2)
	v_bfe_u32 v179, v178, 20, 1
	v_cmp_eq_u32_e64 s11, v167, v180
	s_delay_alu instid0(VALU_DEP_2) | instskip(NEXT) | instid1(VALU_DEP_1)
	v_add_nc_u32_e32 v177, -1, v179
	v_cndmask_b32_e64 v167, 0, v177, s11
	v_lshrrev_b32_e32 v177, 23, v178
	s_mov_b32 s11, exec_lo
	s_delay_alu instid0(VALU_DEP_2) | instskip(NEXT) | instid1(VALU_DEP_2)
	v_add_nc_u32_e32 v167, v167, v178
	v_xor_b32_e32 v177, 1, v177
	s_delay_alu instid0(VALU_DEP_2) | instskip(NEXT) | instid1(VALU_DEP_1)
	v_and_b32_e32 v32, 0xfffff, v167
	v_add_nc_u32_e32 v167, v32, v178
                                        ; implicit-def: $vgpr32
	s_delay_alu instid0(VALU_DEP_3)
	v_cmpx_ne_u32_e64 v176, v177
	s_xor_b32 s11, exec_lo, s11
; %bb.747:                              ;   in Loop: Header=BB6_143 Depth=2
	s_delay_alu instid0(VALU_DEP_2) | instskip(SKIP_2) | instid1(VALU_DEP_2)
	v_cmp_lt_u32_e32 vcc_lo, 0xffffff, v167
	v_sub_nc_u32_e32 v32, v176, v177
	v_cndmask_b32_e64 v176, 0, 1, vcc_lo
	v_add_co_ci_u32_e32 v32, vcc_lo, 0, v32, vcc_lo
	s_delay_alu instid0(VALU_DEP_2)
	v_lshrrev_b32_e32 v167, v176, v167
; %bb.748:                              ;   in Loop: Header=BB6_143 Depth=2
	s_and_not1_saveexec_b32 s11, s11
; %bb.749:                              ;   in Loop: Header=BB6_143 Depth=2
	s_delay_alu instid0(VALU_DEP_1)
	v_bfe_u32 v32, v167, 23, 1
; %bb.750:                              ;   in Loop: Header=BB6_143 Depth=2
	s_or_b32 exec_lo, exec_lo, s11
	v_lshrrev_b32_e32 v167, 20, v167
	s_delay_alu instid0(VALU_DEP_2) | instskip(SKIP_2) | instid1(VALU_DEP_2)
	v_cmp_gt_i32_e32 vcc_lo, 16, v32
	v_lshrrev_b32_e32 v166, 24, v166
	v_min_i32_e32 v176, 15, v32
	v_dual_cndmask_b32 v167, 7, v167 :: v_dual_and_b32 v166, 0x80, v166
	s_delay_alu instid0(VALU_DEP_2) | instskip(NEXT) | instid1(VALU_DEP_2)
	v_lshlrev_b32_e32 v176, 3, v176
	v_or_b32_e32 v32, v32, v167
	s_delay_alu instid0(VALU_DEP_1) | instskip(SKIP_1) | instid1(VALU_DEP_1)
	v_cmp_ne_u32_e32 vcc_lo, 0, v32
	v_and_b32_e32 v177, 7, v167
	v_or3_b32 v166, v176, v166, v177
	s_delay_alu instid0(VALU_DEP_1)
	v_cndmask_b32_e32 v32, 0, v166, vcc_lo
.LBB6_751:                              ;   in Loop: Header=BB6_143 Depth=2
	s_or_b32 exec_lo, exec_lo, s27
.LBB6_752:                              ;   in Loop: Header=BB6_143 Depth=2
	s_delay_alu instid0(SALU_CYCLE_1)
	s_or_b32 exec_lo, exec_lo, s26
	v_lshrrev_b16 v167, 8, v33
	v_lshrrev_b16 v166, 8, v27
	s_and_not1_b32 vcc_lo, exec_lo, s25
	s_cbranch_vccnz .LBB6_762
; %bb.753:                              ;   in Loop: Header=BB6_143 Depth=2
	s_mov_b32 s11, 0
	s_mov_b32 s27, exec_lo
                                        ; implicit-def: $sgpr26
	v_cmpx_lt_i16_e64 0x7f, v167
	s_xor_b32 s27, exec_lo, s27
	s_cbranch_execnz .LBB6_2333
; %bb.754:                              ;   in Loop: Header=BB6_143 Depth=2
	s_or_saveexec_b32 s27, s27
	v_mov_b32_e32 v176, s26
	s_xor_b32 exec_lo, exec_lo, s27
	s_cbranch_execnz .LBB6_2336
.LBB6_755:                              ;   in Loop: Header=BB6_143 Depth=2
	s_or_b32 exec_lo, exec_lo, s27
	s_and_saveexec_b32 s26, s11
	s_cbranch_execz .LBB6_757
.LBB6_756:                              ;   in Loop: Header=BB6_143 Depth=2
	v_and_b32_e32 v176, 0xffff, v167
	s_delay_alu instid0(VALU_DEP_1) | instskip(NEXT) | instid1(VALU_DEP_1)
	v_and_b32_e32 v177, 7, v176
	v_clz_i32_u32_e32 v178, v177
	s_delay_alu instid0(VALU_DEP_1) | instskip(NEXT) | instid1(VALU_DEP_1)
	v_min_u32_e32 v178, 32, v178
	v_subrev_nc_u32_e32 v179, 28, v178
	v_sub_nc_u32_e32 v178, 29, v178
	s_delay_alu instid0(VALU_DEP_2) | instskip(SKIP_1) | instid1(VALU_DEP_2)
	v_lshlrev_b32_e32 v179, v179, v176
	v_bfe_u32 v176, v176, 3, 4
	v_and_b32_e32 v179, 7, v179
	s_delay_alu instid0(VALU_DEP_2) | instskip(SKIP_1) | instid1(VALU_DEP_3)
	v_cmp_eq_u32_e32 vcc_lo, 0, v176
	v_cndmask_b32_e32 v176, v176, v178, vcc_lo
	v_dual_cndmask_b32 v177, v177, v179 :: v_dual_lshlrev_b32 v180, 16, v33
	s_delay_alu instid0(VALU_DEP_2) | instskip(NEXT) | instid1(VALU_DEP_2)
	v_lshl_add_u32 v176, v176, 23, 0x3b800000
	v_and_b32_e32 v178, 0x80000000, v180
	s_delay_alu instid0(VALU_DEP_3) | instskip(NEXT) | instid1(VALU_DEP_1)
	v_lshlrev_b32_e32 v177, 20, v177
	v_or3_b32 v176, v178, v176, v177
.LBB6_757:                              ;   in Loop: Header=BB6_143 Depth=2
	s_or_b32 exec_lo, exec_lo, s26
	s_mov_b32 s11, 0
	s_mov_b32 s27, exec_lo
                                        ; implicit-def: $sgpr26
	v_cmpx_lt_i16_e64 0x7f, v166
	s_xor_b32 s27, exec_lo, s27
	s_cbranch_execnz .LBB6_2337
; %bb.758:                              ;   in Loop: Header=BB6_143 Depth=2
	s_or_saveexec_b32 s27, s27
	v_mov_b32_e32 v177, s26
	s_xor_b32 exec_lo, exec_lo, s27
	s_cbranch_execnz .LBB6_2340
.LBB6_759:                              ;   in Loop: Header=BB6_143 Depth=2
	s_or_b32 exec_lo, exec_lo, s27
	s_and_saveexec_b32 s26, s11
	s_cbranch_execz .LBB6_761
.LBB6_760:                              ;   in Loop: Header=BB6_143 Depth=2
	v_and_b32_e32 v177, 0xffff, v166
	v_lshlrev_b32_e32 v181, 16, v27
	s_delay_alu instid0(VALU_DEP_2) | instskip(NEXT) | instid1(VALU_DEP_1)
	v_and_b32_e32 v178, 7, v177
	v_clz_i32_u32_e32 v179, v178
	s_delay_alu instid0(VALU_DEP_1) | instskip(NEXT) | instid1(VALU_DEP_1)
	v_min_u32_e32 v179, 32, v179
	v_subrev_nc_u32_e32 v180, 28, v179
	v_sub_nc_u32_e32 v179, 29, v179
	s_delay_alu instid0(VALU_DEP_2) | instskip(SKIP_1) | instid1(VALU_DEP_2)
	v_lshlrev_b32_e32 v180, v180, v177
	v_bfe_u32 v177, v177, 3, 4
	v_and_b32_e32 v180, 7, v180
	s_delay_alu instid0(VALU_DEP_2) | instskip(NEXT) | instid1(VALU_DEP_2)
	v_cmp_eq_u32_e32 vcc_lo, 0, v177
	v_dual_cndmask_b32 v177, v177, v179 :: v_dual_cndmask_b32 v178, v178, v180
	v_and_b32_e32 v179, 0x80000000, v181
	s_delay_alu instid0(VALU_DEP_2) | instskip(NEXT) | instid1(VALU_DEP_3)
	v_lshl_add_u32 v177, v177, 23, 0x3b800000
	v_lshlrev_b32_e32 v178, 20, v178
	s_delay_alu instid0(VALU_DEP_1)
	v_or3_b32 v177, v179, v177, v178
.LBB6_761:                              ;   in Loop: Header=BB6_143 Depth=2
	s_or_b32 exec_lo, exec_lo, s26
	s_delay_alu instid0(VALU_DEP_1) | instskip(SKIP_1) | instid1(VALU_DEP_1)
	v_dual_max_f32 v177, v177, v177 :: v_dual_max_f32 v176, v176, v176
	s_mov_b32 s11, 0
	v_max_f32_e32 v176, v176, v177
	s_branch .LBB6_763
.LBB6_762:                              ;   in Loop: Header=BB6_143 Depth=2
	s_mov_b32 s11, -1
                                        ; implicit-def: $vgpr176
.LBB6_763:                              ;   in Loop: Header=BB6_143 Depth=2
	s_delay_alu instid0(SALU_CYCLE_1)
	s_and_b32 vcc_lo, exec_lo, s11
	s_cbranch_vccz .LBB6_773
; %bb.764:                              ;   in Loop: Header=BB6_143 Depth=2
	s_mov_b32 s11, 0
	s_mov_b32 s27, exec_lo
                                        ; implicit-def: $sgpr26
	v_cmpx_lt_i16_e64 0x7f, v167
	s_xor_b32 s27, exec_lo, s27
	s_cbranch_execnz .LBB6_2341
; %bb.765:                              ;   in Loop: Header=BB6_143 Depth=2
	s_or_saveexec_b32 s27, s27
	v_mov_b32_e32 v176, s26
	s_xor_b32 exec_lo, exec_lo, s27
	s_cbranch_execnz .LBB6_2344
.LBB6_766:                              ;   in Loop: Header=BB6_143 Depth=2
	s_or_b32 exec_lo, exec_lo, s27
	s_and_saveexec_b32 s26, s11
	s_cbranch_execz .LBB6_768
.LBB6_767:                              ;   in Loop: Header=BB6_143 Depth=2
	v_and_b32_e32 v167, 0xffff, v167
	v_lshlrev_b32_e32 v179, 16, v33
	s_delay_alu instid0(VALU_DEP_2) | instskip(NEXT) | instid1(VALU_DEP_1)
	v_and_b32_e32 v176, 7, v167
	v_clz_i32_u32_e32 v177, v176
	s_delay_alu instid0(VALU_DEP_1) | instskip(NEXT) | instid1(VALU_DEP_1)
	v_min_u32_e32 v177, 32, v177
	v_subrev_nc_u32_e32 v178, 28, v177
	v_sub_nc_u32_e32 v177, 29, v177
	s_delay_alu instid0(VALU_DEP_2) | instskip(SKIP_1) | instid1(VALU_DEP_2)
	v_lshlrev_b32_e32 v178, v178, v167
	v_bfe_u32 v167, v167, 3, 4
	v_and_b32_e32 v178, 7, v178
	s_delay_alu instid0(VALU_DEP_2) | instskip(NEXT) | instid1(VALU_DEP_2)
	v_cmp_eq_u32_e32 vcc_lo, 0, v167
	v_dual_cndmask_b32 v167, v167, v177 :: v_dual_cndmask_b32 v176, v176, v178
	v_and_b32_e32 v177, 0x80000000, v179
	s_delay_alu instid0(VALU_DEP_2) | instskip(NEXT) | instid1(VALU_DEP_3)
	v_lshl_add_u32 v167, v167, 23, 0x3b800000
	v_lshlrev_b32_e32 v176, 20, v176
	s_delay_alu instid0(VALU_DEP_1)
	v_or3_b32 v176, v177, v167, v176
.LBB6_768:                              ;   in Loop: Header=BB6_143 Depth=2
	s_or_b32 exec_lo, exec_lo, s26
	s_mov_b32 s11, 0
	s_mov_b32 s27, exec_lo
                                        ; implicit-def: $sgpr26
	v_cmpx_lt_i16_e64 0x7f, v166
	s_xor_b32 s27, exec_lo, s27
	s_cbranch_execnz .LBB6_2345
; %bb.769:                              ;   in Loop: Header=BB6_143 Depth=2
	s_or_saveexec_b32 s27, s27
	v_mov_b32_e32 v167, s26
	s_xor_b32 exec_lo, exec_lo, s27
	s_cbranch_execnz .LBB6_2348
.LBB6_770:                              ;   in Loop: Header=BB6_143 Depth=2
	s_or_b32 exec_lo, exec_lo, s27
	s_and_saveexec_b32 s26, s11
	s_cbranch_execz .LBB6_772
.LBB6_771:                              ;   in Loop: Header=BB6_143 Depth=2
	v_and_b32_e32 v166, 0xffff, v166
	v_lshlrev_b32_e32 v179, 16, v27
	s_delay_alu instid0(VALU_DEP_2) | instskip(NEXT) | instid1(VALU_DEP_1)
	v_and_b32_e32 v167, 7, v166
	v_clz_i32_u32_e32 v177, v167
	s_delay_alu instid0(VALU_DEP_1) | instskip(NEXT) | instid1(VALU_DEP_1)
	v_min_u32_e32 v177, 32, v177
	v_subrev_nc_u32_e32 v178, 28, v177
	v_sub_nc_u32_e32 v177, 29, v177
	s_delay_alu instid0(VALU_DEP_2) | instskip(SKIP_1) | instid1(VALU_DEP_2)
	v_lshlrev_b32_e32 v178, v178, v166
	v_bfe_u32 v166, v166, 3, 4
	v_and_b32_e32 v178, 7, v178
	s_delay_alu instid0(VALU_DEP_2) | instskip(NEXT) | instid1(VALU_DEP_2)
	v_cmp_eq_u32_e32 vcc_lo, 0, v166
	v_dual_cndmask_b32 v166, v166, v177 :: v_dual_cndmask_b32 v167, v167, v178
	v_and_b32_e32 v177, 0x80000000, v179
	s_delay_alu instid0(VALU_DEP_2) | instskip(NEXT) | instid1(VALU_DEP_3)
	v_lshl_add_u32 v166, v166, 23, 0x3b800000
	v_lshlrev_b32_e32 v167, 20, v167
	s_delay_alu instid0(VALU_DEP_1)
	v_or3_b32 v167, v177, v166, v167
.LBB6_772:                              ;   in Loop: Header=BB6_143 Depth=2
	s_or_b32 exec_lo, exec_lo, s26
	s_delay_alu instid0(VALU_DEP_1) | instskip(NEXT) | instid1(VALU_DEP_1)
	v_dual_max_f32 v166, v167, v167 :: v_dual_max_f32 v167, v176, v176
	v_min_f32_e32 v176, v167, v166
.LBB6_773:                              ;   in Loop: Header=BB6_143 Depth=2
	s_delay_alu instid0(VALU_DEP_1) | instskip(NEXT) | instid1(VALU_DEP_1)
	v_and_b32_e32 v166, 0x7f800000, v176
	v_cmp_ne_u32_e32 vcc_lo, 0x7f800000, v166
	v_mov_b32_e32 v166, 0x80
	s_and_saveexec_b32 s26, vcc_lo
	s_cbranch_execz .LBB6_781
; %bb.774:                              ;   in Loop: Header=BB6_143 Depth=2
	v_mov_b32_e32 v166, 0
	s_mov_b32 s27, exec_lo
	v_cmpx_ne_u32_e32 0, v176
	s_cbranch_execz .LBB6_780
; %bb.775:                              ;   in Loop: Header=BB6_143 Depth=2
	v_bfe_u32 v166, v176, 23, 8
	v_and_b32_e32 v167, 0x7fffff, v176
	s_delay_alu instid0(VALU_DEP_2) | instskip(SKIP_1) | instid1(VALU_DEP_3)
	v_sub_nc_u32_e32 v177, 0x78, v166
	v_cmp_gt_u32_e32 vcc_lo, 0x79, v166
	v_or_b32_e32 v178, 0x800000, v167
	s_delay_alu instid0(VALU_DEP_3) | instskip(SKIP_2) | instid1(VALU_DEP_3)
	v_cndmask_b32_e32 v177, 0, v177, vcc_lo
	v_cmp_eq_u32_e32 vcc_lo, 0, v166
	v_add_nc_u32_e32 v166, 0xffffff89, v166
	v_cndmask_b32_e64 v177, v177, 0x77, vcc_lo
	v_cndmask_b32_e32 v167, v178, v167, vcc_lo
	s_delay_alu instid0(VALU_DEP_3) | instskip(NEXT) | instid1(VALU_DEP_3)
	v_cndmask_b32_e64 v166, v166, 0xffffff8a, vcc_lo
	v_lshl_add_u32 v178, 0x100000, v177, -1
	s_delay_alu instid0(VALU_DEP_3) | instskip(SKIP_1) | instid1(VALU_DEP_4)
	v_lshrrev_b32_e32 v179, v177, v167
	v_lshlrev_b32_e64 v181, v177, 0x80000
	v_add_nc_u32_e32 v177, v177, v166
	s_delay_alu instid0(VALU_DEP_4) | instskip(NEXT) | instid1(VALU_DEP_4)
	v_and_b32_e32 v167, v178, v167
	v_bfe_u32 v180, v179, 20, 1
	s_delay_alu instid0(VALU_DEP_2) | instskip(NEXT) | instid1(VALU_DEP_2)
	v_cmp_eq_u32_e64 s11, v167, v181
	v_add_nc_u32_e32 v178, -1, v180
	s_delay_alu instid0(VALU_DEP_1) | instskip(SKIP_2) | instid1(VALU_DEP_2)
	v_cndmask_b32_e64 v167, 0, v178, s11
	v_lshrrev_b32_e32 v178, 23, v179
	s_mov_b32 s11, exec_lo
	v_add_nc_u32_e32 v167, v167, v179
	s_delay_alu instid0(VALU_DEP_2) | instskip(NEXT) | instid1(VALU_DEP_2)
	v_xor_b32_e32 v178, 1, v178
	v_and_b32_e32 v166, 0xfffff, v167
	s_delay_alu instid0(VALU_DEP_1) | instskip(NEXT) | instid1(VALU_DEP_3)
	v_add_nc_u32_e32 v167, v166, v179
                                        ; implicit-def: $vgpr166
	v_cmpx_ne_u32_e64 v177, v178
	s_xor_b32 s11, exec_lo, s11
; %bb.776:                              ;   in Loop: Header=BB6_143 Depth=2
	s_delay_alu instid0(VALU_DEP_2) | instskip(SKIP_2) | instid1(VALU_DEP_2)
	v_cmp_lt_u32_e32 vcc_lo, 0xffffff, v167
	v_sub_nc_u32_e32 v166, v177, v178
	v_cndmask_b32_e64 v177, 0, 1, vcc_lo
	v_add_co_ci_u32_e32 v166, vcc_lo, 0, v166, vcc_lo
	s_delay_alu instid0(VALU_DEP_2)
	v_lshrrev_b32_e32 v167, v177, v167
; %bb.777:                              ;   in Loop: Header=BB6_143 Depth=2
	s_and_not1_saveexec_b32 s11, s11
; %bb.778:                              ;   in Loop: Header=BB6_143 Depth=2
	s_delay_alu instid0(VALU_DEP_1)
	v_bfe_u32 v166, v167, 23, 1
; %bb.779:                              ;   in Loop: Header=BB6_143 Depth=2
	s_or_b32 exec_lo, exec_lo, s11
	v_lshrrev_b32_e32 v167, 20, v167
	s_delay_alu instid0(VALU_DEP_2) | instskip(SKIP_2) | instid1(VALU_DEP_2)
	v_cmp_gt_i32_e32 vcc_lo, 16, v166
	v_lshrrev_b32_e32 v176, 24, v176
	v_min_i32_e32 v177, 15, v166
	v_dual_cndmask_b32 v167, 7, v167 :: v_dual_and_b32 v176, 0x80, v176
	s_delay_alu instid0(VALU_DEP_1) | instskip(SKIP_1) | instid1(VALU_DEP_2)
	v_or_b32_e32 v166, v166, v167
	v_and_b32_e32 v178, 7, v167
	v_cmp_ne_u32_e32 vcc_lo, 0, v166
	v_lshlrev_b32_e32 v177, 3, v177
	s_delay_alu instid0(VALU_DEP_1) | instskip(NEXT) | instid1(VALU_DEP_1)
	v_or3_b32 v167, v177, v176, v178
	v_cndmask_b32_e32 v166, 0, v167, vcc_lo
.LBB6_780:                              ;   in Loop: Header=BB6_143 Depth=2
	s_or_b32 exec_lo, exec_lo, s27
.LBB6_781:                              ;   in Loop: Header=BB6_143 Depth=2
	s_delay_alu instid0(SALU_CYCLE_1)
	s_or_b32 exec_lo, exec_lo, s26
	v_lshrrev_b32_e32 v176, 16, v33
	v_lshrrev_b32_e32 v167, 16, v27
	s_and_not1_b32 vcc_lo, exec_lo, s25
	s_cbranch_vccnz .LBB6_791
; %bb.782:                              ;   in Loop: Header=BB6_143 Depth=2
	s_delay_alu instid0(VALU_DEP_2) | instskip(SKIP_2) | instid1(VALU_DEP_1)
	v_and_b32_e32 v178, 0xff, v176
	s_mov_b32 s11, 0
	s_mov_b32 s27, exec_lo
                                        ; implicit-def: $sgpr26
	v_cmpx_lt_i16_e64 0x7f, v178
	s_xor_b32 s27, exec_lo, s27
	s_cbranch_execnz .LBB6_2349
; %bb.783:                              ;   in Loop: Header=BB6_143 Depth=2
	s_or_saveexec_b32 s27, s27
	v_mov_b32_e32 v177, s26
	s_xor_b32 exec_lo, exec_lo, s27
	s_cbranch_execnz .LBB6_2352
.LBB6_784:                              ;   in Loop: Header=BB6_143 Depth=2
	s_or_b32 exec_lo, exec_lo, s27
	s_and_saveexec_b32 s26, s11
	s_cbranch_execz .LBB6_786
.LBB6_785:                              ;   in Loop: Header=BB6_143 Depth=2
	v_bfe_u32 v177, v33, 16, 3
	v_bfe_u32 v180, v33, 19, 4
	v_lshlrev_b32_e32 v181, 24, v176
	s_delay_alu instid0(VALU_DEP_3) | instskip(NEXT) | instid1(VALU_DEP_3)
	v_clz_i32_u32_e32 v178, v177
	v_cmp_eq_u32_e32 vcc_lo, 0, v180
	s_delay_alu instid0(VALU_DEP_2) | instskip(NEXT) | instid1(VALU_DEP_1)
	v_min_u32_e32 v178, 32, v178
	v_subrev_nc_u32_e32 v179, 28, v178
	v_sub_nc_u32_e32 v178, 29, v178
	s_delay_alu instid0(VALU_DEP_1) | instskip(NEXT) | instid1(VALU_DEP_1)
	v_dual_cndmask_b32 v178, v180, v178 :: v_dual_lshlrev_b32 v179, v179, v176
	v_and_b32_e32 v179, 7, v179
	s_delay_alu instid0(VALU_DEP_2) | instskip(NEXT) | instid1(VALU_DEP_2)
	v_lshl_add_u32 v178, v178, 23, 0x3b800000
	v_cndmask_b32_e32 v177, v177, v179, vcc_lo
	v_and_b32_e32 v179, 0x80000000, v181
	s_delay_alu instid0(VALU_DEP_2) | instskip(NEXT) | instid1(VALU_DEP_1)
	v_lshlrev_b32_e32 v177, 20, v177
	v_or3_b32 v177, v179, v178, v177
.LBB6_786:                              ;   in Loop: Header=BB6_143 Depth=2
	s_or_b32 exec_lo, exec_lo, s26
	v_and_b32_e32 v179, 0xff, v167
	s_mov_b32 s11, 0
	s_mov_b32 s27, exec_lo
                                        ; implicit-def: $sgpr26
	s_delay_alu instid0(VALU_DEP_1)
	v_cmpx_lt_i16_e64 0x7f, v179
	s_xor_b32 s27, exec_lo, s27
	s_cbranch_execnz .LBB6_2353
; %bb.787:                              ;   in Loop: Header=BB6_143 Depth=2
	s_or_saveexec_b32 s27, s27
	v_mov_b32_e32 v178, s26
	s_xor_b32 exec_lo, exec_lo, s27
	s_cbranch_execnz .LBB6_2356
.LBB6_788:                              ;   in Loop: Header=BB6_143 Depth=2
	s_or_b32 exec_lo, exec_lo, s27
	s_and_saveexec_b32 s26, s11
	s_cbranch_execz .LBB6_790
.LBB6_789:                              ;   in Loop: Header=BB6_143 Depth=2
	v_bfe_u32 v178, v27, 16, 3
	v_bfe_u32 v181, v27, 19, 4
	v_lshlrev_b32_e32 v182, 24, v167
	s_delay_alu instid0(VALU_DEP_3) | instskip(NEXT) | instid1(VALU_DEP_3)
	v_clz_i32_u32_e32 v179, v178
	v_cmp_eq_u32_e32 vcc_lo, 0, v181
	s_delay_alu instid0(VALU_DEP_2) | instskip(NEXT) | instid1(VALU_DEP_1)
	v_min_u32_e32 v179, 32, v179
	v_subrev_nc_u32_e32 v180, 28, v179
	v_sub_nc_u32_e32 v179, 29, v179
	s_delay_alu instid0(VALU_DEP_2) | instskip(NEXT) | instid1(VALU_DEP_1)
	v_lshlrev_b32_e32 v180, v180, v167
	v_dual_cndmask_b32 v179, v181, v179 :: v_dual_and_b32 v180, 7, v180
	s_delay_alu instid0(VALU_DEP_1) | instskip(NEXT) | instid1(VALU_DEP_2)
	v_lshl_add_u32 v179, v179, 23, 0x3b800000
	v_cndmask_b32_e32 v178, v178, v180, vcc_lo
	v_and_b32_e32 v180, 0x80000000, v182
	s_delay_alu instid0(VALU_DEP_2) | instskip(NEXT) | instid1(VALU_DEP_1)
	v_lshlrev_b32_e32 v178, 20, v178
	v_or3_b32 v178, v180, v179, v178
.LBB6_790:                              ;   in Loop: Header=BB6_143 Depth=2
	s_or_b32 exec_lo, exec_lo, s26
	s_delay_alu instid0(VALU_DEP_1) | instskip(SKIP_1) | instid1(VALU_DEP_1)
	v_dual_max_f32 v178, v178, v178 :: v_dual_max_f32 v177, v177, v177
	s_mov_b32 s11, 0
	v_max_f32_e32 v177, v177, v178
	s_branch .LBB6_792
.LBB6_791:                              ;   in Loop: Header=BB6_143 Depth=2
	s_mov_b32 s11, -1
                                        ; implicit-def: $vgpr177
.LBB6_792:                              ;   in Loop: Header=BB6_143 Depth=2
	s_delay_alu instid0(SALU_CYCLE_1)
	s_and_b32 vcc_lo, exec_lo, s11
	s_cbranch_vccz .LBB6_802
; %bb.793:                              ;   in Loop: Header=BB6_143 Depth=2
	v_and_b32_e32 v178, 0xff, v176
	s_mov_b32 s11, 0
	s_mov_b32 s27, exec_lo
                                        ; implicit-def: $sgpr26
	s_delay_alu instid0(VALU_DEP_1)
	v_cmpx_lt_i16_e64 0x7f, v178
	s_xor_b32 s27, exec_lo, s27
	s_cbranch_execnz .LBB6_2357
; %bb.794:                              ;   in Loop: Header=BB6_143 Depth=2
	s_or_saveexec_b32 s27, s27
	v_mov_b32_e32 v177, s26
	s_xor_b32 exec_lo, exec_lo, s27
	s_cbranch_execnz .LBB6_2360
.LBB6_795:                              ;   in Loop: Header=BB6_143 Depth=2
	s_or_b32 exec_lo, exec_lo, s27
	s_and_saveexec_b32 s26, s11
	s_cbranch_execz .LBB6_797
.LBB6_796:                              ;   in Loop: Header=BB6_143 Depth=2
	v_bfe_u32 v177, v33, 16, 3
	v_bfe_u32 v180, v33, 19, 4
	s_delay_alu instid0(VALU_DEP_2) | instskip(NEXT) | instid1(VALU_DEP_2)
	v_clz_i32_u32_e32 v178, v177
	v_cmp_eq_u32_e32 vcc_lo, 0, v180
	s_delay_alu instid0(VALU_DEP_2) | instskip(NEXT) | instid1(VALU_DEP_1)
	v_min_u32_e32 v178, 32, v178
	v_subrev_nc_u32_e32 v179, 28, v178
	v_sub_nc_u32_e32 v178, 29, v178
	s_delay_alu instid0(VALU_DEP_1) | instskip(NEXT) | instid1(VALU_DEP_1)
	v_dual_cndmask_b32 v178, v180, v178 :: v_dual_lshlrev_b32 v179, v179, v176
	v_and_b32_e32 v179, 7, v179
	v_lshlrev_b32_e32 v176, 24, v176
	s_delay_alu instid0(VALU_DEP_3) | instskip(NEXT) | instid1(VALU_DEP_2)
	v_lshl_add_u32 v178, v178, 23, 0x3b800000
	v_dual_cndmask_b32 v177, v177, v179 :: v_dual_and_b32 v176, 0x80000000, v176
	s_delay_alu instid0(VALU_DEP_1) | instskip(NEXT) | instid1(VALU_DEP_1)
	v_lshlrev_b32_e32 v177, 20, v177
	v_or3_b32 v177, v176, v178, v177
.LBB6_797:                              ;   in Loop: Header=BB6_143 Depth=2
	s_or_b32 exec_lo, exec_lo, s26
	v_and_b32_e32 v178, 0xff, v167
	s_mov_b32 s11, 0
	s_mov_b32 s27, exec_lo
                                        ; implicit-def: $sgpr26
	s_delay_alu instid0(VALU_DEP_1)
	v_cmpx_lt_i16_e64 0x7f, v178
	s_xor_b32 s27, exec_lo, s27
	s_cbranch_execnz .LBB6_2361
; %bb.798:                              ;   in Loop: Header=BB6_143 Depth=2
	s_or_saveexec_b32 s27, s27
	v_mov_b32_e32 v176, s26
	s_xor_b32 exec_lo, exec_lo, s27
	s_cbranch_execnz .LBB6_2364
.LBB6_799:                              ;   in Loop: Header=BB6_143 Depth=2
	s_or_b32 exec_lo, exec_lo, s27
	s_and_saveexec_b32 s26, s11
	s_cbranch_execz .LBB6_801
.LBB6_800:                              ;   in Loop: Header=BB6_143 Depth=2
	v_bfe_u32 v176, v27, 16, 3
	v_bfe_u32 v180, v27, 19, 4
	s_delay_alu instid0(VALU_DEP_2) | instskip(NEXT) | instid1(VALU_DEP_2)
	v_clz_i32_u32_e32 v178, v176
	v_cmp_eq_u32_e32 vcc_lo, 0, v180
	s_delay_alu instid0(VALU_DEP_2) | instskip(NEXT) | instid1(VALU_DEP_1)
	v_min_u32_e32 v178, 32, v178
	v_subrev_nc_u32_e32 v179, 28, v178
	v_sub_nc_u32_e32 v178, 29, v178
	s_delay_alu instid0(VALU_DEP_1) | instskip(SKIP_1) | instid1(VALU_DEP_2)
	v_dual_cndmask_b32 v178, v180, v178 :: v_dual_lshlrev_b32 v179, v179, v167
	v_lshlrev_b32_e32 v167, 24, v167
	v_and_b32_e32 v179, 7, v179
	s_delay_alu instid0(VALU_DEP_3) | instskip(NEXT) | instid1(VALU_DEP_3)
	v_lshl_add_u32 v178, v178, 23, 0x3b800000
	v_and_b32_e32 v167, 0x80000000, v167
	s_delay_alu instid0(VALU_DEP_3) | instskip(NEXT) | instid1(VALU_DEP_1)
	v_cndmask_b32_e32 v176, v176, v179, vcc_lo
	v_lshlrev_b32_e32 v176, 20, v176
	s_delay_alu instid0(VALU_DEP_1)
	v_or3_b32 v176, v167, v178, v176
.LBB6_801:                              ;   in Loop: Header=BB6_143 Depth=2
	s_or_b32 exec_lo, exec_lo, s26
	s_delay_alu instid0(VALU_DEP_1) | instskip(NEXT) | instid1(VALU_DEP_1)
	v_dual_max_f32 v167, v176, v176 :: v_dual_max_f32 v176, v177, v177
	v_min_f32_e32 v177, v176, v167
.LBB6_802:                              ;   in Loop: Header=BB6_143 Depth=2
	s_delay_alu instid0(VALU_DEP_1) | instskip(NEXT) | instid1(VALU_DEP_1)
	v_and_b32_e32 v167, 0x7f800000, v177
	v_cmp_ne_u32_e32 vcc_lo, 0x7f800000, v167
	v_mov_b32_e32 v167, 0x80
	s_and_saveexec_b32 s26, vcc_lo
	s_cbranch_execz .LBB6_810
; %bb.803:                              ;   in Loop: Header=BB6_143 Depth=2
	v_mov_b32_e32 v167, 0
	s_mov_b32 s27, exec_lo
	v_cmpx_ne_u32_e32 0, v177
	s_cbranch_execz .LBB6_809
; %bb.804:                              ;   in Loop: Header=BB6_143 Depth=2
	v_bfe_u32 v167, v177, 23, 8
	v_and_b32_e32 v176, 0x7fffff, v177
	s_delay_alu instid0(VALU_DEP_2) | instskip(SKIP_1) | instid1(VALU_DEP_3)
	v_sub_nc_u32_e32 v178, 0x78, v167
	v_cmp_gt_u32_e32 vcc_lo, 0x79, v167
	v_or_b32_e32 v179, 0x800000, v176
	s_delay_alu instid0(VALU_DEP_3) | instskip(SKIP_2) | instid1(VALU_DEP_3)
	v_cndmask_b32_e32 v178, 0, v178, vcc_lo
	v_cmp_eq_u32_e32 vcc_lo, 0, v167
	v_add_nc_u32_e32 v167, 0xffffff89, v167
	v_cndmask_b32_e64 v178, v178, 0x77, vcc_lo
	v_cndmask_b32_e32 v176, v179, v176, vcc_lo
	s_delay_alu instid0(VALU_DEP_3) | instskip(NEXT) | instid1(VALU_DEP_3)
	v_cndmask_b32_e64 v167, v167, 0xffffff8a, vcc_lo
	v_lshl_add_u32 v179, 0x100000, v178, -1
	s_delay_alu instid0(VALU_DEP_3) | instskip(SKIP_1) | instid1(VALU_DEP_4)
	v_lshrrev_b32_e32 v180, v178, v176
	v_lshlrev_b32_e64 v182, v178, 0x80000
	v_add_nc_u32_e32 v178, v178, v167
	s_delay_alu instid0(VALU_DEP_4) | instskip(NEXT) | instid1(VALU_DEP_4)
	v_and_b32_e32 v176, v179, v176
	v_bfe_u32 v181, v180, 20, 1
	s_delay_alu instid0(VALU_DEP_2) | instskip(NEXT) | instid1(VALU_DEP_2)
	v_cmp_eq_u32_e64 s11, v176, v182
	v_add_nc_u32_e32 v179, -1, v181
	s_delay_alu instid0(VALU_DEP_1) | instskip(SKIP_2) | instid1(VALU_DEP_2)
	v_cndmask_b32_e64 v176, 0, v179, s11
	v_lshrrev_b32_e32 v179, 23, v180
	s_mov_b32 s11, exec_lo
	v_add_nc_u32_e32 v176, v176, v180
	s_delay_alu instid0(VALU_DEP_2) | instskip(NEXT) | instid1(VALU_DEP_2)
	v_xor_b32_e32 v179, 1, v179
	v_and_b32_e32 v167, 0xfffff, v176
	s_delay_alu instid0(VALU_DEP_1) | instskip(NEXT) | instid1(VALU_DEP_3)
	v_add_nc_u32_e32 v176, v167, v180
                                        ; implicit-def: $vgpr167
	v_cmpx_ne_u32_e64 v178, v179
	s_xor_b32 s11, exec_lo, s11
; %bb.805:                              ;   in Loop: Header=BB6_143 Depth=2
	s_delay_alu instid0(VALU_DEP_2) | instskip(SKIP_2) | instid1(VALU_DEP_2)
	v_cmp_lt_u32_e32 vcc_lo, 0xffffff, v176
	v_sub_nc_u32_e32 v167, v178, v179
	v_cndmask_b32_e64 v178, 0, 1, vcc_lo
	v_add_co_ci_u32_e32 v167, vcc_lo, 0, v167, vcc_lo
	s_delay_alu instid0(VALU_DEP_2)
	v_lshrrev_b32_e32 v176, v178, v176
; %bb.806:                              ;   in Loop: Header=BB6_143 Depth=2
	s_and_not1_saveexec_b32 s11, s11
; %bb.807:                              ;   in Loop: Header=BB6_143 Depth=2
	s_delay_alu instid0(VALU_DEP_1)
	v_bfe_u32 v167, v176, 23, 1
; %bb.808:                              ;   in Loop: Header=BB6_143 Depth=2
	s_or_b32 exec_lo, exec_lo, s11
	v_lshrrev_b32_e32 v176, 20, v176
	s_delay_alu instid0(VALU_DEP_2) | instskip(SKIP_2) | instid1(VALU_DEP_2)
	v_cmp_gt_i32_e32 vcc_lo, 16, v167
	v_lshrrev_b32_e32 v177, 24, v177
	v_min_i32_e32 v178, 15, v167
	v_dual_cndmask_b32 v176, 7, v176 :: v_dual_and_b32 v177, 0x80, v177
	s_delay_alu instid0(VALU_DEP_1) | instskip(SKIP_1) | instid1(VALU_DEP_2)
	v_or_b32_e32 v167, v167, v176
	v_and_b32_e32 v179, 7, v176
	v_cmp_ne_u32_e32 vcc_lo, 0, v167
	v_lshlrev_b32_e32 v178, 3, v178
	s_delay_alu instid0(VALU_DEP_1) | instskip(NEXT) | instid1(VALU_DEP_1)
	v_and_b32_e32 v178, 0xf8, v178
	v_or3_b32 v176, v178, v177, v179
	s_delay_alu instid0(VALU_DEP_1)
	v_cndmask_b32_e32 v167, 0, v176, vcc_lo
.LBB6_809:                              ;   in Loop: Header=BB6_143 Depth=2
	s_or_b32 exec_lo, exec_lo, s27
.LBB6_810:                              ;   in Loop: Header=BB6_143 Depth=2
	s_delay_alu instid0(SALU_CYCLE_1)
	s_or_b32 exec_lo, exec_lo, s26
	v_lshrrev_b32_e32 v177, 24, v33
	v_lshrrev_b32_e32 v176, 24, v27
	s_and_not1_b32 vcc_lo, exec_lo, s25
	s_cbranch_vccnz .LBB6_820
; %bb.811:                              ;   in Loop: Header=BB6_143 Depth=2
	s_mov_b32 s11, 0
	s_mov_b32 s27, exec_lo
                                        ; implicit-def: $sgpr26
	v_cmpx_lt_i16_e64 0x7f, v177
	s_xor_b32 s27, exec_lo, s27
	s_cbranch_execnz .LBB6_2365
; %bb.812:                              ;   in Loop: Header=BB6_143 Depth=2
	s_or_saveexec_b32 s27, s27
	v_mov_b32_e32 v178, s26
	s_xor_b32 exec_lo, exec_lo, s27
	s_cbranch_execnz .LBB6_2368
.LBB6_813:                              ;   in Loop: Header=BB6_143 Depth=2
	s_or_b32 exec_lo, exec_lo, s27
	s_and_saveexec_b32 s26, s11
	s_cbranch_execz .LBB6_815
.LBB6_814:                              ;   in Loop: Header=BB6_143 Depth=2
	v_bfe_u32 v178, v33, 24, 3
	v_bfe_u32 v181, v33, 27, 4
	s_delay_alu instid0(VALU_DEP_2) | instskip(NEXT) | instid1(VALU_DEP_2)
	v_clz_i32_u32_e32 v179, v178
	v_cmp_eq_u32_e32 vcc_lo, 0, v181
	s_delay_alu instid0(VALU_DEP_2) | instskip(NEXT) | instid1(VALU_DEP_1)
	v_min_u32_e32 v179, 32, v179
	v_subrev_nc_u32_e32 v180, 28, v179
	v_sub_nc_u32_e32 v179, 29, v179
	s_delay_alu instid0(VALU_DEP_1) | instskip(NEXT) | instid1(VALU_DEP_1)
	v_dual_cndmask_b32 v179, v181, v179 :: v_dual_lshlrev_b32 v180, v180, v177
	v_and_b32_e32 v180, 7, v180
	s_delay_alu instid0(VALU_DEP_2) | instskip(NEXT) | instid1(VALU_DEP_2)
	v_lshl_add_u32 v179, v179, 23, 0x3b800000
	v_cndmask_b32_e32 v178, v178, v180, vcc_lo
	v_and_b32_e32 v180, 0x80000000, v33
	s_delay_alu instid0(VALU_DEP_2) | instskip(NEXT) | instid1(VALU_DEP_1)
	v_lshlrev_b32_e32 v178, 20, v178
	v_or3_b32 v178, v180, v179, v178
.LBB6_815:                              ;   in Loop: Header=BB6_143 Depth=2
	s_or_b32 exec_lo, exec_lo, s26
	s_mov_b32 s11, 0
	s_mov_b32 s27, exec_lo
                                        ; implicit-def: $sgpr26
	v_cmpx_lt_i16_e64 0x7f, v176
	s_xor_b32 s27, exec_lo, s27
	s_cbranch_execnz .LBB6_2369
; %bb.816:                              ;   in Loop: Header=BB6_143 Depth=2
	s_or_saveexec_b32 s27, s27
	v_mov_b32_e32 v179, s26
	s_xor_b32 exec_lo, exec_lo, s27
	s_cbranch_execnz .LBB6_2372
.LBB6_817:                              ;   in Loop: Header=BB6_143 Depth=2
	s_or_b32 exec_lo, exec_lo, s27
	s_and_saveexec_b32 s26, s11
	s_cbranch_execz .LBB6_819
.LBB6_818:                              ;   in Loop: Header=BB6_143 Depth=2
	v_bfe_u32 v179, v27, 24, 3
	v_bfe_u32 v182, v27, 27, 4
	s_delay_alu instid0(VALU_DEP_2) | instskip(NEXT) | instid1(VALU_DEP_2)
	v_clz_i32_u32_e32 v180, v179
	v_cmp_eq_u32_e32 vcc_lo, 0, v182
	s_delay_alu instid0(VALU_DEP_2) | instskip(NEXT) | instid1(VALU_DEP_1)
	v_min_u32_e32 v180, 32, v180
	v_subrev_nc_u32_e32 v181, 28, v180
	v_sub_nc_u32_e32 v180, 29, v180
	s_delay_alu instid0(VALU_DEP_2) | instskip(NEXT) | instid1(VALU_DEP_1)
	v_lshlrev_b32_e32 v181, v181, v176
	v_dual_cndmask_b32 v180, v182, v180 :: v_dual_and_b32 v181, 7, v181
	s_delay_alu instid0(VALU_DEP_1) | instskip(NEXT) | instid1(VALU_DEP_2)
	v_lshl_add_u32 v180, v180, 23, 0x3b800000
	v_cndmask_b32_e32 v179, v179, v181, vcc_lo
	v_and_b32_e32 v181, 0x80000000, v27
	s_delay_alu instid0(VALU_DEP_2) | instskip(NEXT) | instid1(VALU_DEP_1)
	v_lshlrev_b32_e32 v179, 20, v179
	v_or3_b32 v179, v181, v180, v179
.LBB6_819:                              ;   in Loop: Header=BB6_143 Depth=2
	s_or_b32 exec_lo, exec_lo, s26
	s_delay_alu instid0(VALU_DEP_1) | instskip(SKIP_1) | instid1(VALU_DEP_1)
	v_dual_max_f32 v179, v179, v179 :: v_dual_max_f32 v178, v178, v178
	s_mov_b32 s11, 0
	v_max_f32_e32 v178, v178, v179
	s_branch .LBB6_821
.LBB6_820:                              ;   in Loop: Header=BB6_143 Depth=2
	s_mov_b32 s11, -1
                                        ; implicit-def: $vgpr178
.LBB6_821:                              ;   in Loop: Header=BB6_143 Depth=2
	s_delay_alu instid0(SALU_CYCLE_1)
	s_and_b32 vcc_lo, exec_lo, s11
	s_cbranch_vccz .LBB6_831
; %bb.822:                              ;   in Loop: Header=BB6_143 Depth=2
	s_mov_b32 s11, 0
	s_mov_b32 s27, exec_lo
                                        ; implicit-def: $sgpr26
	v_cmpx_lt_i16_e64 0x7f, v177
	s_xor_b32 s27, exec_lo, s27
	s_cbranch_execnz .LBB6_2373
; %bb.823:                              ;   in Loop: Header=BB6_143 Depth=2
	s_or_saveexec_b32 s27, s27
	v_mov_b32_e32 v178, s26
	s_xor_b32 exec_lo, exec_lo, s27
	s_cbranch_execnz .LBB6_2376
.LBB6_824:                              ;   in Loop: Header=BB6_143 Depth=2
	s_or_b32 exec_lo, exec_lo, s27
	s_and_saveexec_b32 s26, s11
	s_cbranch_execz .LBB6_826
.LBB6_825:                              ;   in Loop: Header=BB6_143 Depth=2
	v_bfe_u32 v178, v33, 24, 3
	s_delay_alu instid0(VALU_DEP_1) | instskip(NEXT) | instid1(VALU_DEP_1)
	v_clz_i32_u32_e32 v179, v178
	v_min_u32_e32 v179, 32, v179
	s_delay_alu instid0(VALU_DEP_1) | instskip(SKIP_1) | instid1(VALU_DEP_2)
	v_subrev_nc_u32_e32 v180, 28, v179
	v_sub_nc_u32_e32 v179, 29, v179
	v_lshlrev_b32_e32 v177, v180, v177
	v_bfe_u32 v180, v33, 27, 4
	v_and_b32_e32 v33, 0x80000000, v33
	s_delay_alu instid0(VALU_DEP_3) | instskip(NEXT) | instid1(VALU_DEP_3)
	v_and_b32_e32 v177, 7, v177
	v_cmp_eq_u32_e32 vcc_lo, 0, v180
	v_cndmask_b32_e32 v179, v180, v179, vcc_lo
	s_delay_alu instid0(VALU_DEP_3) | instskip(NEXT) | instid1(VALU_DEP_2)
	v_cndmask_b32_e32 v177, v178, v177, vcc_lo
	v_lshl_add_u32 v178, v179, 23, 0x3b800000
	s_delay_alu instid0(VALU_DEP_2) | instskip(NEXT) | instid1(VALU_DEP_1)
	v_lshlrev_b32_e32 v177, 20, v177
	v_or3_b32 v178, v33, v178, v177
.LBB6_826:                              ;   in Loop: Header=BB6_143 Depth=2
	s_or_b32 exec_lo, exec_lo, s26
	s_mov_b32 s11, 0
	s_mov_b32 s27, exec_lo
                                        ; implicit-def: $sgpr26
	v_cmpx_lt_i16_e64 0x7f, v176
	s_xor_b32 s27, exec_lo, s27
	s_cbranch_execnz .LBB6_2377
; %bb.827:                              ;   in Loop: Header=BB6_143 Depth=2
	s_or_saveexec_b32 s27, s27
	v_mov_b32_e32 v33, s26
	s_xor_b32 exec_lo, exec_lo, s27
	s_cbranch_execnz .LBB6_2380
.LBB6_828:                              ;   in Loop: Header=BB6_143 Depth=2
	s_or_b32 exec_lo, exec_lo, s27
	s_and_saveexec_b32 s26, s11
	s_cbranch_execz .LBB6_830
.LBB6_829:                              ;   in Loop: Header=BB6_143 Depth=2
	v_bfe_u32 v33, v27, 24, 3
	s_delay_alu instid0(VALU_DEP_1) | instskip(NEXT) | instid1(VALU_DEP_1)
	v_clz_i32_u32_e32 v177, v33
	v_min_u32_e32 v177, 32, v177
	s_delay_alu instid0(VALU_DEP_1) | instskip(SKIP_1) | instid1(VALU_DEP_2)
	v_subrev_nc_u32_e32 v179, 28, v177
	v_sub_nc_u32_e32 v177, 29, v177
	v_lshlrev_b32_e32 v176, v179, v176
	v_bfe_u32 v179, v27, 27, 4
	v_and_b32_e32 v27, 0x80000000, v27
	s_delay_alu instid0(VALU_DEP_2) | instskip(NEXT) | instid1(VALU_DEP_4)
	v_cmp_eq_u32_e32 vcc_lo, 0, v179
	v_dual_cndmask_b32 v177, v179, v177 :: v_dual_and_b32 v176, 7, v176
	s_delay_alu instid0(VALU_DEP_1) | instskip(NEXT) | instid1(VALU_DEP_2)
	v_cndmask_b32_e32 v33, v33, v176, vcc_lo
	v_lshl_add_u32 v176, v177, 23, 0x3b800000
	s_delay_alu instid0(VALU_DEP_2) | instskip(NEXT) | instid1(VALU_DEP_1)
	v_lshlrev_b32_e32 v33, 20, v33
	v_or3_b32 v33, v27, v176, v33
.LBB6_830:                              ;   in Loop: Header=BB6_143 Depth=2
	s_or_b32 exec_lo, exec_lo, s26
	s_delay_alu instid0(VALU_DEP_1) | instskip(SKIP_1) | instid1(VALU_DEP_1)
	v_max_f32_e32 v27, v33, v33
	v_max_f32_e32 v33, v178, v178
	v_min_f32_e32 v178, v33, v27
.LBB6_831:                              ;   in Loop: Header=BB6_143 Depth=2
	s_delay_alu instid0(VALU_DEP_1) | instskip(NEXT) | instid1(VALU_DEP_1)
	v_and_b32_e32 v27, 0x7f800000, v178
	v_cmp_ne_u32_e32 vcc_lo, 0x7f800000, v27
	v_mov_b32_e32 v27, 0x8000
	s_and_saveexec_b32 s26, vcc_lo
	s_cbranch_execz .LBB6_839
; %bb.832:                              ;   in Loop: Header=BB6_143 Depth=2
	v_mov_b32_e32 v27, 0
	s_mov_b32 s27, exec_lo
	v_cmpx_ne_u32_e32 0, v178
	s_cbranch_execz .LBB6_838
; %bb.833:                              ;   in Loop: Header=BB6_143 Depth=2
	v_bfe_u32 v27, v178, 23, 8
	s_delay_alu instid0(VALU_DEP_1) | instskip(SKIP_1) | instid1(VALU_DEP_2)
	v_sub_nc_u32_e32 v176, 0x78, v27
	v_cmp_gt_u32_e32 vcc_lo, 0x79, v27
	v_dual_cndmask_b32 v176, 0, v176 :: v_dual_and_b32 v33, 0x7fffff, v178
	s_delay_alu instid0(VALU_DEP_1) | instskip(SKIP_2) | instid1(VALU_DEP_4)
	v_or_b32_e32 v177, 0x800000, v33
	v_cmp_eq_u32_e32 vcc_lo, 0, v27
	v_add_nc_u32_e32 v27, 0xffffff89, v27
	v_cndmask_b32_e64 v176, v176, 0x77, vcc_lo
	s_delay_alu instid0(VALU_DEP_2) | instskip(SKIP_1) | instid1(VALU_DEP_3)
	v_cndmask_b32_e64 v27, v27, 0xffffff8a, vcc_lo
	v_cndmask_b32_e32 v33, v177, v33, vcc_lo
	v_lshl_add_u32 v177, 0x100000, v176, -1
	v_lshlrev_b32_e64 v181, v176, 0x80000
	s_delay_alu instid0(VALU_DEP_3) | instskip(SKIP_1) | instid1(VALU_DEP_4)
	v_lshrrev_b32_e32 v179, v176, v33
	v_add_nc_u32_e32 v176, v176, v27
	v_and_b32_e32 v33, v177, v33
	s_delay_alu instid0(VALU_DEP_3) | instskip(NEXT) | instid1(VALU_DEP_2)
	v_bfe_u32 v180, v179, 20, 1
	v_cmp_eq_u32_e64 s11, v33, v181
	s_delay_alu instid0(VALU_DEP_2) | instskip(NEXT) | instid1(VALU_DEP_1)
	v_add_nc_u32_e32 v177, -1, v180
	v_cndmask_b32_e64 v33, 0, v177, s11
	v_lshrrev_b32_e32 v177, 23, v179
	s_mov_b32 s11, exec_lo
	s_delay_alu instid0(VALU_DEP_2) | instskip(NEXT) | instid1(VALU_DEP_2)
	v_add_nc_u32_e32 v33, v33, v179
	v_xor_b32_e32 v177, 1, v177
	s_delay_alu instid0(VALU_DEP_2) | instskip(NEXT) | instid1(VALU_DEP_1)
	v_and_b32_e32 v27, 0xfffff, v33
	v_add_nc_u32_e32 v33, v27, v179
                                        ; implicit-def: $vgpr27
	s_delay_alu instid0(VALU_DEP_3)
	v_cmpx_ne_u32_e64 v176, v177
	s_xor_b32 s11, exec_lo, s11
; %bb.834:                              ;   in Loop: Header=BB6_143 Depth=2
	s_delay_alu instid0(VALU_DEP_2) | instskip(SKIP_2) | instid1(VALU_DEP_2)
	v_cmp_lt_u32_e32 vcc_lo, 0xffffff, v33
	v_sub_nc_u32_e32 v27, v176, v177
	v_cndmask_b32_e64 v176, 0, 1, vcc_lo
	v_add_co_ci_u32_e32 v27, vcc_lo, 0, v27, vcc_lo
	s_delay_alu instid0(VALU_DEP_2)
	v_lshrrev_b32_e32 v33, v176, v33
; %bb.835:                              ;   in Loop: Header=BB6_143 Depth=2
	s_and_not1_saveexec_b32 s11, s11
; %bb.836:                              ;   in Loop: Header=BB6_143 Depth=2
	s_delay_alu instid0(VALU_DEP_1)
	v_bfe_u32 v27, v33, 23, 1
; %bb.837:                              ;   in Loop: Header=BB6_143 Depth=2
	s_or_b32 exec_lo, exec_lo, s11
	v_lshrrev_b32_e32 v33, 20, v33
	s_delay_alu instid0(VALU_DEP_2) | instskip(SKIP_2) | instid1(VALU_DEP_2)
	v_cmp_gt_i32_e32 vcc_lo, 16, v27
	v_min_i32_e32 v176, 15, v27
	v_lshrrev_b32_e32 v177, 24, v178
	v_dual_cndmask_b32 v33, 7, v33 :: v_dual_lshlrev_b32 v176, 3, v176
	s_delay_alu instid0(VALU_DEP_2) | instskip(NEXT) | instid1(VALU_DEP_2)
	v_and_b32_e32 v177, 0x80, v177
	v_or_b32_e32 v27, v27, v33
	v_and_b32_e32 v178, 7, v33
	s_delay_alu instid0(VALU_DEP_2) | instskip(SKIP_1) | instid1(VALU_DEP_1)
	v_cmp_ne_u32_e32 vcc_lo, 0, v27
	v_and_b32_e32 v176, 0xf8, v176
	v_or3_b32 v176, v177, v176, v178
	s_delay_alu instid0(VALU_DEP_1) | instskip(NEXT) | instid1(VALU_DEP_1)
	v_lshlrev_b32_e32 v33, 8, v176
	v_cndmask_b32_e32 v27, 0, v33, vcc_lo
.LBB6_838:                              ;   in Loop: Header=BB6_143 Depth=2
	s_or_b32 exec_lo, exec_lo, s27
.LBB6_839:                              ;   in Loop: Header=BB6_143 Depth=2
	s_delay_alu instid0(SALU_CYCLE_1) | instskip(NEXT) | instid1(SALU_CYCLE_1)
	s_or_b32 exec_lo, exec_lo, s26
	s_and_not1_b32 vcc_lo, exec_lo, s25
	s_cbranch_vccnz .LBB6_849
; %bb.840:                              ;   in Loop: Header=BB6_143 Depth=2
	v_and_b32_e32 v176, 0xff, v34
	s_mov_b32 s11, 0
	s_mov_b32 s27, exec_lo
                                        ; implicit-def: $sgpr26
	s_delay_alu instid0(VALU_DEP_1)
	v_cmpx_lt_i16_e64 0x7f, v176
	s_xor_b32 s27, exec_lo, s27
	s_cbranch_execnz .LBB6_2381
; %bb.841:                              ;   in Loop: Header=BB6_143 Depth=2
	s_or_saveexec_b32 s27, s27
	v_mov_b32_e32 v33, s26
	s_xor_b32 exec_lo, exec_lo, s27
	s_cbranch_execnz .LBB6_2384
.LBB6_842:                              ;   in Loop: Header=BB6_143 Depth=2
	s_or_b32 exec_lo, exec_lo, s27
	s_and_saveexec_b32 s26, s11
	s_cbranch_execz .LBB6_844
.LBB6_843:                              ;   in Loop: Header=BB6_143 Depth=2
	v_bfe_u32 v178, v34, 3, 4
	v_lshlrev_b32_e32 v179, 24, v34
	s_delay_alu instid0(VALU_DEP_2) | instskip(SKIP_1) | instid1(VALU_DEP_1)
	v_cmp_eq_u32_e32 vcc_lo, 0, v178
	v_and_b32_e32 v33, 7, v34
	v_clz_i32_u32_e32 v176, v33
	s_delay_alu instid0(VALU_DEP_1) | instskip(NEXT) | instid1(VALU_DEP_1)
	v_min_u32_e32 v176, 32, v176
	v_subrev_nc_u32_e32 v177, 28, v176
	v_sub_nc_u32_e32 v176, 29, v176
	s_delay_alu instid0(VALU_DEP_1) | instskip(NEXT) | instid1(VALU_DEP_1)
	v_dual_cndmask_b32 v176, v178, v176 :: v_dual_lshlrev_b32 v177, v177, v34
	v_and_b32_e32 v177, 7, v177
	s_delay_alu instid0(VALU_DEP_2) | instskip(NEXT) | instid1(VALU_DEP_2)
	v_lshl_add_u32 v176, v176, 23, 0x3b800000
	v_cndmask_b32_e32 v33, v33, v177, vcc_lo
	v_and_b32_e32 v177, 0x80000000, v179
	s_delay_alu instid0(VALU_DEP_2) | instskip(NEXT) | instid1(VALU_DEP_1)
	v_lshlrev_b32_e32 v33, 20, v33
	v_or3_b32 v33, v177, v176, v33
.LBB6_844:                              ;   in Loop: Header=BB6_143 Depth=2
	s_or_b32 exec_lo, exec_lo, s26
	v_and_b32_e32 v177, 0xff, v28
	s_mov_b32 s11, 0
	s_mov_b32 s27, exec_lo
                                        ; implicit-def: $sgpr26
	s_delay_alu instid0(VALU_DEP_1)
	v_cmpx_lt_i16_e64 0x7f, v177
	s_xor_b32 s27, exec_lo, s27
	s_cbranch_execnz .LBB6_2385
; %bb.845:                              ;   in Loop: Header=BB6_143 Depth=2
	s_or_saveexec_b32 s27, s27
	v_mov_b32_e32 v176, s26
	s_xor_b32 exec_lo, exec_lo, s27
	s_cbranch_execnz .LBB6_2388
.LBB6_846:                              ;   in Loop: Header=BB6_143 Depth=2
	s_or_b32 exec_lo, exec_lo, s27
	s_and_saveexec_b32 s26, s11
	s_cbranch_execz .LBB6_848
.LBB6_847:                              ;   in Loop: Header=BB6_143 Depth=2
	v_bfe_u32 v179, v28, 3, 4
	v_lshlrev_b32_e32 v180, 24, v28
	s_delay_alu instid0(VALU_DEP_2) | instskip(SKIP_1) | instid1(VALU_DEP_1)
	v_cmp_eq_u32_e32 vcc_lo, 0, v179
	v_and_b32_e32 v176, 7, v28
	v_clz_i32_u32_e32 v177, v176
	s_delay_alu instid0(VALU_DEP_1) | instskip(NEXT) | instid1(VALU_DEP_1)
	v_min_u32_e32 v177, 32, v177
	v_subrev_nc_u32_e32 v178, 28, v177
	v_sub_nc_u32_e32 v177, 29, v177
	s_delay_alu instid0(VALU_DEP_1) | instskip(NEXT) | instid1(VALU_DEP_1)
	v_dual_cndmask_b32 v177, v179, v177 :: v_dual_lshlrev_b32 v178, v178, v28
	v_and_b32_e32 v178, 7, v178
	s_delay_alu instid0(VALU_DEP_2) | instskip(NEXT) | instid1(VALU_DEP_2)
	v_lshl_add_u32 v177, v177, 23, 0x3b800000
	v_cndmask_b32_e32 v176, v176, v178, vcc_lo
	v_and_b32_e32 v178, 0x80000000, v180
	s_delay_alu instid0(VALU_DEP_2) | instskip(NEXT) | instid1(VALU_DEP_1)
	v_lshlrev_b32_e32 v176, 20, v176
	v_or3_b32 v176, v178, v177, v176
.LBB6_848:                              ;   in Loop: Header=BB6_143 Depth=2
	s_or_b32 exec_lo, exec_lo, s26
	s_delay_alu instid0(VALU_DEP_1) | instskip(SKIP_1) | instid1(VALU_DEP_1)
	v_dual_max_f32 v176, v176, v176 :: v_dual_max_f32 v33, v33, v33
	s_mov_b32 s11, 0
	v_max_f32_e32 v176, v33, v176
	s_branch .LBB6_850
.LBB6_849:                              ;   in Loop: Header=BB6_143 Depth=2
	s_mov_b32 s11, -1
                                        ; implicit-def: $vgpr176
.LBB6_850:                              ;   in Loop: Header=BB6_143 Depth=2
	s_delay_alu instid0(SALU_CYCLE_1)
	s_and_b32 vcc_lo, exec_lo, s11
	s_cbranch_vccz .LBB6_860
; %bb.851:                              ;   in Loop: Header=BB6_143 Depth=2
	v_and_b32_e32 v176, 0xff, v34
	s_mov_b32 s11, 0
	s_mov_b32 s27, exec_lo
                                        ; implicit-def: $sgpr26
	s_delay_alu instid0(VALU_DEP_1)
	v_cmpx_lt_i16_e64 0x7f, v176
	s_xor_b32 s27, exec_lo, s27
	s_cbranch_execnz .LBB6_2389
; %bb.852:                              ;   in Loop: Header=BB6_143 Depth=2
	s_or_saveexec_b32 s27, s27
	v_mov_b32_e32 v33, s26
	s_xor_b32 exec_lo, exec_lo, s27
	s_cbranch_execnz .LBB6_2392
.LBB6_853:                              ;   in Loop: Header=BB6_143 Depth=2
	s_or_b32 exec_lo, exec_lo, s27
	s_and_saveexec_b32 s26, s11
	s_cbranch_execz .LBB6_855
.LBB6_854:                              ;   in Loop: Header=BB6_143 Depth=2
	v_bfe_u32 v178, v34, 3, 4
	v_lshlrev_b32_e32 v179, 24, v34
	s_delay_alu instid0(VALU_DEP_2) | instskip(SKIP_1) | instid1(VALU_DEP_1)
	v_cmp_eq_u32_e32 vcc_lo, 0, v178
	v_and_b32_e32 v33, 7, v34
	v_clz_i32_u32_e32 v176, v33
	s_delay_alu instid0(VALU_DEP_1) | instskip(NEXT) | instid1(VALU_DEP_1)
	v_min_u32_e32 v176, 32, v176
	v_subrev_nc_u32_e32 v177, 28, v176
	v_sub_nc_u32_e32 v176, 29, v176
	s_delay_alu instid0(VALU_DEP_1) | instskip(NEXT) | instid1(VALU_DEP_1)
	v_dual_cndmask_b32 v176, v178, v176 :: v_dual_lshlrev_b32 v177, v177, v34
	v_and_b32_e32 v177, 7, v177
	s_delay_alu instid0(VALU_DEP_2) | instskip(NEXT) | instid1(VALU_DEP_2)
	v_lshl_add_u32 v176, v176, 23, 0x3b800000
	v_cndmask_b32_e32 v33, v33, v177, vcc_lo
	v_and_b32_e32 v177, 0x80000000, v179
	s_delay_alu instid0(VALU_DEP_2) | instskip(NEXT) | instid1(VALU_DEP_1)
	v_lshlrev_b32_e32 v33, 20, v33
	v_or3_b32 v33, v177, v176, v33
.LBB6_855:                              ;   in Loop: Header=BB6_143 Depth=2
	s_or_b32 exec_lo, exec_lo, s26
	v_and_b32_e32 v177, 0xff, v28
	s_mov_b32 s11, 0
	s_mov_b32 s27, exec_lo
                                        ; implicit-def: $sgpr26
	s_delay_alu instid0(VALU_DEP_1)
	v_cmpx_lt_i16_e64 0x7f, v177
	s_xor_b32 s27, exec_lo, s27
	s_cbranch_execnz .LBB6_2393
; %bb.856:                              ;   in Loop: Header=BB6_143 Depth=2
	s_or_saveexec_b32 s27, s27
	v_mov_b32_e32 v176, s26
	s_xor_b32 exec_lo, exec_lo, s27
	s_cbranch_execnz .LBB6_2396
.LBB6_857:                              ;   in Loop: Header=BB6_143 Depth=2
	s_or_b32 exec_lo, exec_lo, s27
	s_and_saveexec_b32 s26, s11
	s_cbranch_execz .LBB6_859
.LBB6_858:                              ;   in Loop: Header=BB6_143 Depth=2
	v_bfe_u32 v179, v28, 3, 4
	v_lshlrev_b32_e32 v180, 24, v28
	s_delay_alu instid0(VALU_DEP_2) | instskip(SKIP_1) | instid1(VALU_DEP_1)
	v_cmp_eq_u32_e32 vcc_lo, 0, v179
	v_and_b32_e32 v176, 7, v28
	v_clz_i32_u32_e32 v177, v176
	s_delay_alu instid0(VALU_DEP_1) | instskip(NEXT) | instid1(VALU_DEP_1)
	v_min_u32_e32 v177, 32, v177
	v_subrev_nc_u32_e32 v178, 28, v177
	v_sub_nc_u32_e32 v177, 29, v177
	s_delay_alu instid0(VALU_DEP_1) | instskip(NEXT) | instid1(VALU_DEP_1)
	v_dual_cndmask_b32 v177, v179, v177 :: v_dual_lshlrev_b32 v178, v178, v28
	v_and_b32_e32 v178, 7, v178
	s_delay_alu instid0(VALU_DEP_2) | instskip(NEXT) | instid1(VALU_DEP_2)
	v_lshl_add_u32 v177, v177, 23, 0x3b800000
	v_cndmask_b32_e32 v176, v176, v178, vcc_lo
	v_and_b32_e32 v178, 0x80000000, v180
	s_delay_alu instid0(VALU_DEP_2) | instskip(NEXT) | instid1(VALU_DEP_1)
	v_lshlrev_b32_e32 v176, 20, v176
	v_or3_b32 v176, v178, v177, v176
.LBB6_859:                              ;   in Loop: Header=BB6_143 Depth=2
	s_or_b32 exec_lo, exec_lo, s26
	s_delay_alu instid0(VALU_DEP_1) | instskip(NEXT) | instid1(VALU_DEP_1)
	v_dual_max_f32 v176, v176, v176 :: v_dual_max_f32 v33, v33, v33
	v_min_f32_e32 v176, v33, v176
.LBB6_860:                              ;   in Loop: Header=BB6_143 Depth=2
	s_delay_alu instid0(VALU_DEP_1) | instskip(NEXT) | instid1(VALU_DEP_1)
	v_and_b32_e32 v33, 0x7f800000, v176
	v_cmp_ne_u32_e32 vcc_lo, 0x7f800000, v33
	v_mov_b32_e32 v33, 0x80
	s_and_saveexec_b32 s26, vcc_lo
	s_cbranch_execz .LBB6_868
; %bb.861:                              ;   in Loop: Header=BB6_143 Depth=2
	v_mov_b32_e32 v33, 0
	s_mov_b32 s27, exec_lo
	v_cmpx_ne_u32_e32 0, v176
	s_cbranch_execz .LBB6_867
; %bb.862:                              ;   in Loop: Header=BB6_143 Depth=2
	v_bfe_u32 v33, v176, 23, 8
	s_delay_alu instid0(VALU_DEP_1) | instskip(SKIP_1) | instid1(VALU_DEP_2)
	v_sub_nc_u32_e32 v178, 0x78, v33
	v_cmp_gt_u32_e32 vcc_lo, 0x79, v33
	v_dual_cndmask_b32 v178, 0, v178 :: v_dual_and_b32 v177, 0x7fffff, v176
	s_delay_alu instid0(VALU_DEP_1) | instskip(SKIP_2) | instid1(VALU_DEP_4)
	v_or_b32_e32 v179, 0x800000, v177
	v_cmp_eq_u32_e32 vcc_lo, 0, v33
	v_add_nc_u32_e32 v33, 0xffffff89, v33
	v_cndmask_b32_e64 v178, v178, 0x77, vcc_lo
	s_delay_alu instid0(VALU_DEP_4) | instskip(NEXT) | instid1(VALU_DEP_3)
	v_cndmask_b32_e32 v177, v179, v177, vcc_lo
	v_cndmask_b32_e64 v33, v33, 0xffffff8a, vcc_lo
	s_delay_alu instid0(VALU_DEP_3) | instskip(NEXT) | instid1(VALU_DEP_3)
	v_lshl_add_u32 v179, 0x100000, v178, -1
	v_lshrrev_b32_e32 v180, v178, v177
	v_lshlrev_b32_e64 v182, v178, 0x80000
	s_delay_alu instid0(VALU_DEP_4) | instskip(NEXT) | instid1(VALU_DEP_4)
	v_add_nc_u32_e32 v178, v178, v33
	v_and_b32_e32 v177, v179, v177
	s_delay_alu instid0(VALU_DEP_4) | instskip(NEXT) | instid1(VALU_DEP_2)
	v_bfe_u32 v181, v180, 20, 1
	v_cmp_eq_u32_e64 s11, v177, v182
	s_delay_alu instid0(VALU_DEP_2) | instskip(NEXT) | instid1(VALU_DEP_1)
	v_add_nc_u32_e32 v179, -1, v181
	v_cndmask_b32_e64 v177, 0, v179, s11
	v_lshrrev_b32_e32 v179, 23, v180
	s_mov_b32 s11, exec_lo
	s_delay_alu instid0(VALU_DEP_2) | instskip(NEXT) | instid1(VALU_DEP_2)
	v_add_nc_u32_e32 v177, v177, v180
	v_xor_b32_e32 v179, 1, v179
	s_delay_alu instid0(VALU_DEP_2) | instskip(NEXT) | instid1(VALU_DEP_1)
	v_and_b32_e32 v33, 0xfffff, v177
	v_add_nc_u32_e32 v177, v33, v180
                                        ; implicit-def: $vgpr33
	s_delay_alu instid0(VALU_DEP_3)
	v_cmpx_ne_u32_e64 v178, v179
	s_xor_b32 s11, exec_lo, s11
; %bb.863:                              ;   in Loop: Header=BB6_143 Depth=2
	s_delay_alu instid0(VALU_DEP_2) | instskip(SKIP_2) | instid1(VALU_DEP_2)
	v_cmp_lt_u32_e32 vcc_lo, 0xffffff, v177
	v_sub_nc_u32_e32 v33, v178, v179
	v_cndmask_b32_e64 v178, 0, 1, vcc_lo
	v_add_co_ci_u32_e32 v33, vcc_lo, 0, v33, vcc_lo
	s_delay_alu instid0(VALU_DEP_2)
	v_lshrrev_b32_e32 v177, v178, v177
; %bb.864:                              ;   in Loop: Header=BB6_143 Depth=2
	s_and_not1_saveexec_b32 s11, s11
; %bb.865:                              ;   in Loop: Header=BB6_143 Depth=2
	s_delay_alu instid0(VALU_DEP_1)
	v_bfe_u32 v33, v177, 23, 1
; %bb.866:                              ;   in Loop: Header=BB6_143 Depth=2
	s_or_b32 exec_lo, exec_lo, s11
	v_lshrrev_b32_e32 v177, 20, v177
	s_delay_alu instid0(VALU_DEP_2) | instskip(SKIP_2) | instid1(VALU_DEP_2)
	v_cmp_gt_i32_e32 vcc_lo, 16, v33
	v_lshrrev_b32_e32 v176, 24, v176
	v_min_i32_e32 v178, 15, v33
	v_dual_cndmask_b32 v177, 7, v177 :: v_dual_and_b32 v176, 0x80, v176
	s_delay_alu instid0(VALU_DEP_1) | instskip(SKIP_1) | instid1(VALU_DEP_2)
	v_or_b32_e32 v33, v33, v177
	v_and_b32_e32 v179, 7, v177
	v_cmp_ne_u32_e32 vcc_lo, 0, v33
	v_lshlrev_b32_e32 v178, 3, v178
	s_delay_alu instid0(VALU_DEP_1) | instskip(NEXT) | instid1(VALU_DEP_1)
	v_or3_b32 v176, v178, v176, v179
	v_cndmask_b32_e32 v33, 0, v176, vcc_lo
.LBB6_867:                              ;   in Loop: Header=BB6_143 Depth=2
	s_or_b32 exec_lo, exec_lo, s27
.LBB6_868:                              ;   in Loop: Header=BB6_143 Depth=2
	s_delay_alu instid0(SALU_CYCLE_1)
	s_or_b32 exec_lo, exec_lo, s26
	v_lshrrev_b16 v177, 8, v34
	v_lshrrev_b16 v176, 8, v28
	s_and_not1_b32 vcc_lo, exec_lo, s25
	s_cbranch_vccnz .LBB6_878
; %bb.869:                              ;   in Loop: Header=BB6_143 Depth=2
	s_mov_b32 s11, 0
	s_mov_b32 s27, exec_lo
                                        ; implicit-def: $sgpr26
	v_cmpx_lt_i16_e64 0x7f, v177
	s_xor_b32 s27, exec_lo, s27
	s_cbranch_execnz .LBB6_2397
; %bb.870:                              ;   in Loop: Header=BB6_143 Depth=2
	s_or_saveexec_b32 s27, s27
	v_mov_b32_e32 v178, s26
	s_xor_b32 exec_lo, exec_lo, s27
	s_cbranch_execnz .LBB6_2400
.LBB6_871:                              ;   in Loop: Header=BB6_143 Depth=2
	s_or_b32 exec_lo, exec_lo, s27
	s_and_saveexec_b32 s26, s11
	s_cbranch_execz .LBB6_873
.LBB6_872:                              ;   in Loop: Header=BB6_143 Depth=2
	v_and_b32_e32 v178, 0xffff, v177
	s_delay_alu instid0(VALU_DEP_1) | instskip(NEXT) | instid1(VALU_DEP_1)
	v_and_b32_e32 v179, 7, v178
	v_clz_i32_u32_e32 v180, v179
	s_delay_alu instid0(VALU_DEP_1) | instskip(NEXT) | instid1(VALU_DEP_1)
	v_min_u32_e32 v180, 32, v180
	v_subrev_nc_u32_e32 v181, 28, v180
	v_sub_nc_u32_e32 v180, 29, v180
	s_delay_alu instid0(VALU_DEP_2) | instskip(SKIP_1) | instid1(VALU_DEP_2)
	v_lshlrev_b32_e32 v181, v181, v178
	v_bfe_u32 v178, v178, 3, 4
	v_and_b32_e32 v181, 7, v181
	s_delay_alu instid0(VALU_DEP_2) | instskip(SKIP_1) | instid1(VALU_DEP_3)
	v_cmp_eq_u32_e32 vcc_lo, 0, v178
	v_cndmask_b32_e32 v178, v178, v180, vcc_lo
	v_dual_cndmask_b32 v179, v179, v181 :: v_dual_lshlrev_b32 v182, 16, v34
	s_delay_alu instid0(VALU_DEP_2) | instskip(NEXT) | instid1(VALU_DEP_2)
	v_lshl_add_u32 v178, v178, 23, 0x3b800000
	v_and_b32_e32 v180, 0x80000000, v182
	s_delay_alu instid0(VALU_DEP_3) | instskip(NEXT) | instid1(VALU_DEP_1)
	v_lshlrev_b32_e32 v179, 20, v179
	v_or3_b32 v178, v180, v178, v179
.LBB6_873:                              ;   in Loop: Header=BB6_143 Depth=2
	s_or_b32 exec_lo, exec_lo, s26
	s_mov_b32 s11, 0
	s_mov_b32 s27, exec_lo
                                        ; implicit-def: $sgpr26
	v_cmpx_lt_i16_e64 0x7f, v176
	s_xor_b32 s27, exec_lo, s27
	s_cbranch_execnz .LBB6_2401
; %bb.874:                              ;   in Loop: Header=BB6_143 Depth=2
	s_or_saveexec_b32 s27, s27
	v_mov_b32_e32 v179, s26
	s_xor_b32 exec_lo, exec_lo, s27
	s_cbranch_execnz .LBB6_2404
.LBB6_875:                              ;   in Loop: Header=BB6_143 Depth=2
	s_or_b32 exec_lo, exec_lo, s27
	s_and_saveexec_b32 s26, s11
	s_cbranch_execz .LBB6_877
.LBB6_876:                              ;   in Loop: Header=BB6_143 Depth=2
	v_and_b32_e32 v179, 0xffff, v176
	v_lshlrev_b32_e32 v183, 16, v28
	s_delay_alu instid0(VALU_DEP_2) | instskip(NEXT) | instid1(VALU_DEP_1)
	v_and_b32_e32 v180, 7, v179
	v_clz_i32_u32_e32 v181, v180
	s_delay_alu instid0(VALU_DEP_1) | instskip(NEXT) | instid1(VALU_DEP_1)
	v_min_u32_e32 v181, 32, v181
	v_subrev_nc_u32_e32 v182, 28, v181
	v_sub_nc_u32_e32 v181, 29, v181
	s_delay_alu instid0(VALU_DEP_2) | instskip(SKIP_1) | instid1(VALU_DEP_2)
	v_lshlrev_b32_e32 v182, v182, v179
	v_bfe_u32 v179, v179, 3, 4
	v_and_b32_e32 v182, 7, v182
	s_delay_alu instid0(VALU_DEP_2) | instskip(NEXT) | instid1(VALU_DEP_2)
	v_cmp_eq_u32_e32 vcc_lo, 0, v179
	v_dual_cndmask_b32 v179, v179, v181 :: v_dual_cndmask_b32 v180, v180, v182
	v_and_b32_e32 v181, 0x80000000, v183
	s_delay_alu instid0(VALU_DEP_2) | instskip(NEXT) | instid1(VALU_DEP_3)
	v_lshl_add_u32 v179, v179, 23, 0x3b800000
	v_lshlrev_b32_e32 v180, 20, v180
	s_delay_alu instid0(VALU_DEP_1)
	v_or3_b32 v179, v181, v179, v180
.LBB6_877:                              ;   in Loop: Header=BB6_143 Depth=2
	s_or_b32 exec_lo, exec_lo, s26
	s_delay_alu instid0(VALU_DEP_1) | instskip(SKIP_1) | instid1(VALU_DEP_1)
	v_dual_max_f32 v179, v179, v179 :: v_dual_max_f32 v178, v178, v178
	s_mov_b32 s11, 0
	v_max_f32_e32 v178, v178, v179
	s_branch .LBB6_879
.LBB6_878:                              ;   in Loop: Header=BB6_143 Depth=2
	s_mov_b32 s11, -1
                                        ; implicit-def: $vgpr178
.LBB6_879:                              ;   in Loop: Header=BB6_143 Depth=2
	s_delay_alu instid0(SALU_CYCLE_1)
	s_and_b32 vcc_lo, exec_lo, s11
	s_cbranch_vccz .LBB6_889
; %bb.880:                              ;   in Loop: Header=BB6_143 Depth=2
	s_mov_b32 s11, 0
	s_mov_b32 s27, exec_lo
                                        ; implicit-def: $sgpr26
	v_cmpx_lt_i16_e64 0x7f, v177
	s_xor_b32 s27, exec_lo, s27
	s_cbranch_execnz .LBB6_2405
; %bb.881:                              ;   in Loop: Header=BB6_143 Depth=2
	s_or_saveexec_b32 s27, s27
	v_mov_b32_e32 v178, s26
	s_xor_b32 exec_lo, exec_lo, s27
	s_cbranch_execnz .LBB6_2408
.LBB6_882:                              ;   in Loop: Header=BB6_143 Depth=2
	s_or_b32 exec_lo, exec_lo, s27
	s_and_saveexec_b32 s26, s11
	s_cbranch_execz .LBB6_884
.LBB6_883:                              ;   in Loop: Header=BB6_143 Depth=2
	v_and_b32_e32 v177, 0xffff, v177
	v_lshlrev_b32_e32 v181, 16, v34
	s_delay_alu instid0(VALU_DEP_2) | instskip(NEXT) | instid1(VALU_DEP_1)
	v_and_b32_e32 v178, 7, v177
	v_clz_i32_u32_e32 v179, v178
	s_delay_alu instid0(VALU_DEP_1) | instskip(NEXT) | instid1(VALU_DEP_1)
	v_min_u32_e32 v179, 32, v179
	v_subrev_nc_u32_e32 v180, 28, v179
	v_sub_nc_u32_e32 v179, 29, v179
	s_delay_alu instid0(VALU_DEP_2) | instskip(SKIP_1) | instid1(VALU_DEP_2)
	v_lshlrev_b32_e32 v180, v180, v177
	v_bfe_u32 v177, v177, 3, 4
	v_and_b32_e32 v180, 7, v180
	s_delay_alu instid0(VALU_DEP_2) | instskip(NEXT) | instid1(VALU_DEP_2)
	v_cmp_eq_u32_e32 vcc_lo, 0, v177
	v_dual_cndmask_b32 v177, v177, v179 :: v_dual_cndmask_b32 v178, v178, v180
	v_and_b32_e32 v179, 0x80000000, v181
	s_delay_alu instid0(VALU_DEP_2) | instskip(NEXT) | instid1(VALU_DEP_3)
	v_lshl_add_u32 v177, v177, 23, 0x3b800000
	v_lshlrev_b32_e32 v178, 20, v178
	s_delay_alu instid0(VALU_DEP_1)
	v_or3_b32 v178, v179, v177, v178
.LBB6_884:                              ;   in Loop: Header=BB6_143 Depth=2
	s_or_b32 exec_lo, exec_lo, s26
	s_mov_b32 s11, 0
	s_mov_b32 s27, exec_lo
                                        ; implicit-def: $sgpr26
	v_cmpx_lt_i16_e64 0x7f, v176
	s_xor_b32 s27, exec_lo, s27
	s_cbranch_execnz .LBB6_2409
; %bb.885:                              ;   in Loop: Header=BB6_143 Depth=2
	s_or_saveexec_b32 s27, s27
	v_mov_b32_e32 v177, s26
	s_xor_b32 exec_lo, exec_lo, s27
	s_cbranch_execnz .LBB6_2412
.LBB6_886:                              ;   in Loop: Header=BB6_143 Depth=2
	s_or_b32 exec_lo, exec_lo, s27
	s_and_saveexec_b32 s26, s11
	s_cbranch_execz .LBB6_888
.LBB6_887:                              ;   in Loop: Header=BB6_143 Depth=2
	v_and_b32_e32 v176, 0xffff, v176
	v_lshlrev_b32_e32 v181, 16, v28
	s_delay_alu instid0(VALU_DEP_2) | instskip(NEXT) | instid1(VALU_DEP_1)
	v_and_b32_e32 v177, 7, v176
	v_clz_i32_u32_e32 v179, v177
	s_delay_alu instid0(VALU_DEP_1) | instskip(NEXT) | instid1(VALU_DEP_1)
	v_min_u32_e32 v179, 32, v179
	v_subrev_nc_u32_e32 v180, 28, v179
	v_sub_nc_u32_e32 v179, 29, v179
	s_delay_alu instid0(VALU_DEP_2) | instskip(SKIP_1) | instid1(VALU_DEP_2)
	v_lshlrev_b32_e32 v180, v180, v176
	v_bfe_u32 v176, v176, 3, 4
	v_and_b32_e32 v180, 7, v180
	s_delay_alu instid0(VALU_DEP_2) | instskip(NEXT) | instid1(VALU_DEP_2)
	v_cmp_eq_u32_e32 vcc_lo, 0, v176
	v_dual_cndmask_b32 v176, v176, v179 :: v_dual_cndmask_b32 v177, v177, v180
	v_and_b32_e32 v179, 0x80000000, v181
	s_delay_alu instid0(VALU_DEP_2) | instskip(NEXT) | instid1(VALU_DEP_3)
	v_lshl_add_u32 v176, v176, 23, 0x3b800000
	v_lshlrev_b32_e32 v177, 20, v177
	s_delay_alu instid0(VALU_DEP_1)
	v_or3_b32 v177, v179, v176, v177
.LBB6_888:                              ;   in Loop: Header=BB6_143 Depth=2
	s_or_b32 exec_lo, exec_lo, s26
	s_delay_alu instid0(VALU_DEP_1) | instskip(NEXT) | instid1(VALU_DEP_1)
	v_dual_max_f32 v176, v177, v177 :: v_dual_max_f32 v177, v178, v178
	v_min_f32_e32 v178, v177, v176
.LBB6_889:                              ;   in Loop: Header=BB6_143 Depth=2
	s_delay_alu instid0(VALU_DEP_1) | instskip(NEXT) | instid1(VALU_DEP_1)
	v_and_b32_e32 v176, 0x7f800000, v178
	v_cmp_ne_u32_e32 vcc_lo, 0x7f800000, v176
	v_mov_b32_e32 v176, 0x80
	s_and_saveexec_b32 s26, vcc_lo
	s_cbranch_execz .LBB6_897
; %bb.890:                              ;   in Loop: Header=BB6_143 Depth=2
	v_mov_b32_e32 v176, 0
	s_mov_b32 s27, exec_lo
	v_cmpx_ne_u32_e32 0, v178
	s_cbranch_execz .LBB6_896
; %bb.891:                              ;   in Loop: Header=BB6_143 Depth=2
	v_bfe_u32 v176, v178, 23, 8
	v_and_b32_e32 v177, 0x7fffff, v178
	s_delay_alu instid0(VALU_DEP_2) | instskip(SKIP_1) | instid1(VALU_DEP_3)
	v_sub_nc_u32_e32 v179, 0x78, v176
	v_cmp_gt_u32_e32 vcc_lo, 0x79, v176
	v_or_b32_e32 v180, 0x800000, v177
	s_delay_alu instid0(VALU_DEP_3) | instskip(SKIP_2) | instid1(VALU_DEP_3)
	v_cndmask_b32_e32 v179, 0, v179, vcc_lo
	v_cmp_eq_u32_e32 vcc_lo, 0, v176
	v_add_nc_u32_e32 v176, 0xffffff89, v176
	v_cndmask_b32_e64 v179, v179, 0x77, vcc_lo
	v_cndmask_b32_e32 v177, v180, v177, vcc_lo
	s_delay_alu instid0(VALU_DEP_3) | instskip(NEXT) | instid1(VALU_DEP_3)
	v_cndmask_b32_e64 v176, v176, 0xffffff8a, vcc_lo
	v_lshl_add_u32 v180, 0x100000, v179, -1
	s_delay_alu instid0(VALU_DEP_3) | instskip(SKIP_1) | instid1(VALU_DEP_4)
	v_lshrrev_b32_e32 v181, v179, v177
	v_lshlrev_b32_e64 v183, v179, 0x80000
	v_add_nc_u32_e32 v179, v179, v176
	s_delay_alu instid0(VALU_DEP_4) | instskip(NEXT) | instid1(VALU_DEP_4)
	v_and_b32_e32 v177, v180, v177
	v_bfe_u32 v182, v181, 20, 1
	s_delay_alu instid0(VALU_DEP_2) | instskip(NEXT) | instid1(VALU_DEP_2)
	v_cmp_eq_u32_e64 s11, v177, v183
	v_add_nc_u32_e32 v180, -1, v182
	s_delay_alu instid0(VALU_DEP_1) | instskip(SKIP_2) | instid1(VALU_DEP_2)
	v_cndmask_b32_e64 v177, 0, v180, s11
	v_lshrrev_b32_e32 v180, 23, v181
	s_mov_b32 s11, exec_lo
	v_add_nc_u32_e32 v177, v177, v181
	s_delay_alu instid0(VALU_DEP_2) | instskip(NEXT) | instid1(VALU_DEP_2)
	v_xor_b32_e32 v180, 1, v180
	v_and_b32_e32 v176, 0xfffff, v177
	s_delay_alu instid0(VALU_DEP_1) | instskip(NEXT) | instid1(VALU_DEP_3)
	v_add_nc_u32_e32 v177, v176, v181
                                        ; implicit-def: $vgpr176
	v_cmpx_ne_u32_e64 v179, v180
	s_xor_b32 s11, exec_lo, s11
; %bb.892:                              ;   in Loop: Header=BB6_143 Depth=2
	s_delay_alu instid0(VALU_DEP_2) | instskip(SKIP_2) | instid1(VALU_DEP_2)
	v_cmp_lt_u32_e32 vcc_lo, 0xffffff, v177
	v_sub_nc_u32_e32 v176, v179, v180
	v_cndmask_b32_e64 v179, 0, 1, vcc_lo
	v_add_co_ci_u32_e32 v176, vcc_lo, 0, v176, vcc_lo
	s_delay_alu instid0(VALU_DEP_2)
	v_lshrrev_b32_e32 v177, v179, v177
; %bb.893:                              ;   in Loop: Header=BB6_143 Depth=2
	s_and_not1_saveexec_b32 s11, s11
; %bb.894:                              ;   in Loop: Header=BB6_143 Depth=2
	s_delay_alu instid0(VALU_DEP_1)
	v_bfe_u32 v176, v177, 23, 1
; %bb.895:                              ;   in Loop: Header=BB6_143 Depth=2
	s_or_b32 exec_lo, exec_lo, s11
	v_lshrrev_b32_e32 v177, 20, v177
	s_delay_alu instid0(VALU_DEP_2) | instskip(SKIP_2) | instid1(VALU_DEP_2)
	v_cmp_gt_i32_e32 vcc_lo, 16, v176
	v_lshrrev_b32_e32 v178, 24, v178
	v_min_i32_e32 v179, 15, v176
	v_dual_cndmask_b32 v177, 7, v177 :: v_dual_and_b32 v178, 0x80, v178
	s_delay_alu instid0(VALU_DEP_1) | instskip(SKIP_1) | instid1(VALU_DEP_2)
	v_or_b32_e32 v176, v176, v177
	v_and_b32_e32 v180, 7, v177
	v_cmp_ne_u32_e32 vcc_lo, 0, v176
	v_lshlrev_b32_e32 v179, 3, v179
	s_delay_alu instid0(VALU_DEP_1) | instskip(NEXT) | instid1(VALU_DEP_1)
	v_or3_b32 v177, v179, v178, v180
	v_cndmask_b32_e32 v176, 0, v177, vcc_lo
.LBB6_896:                              ;   in Loop: Header=BB6_143 Depth=2
	s_or_b32 exec_lo, exec_lo, s27
.LBB6_897:                              ;   in Loop: Header=BB6_143 Depth=2
	s_delay_alu instid0(SALU_CYCLE_1)
	s_or_b32 exec_lo, exec_lo, s26
	v_lshrrev_b32_e32 v178, 16, v34
	v_lshrrev_b32_e32 v177, 16, v28
	s_and_not1_b32 vcc_lo, exec_lo, s25
	s_cbranch_vccnz .LBB6_907
; %bb.898:                              ;   in Loop: Header=BB6_143 Depth=2
	s_delay_alu instid0(VALU_DEP_2) | instskip(SKIP_2) | instid1(VALU_DEP_1)
	v_and_b32_e32 v180, 0xff, v178
	s_mov_b32 s11, 0
	s_mov_b32 s27, exec_lo
                                        ; implicit-def: $sgpr26
	v_cmpx_lt_i16_e64 0x7f, v180
	s_xor_b32 s27, exec_lo, s27
	s_cbranch_execnz .LBB6_2413
; %bb.899:                              ;   in Loop: Header=BB6_143 Depth=2
	s_or_saveexec_b32 s27, s27
	v_mov_b32_e32 v179, s26
	s_xor_b32 exec_lo, exec_lo, s27
	s_cbranch_execnz .LBB6_2416
.LBB6_900:                              ;   in Loop: Header=BB6_143 Depth=2
	s_or_b32 exec_lo, exec_lo, s27
	s_and_saveexec_b32 s26, s11
	s_cbranch_execz .LBB6_902
.LBB6_901:                              ;   in Loop: Header=BB6_143 Depth=2
	v_bfe_u32 v179, v34, 16, 3
	v_bfe_u32 v182, v34, 19, 4
	v_lshlrev_b32_e32 v183, 24, v178
	s_delay_alu instid0(VALU_DEP_3) | instskip(NEXT) | instid1(VALU_DEP_3)
	v_clz_i32_u32_e32 v180, v179
	v_cmp_eq_u32_e32 vcc_lo, 0, v182
	s_delay_alu instid0(VALU_DEP_2) | instskip(NEXT) | instid1(VALU_DEP_1)
	v_min_u32_e32 v180, 32, v180
	v_subrev_nc_u32_e32 v181, 28, v180
	v_sub_nc_u32_e32 v180, 29, v180
	s_delay_alu instid0(VALU_DEP_1) | instskip(NEXT) | instid1(VALU_DEP_1)
	v_dual_cndmask_b32 v180, v182, v180 :: v_dual_lshlrev_b32 v181, v181, v178
	v_and_b32_e32 v181, 7, v181
	s_delay_alu instid0(VALU_DEP_2) | instskip(NEXT) | instid1(VALU_DEP_2)
	v_lshl_add_u32 v180, v180, 23, 0x3b800000
	v_cndmask_b32_e32 v179, v179, v181, vcc_lo
	v_and_b32_e32 v181, 0x80000000, v183
	s_delay_alu instid0(VALU_DEP_2) | instskip(NEXT) | instid1(VALU_DEP_1)
	v_lshlrev_b32_e32 v179, 20, v179
	v_or3_b32 v179, v181, v180, v179
.LBB6_902:                              ;   in Loop: Header=BB6_143 Depth=2
	s_or_b32 exec_lo, exec_lo, s26
	v_and_b32_e32 v181, 0xff, v177
	s_mov_b32 s11, 0
	s_mov_b32 s27, exec_lo
                                        ; implicit-def: $sgpr26
	s_delay_alu instid0(VALU_DEP_1)
	v_cmpx_lt_i16_e64 0x7f, v181
	s_xor_b32 s27, exec_lo, s27
	s_cbranch_execnz .LBB6_2417
; %bb.903:                              ;   in Loop: Header=BB6_143 Depth=2
	s_or_saveexec_b32 s27, s27
	v_mov_b32_e32 v180, s26
	s_xor_b32 exec_lo, exec_lo, s27
	s_cbranch_execnz .LBB6_2420
.LBB6_904:                              ;   in Loop: Header=BB6_143 Depth=2
	s_or_b32 exec_lo, exec_lo, s27
	s_and_saveexec_b32 s26, s11
	s_cbranch_execz .LBB6_906
.LBB6_905:                              ;   in Loop: Header=BB6_143 Depth=2
	v_bfe_u32 v180, v28, 16, 3
	v_bfe_u32 v183, v28, 19, 4
	v_lshlrev_b32_e32 v40, 24, v177
	s_delay_alu instid0(VALU_DEP_3) | instskip(NEXT) | instid1(VALU_DEP_3)
	v_clz_i32_u32_e32 v181, v180
	v_cmp_eq_u32_e32 vcc_lo, 0, v183
	s_delay_alu instid0(VALU_DEP_2) | instskip(NEXT) | instid1(VALU_DEP_1)
	v_min_u32_e32 v181, 32, v181
	v_subrev_nc_u32_e32 v182, 28, v181
	v_sub_nc_u32_e32 v181, 29, v181
	s_delay_alu instid0(VALU_DEP_2) | instskip(NEXT) | instid1(VALU_DEP_1)
	v_lshlrev_b32_e32 v182, v182, v177
	v_dual_cndmask_b32 v181, v183, v181 :: v_dual_and_b32 v182, 7, v182
	s_delay_alu instid0(VALU_DEP_1) | instskip(NEXT) | instid1(VALU_DEP_2)
	v_lshl_add_u32 v181, v181, 23, 0x3b800000
	v_cndmask_b32_e32 v180, v180, v182, vcc_lo
	v_and_b32_e32 v182, 0x80000000, v40
	s_delay_alu instid0(VALU_DEP_2) | instskip(NEXT) | instid1(VALU_DEP_1)
	v_lshlrev_b32_e32 v180, 20, v180
	v_or3_b32 v180, v182, v181, v180
.LBB6_906:                              ;   in Loop: Header=BB6_143 Depth=2
	s_or_b32 exec_lo, exec_lo, s26
	s_delay_alu instid0(VALU_DEP_1) | instskip(SKIP_1) | instid1(VALU_DEP_1)
	v_dual_max_f32 v180, v180, v180 :: v_dual_max_f32 v179, v179, v179
	s_mov_b32 s11, 0
	v_max_f32_e32 v179, v179, v180
	s_branch .LBB6_908
.LBB6_907:                              ;   in Loop: Header=BB6_143 Depth=2
	s_mov_b32 s11, -1
                                        ; implicit-def: $vgpr179
.LBB6_908:                              ;   in Loop: Header=BB6_143 Depth=2
	s_delay_alu instid0(SALU_CYCLE_1)
	s_and_b32 vcc_lo, exec_lo, s11
	s_cbranch_vccz .LBB6_918
; %bb.909:                              ;   in Loop: Header=BB6_143 Depth=2
	v_and_b32_e32 v180, 0xff, v178
	s_mov_b32 s11, 0
	s_mov_b32 s27, exec_lo
                                        ; implicit-def: $sgpr26
	s_delay_alu instid0(VALU_DEP_1)
	v_cmpx_lt_i16_e64 0x7f, v180
	s_xor_b32 s27, exec_lo, s27
	s_cbranch_execnz .LBB6_2421
; %bb.910:                              ;   in Loop: Header=BB6_143 Depth=2
	s_or_saveexec_b32 s27, s27
	v_mov_b32_e32 v179, s26
	s_xor_b32 exec_lo, exec_lo, s27
	s_cbranch_execnz .LBB6_2424
.LBB6_911:                              ;   in Loop: Header=BB6_143 Depth=2
	s_or_b32 exec_lo, exec_lo, s27
	s_and_saveexec_b32 s26, s11
	s_cbranch_execz .LBB6_913
.LBB6_912:                              ;   in Loop: Header=BB6_143 Depth=2
	v_bfe_u32 v179, v34, 16, 3
	v_bfe_u32 v182, v34, 19, 4
	s_delay_alu instid0(VALU_DEP_2) | instskip(NEXT) | instid1(VALU_DEP_2)
	v_clz_i32_u32_e32 v180, v179
	v_cmp_eq_u32_e32 vcc_lo, 0, v182
	s_delay_alu instid0(VALU_DEP_2) | instskip(NEXT) | instid1(VALU_DEP_1)
	v_min_u32_e32 v180, 32, v180
	v_subrev_nc_u32_e32 v181, 28, v180
	v_sub_nc_u32_e32 v180, 29, v180
	s_delay_alu instid0(VALU_DEP_1) | instskip(NEXT) | instid1(VALU_DEP_1)
	v_dual_cndmask_b32 v180, v182, v180 :: v_dual_lshlrev_b32 v181, v181, v178
	v_and_b32_e32 v181, 7, v181
	v_lshlrev_b32_e32 v178, 24, v178
	s_delay_alu instid0(VALU_DEP_3) | instskip(NEXT) | instid1(VALU_DEP_2)
	v_lshl_add_u32 v180, v180, 23, 0x3b800000
	v_dual_cndmask_b32 v179, v179, v181 :: v_dual_and_b32 v178, 0x80000000, v178
	s_delay_alu instid0(VALU_DEP_1) | instskip(NEXT) | instid1(VALU_DEP_1)
	v_lshlrev_b32_e32 v179, 20, v179
	v_or3_b32 v179, v178, v180, v179
.LBB6_913:                              ;   in Loop: Header=BB6_143 Depth=2
	s_or_b32 exec_lo, exec_lo, s26
	v_and_b32_e32 v180, 0xff, v177
	s_mov_b32 s11, 0
	s_mov_b32 s27, exec_lo
                                        ; implicit-def: $sgpr26
	s_delay_alu instid0(VALU_DEP_1)
	v_cmpx_lt_i16_e64 0x7f, v180
	s_xor_b32 s27, exec_lo, s27
	s_cbranch_execnz .LBB6_2425
; %bb.914:                              ;   in Loop: Header=BB6_143 Depth=2
	s_or_saveexec_b32 s27, s27
	v_mov_b32_e32 v178, s26
	s_xor_b32 exec_lo, exec_lo, s27
	s_cbranch_execnz .LBB6_2428
.LBB6_915:                              ;   in Loop: Header=BB6_143 Depth=2
	s_or_b32 exec_lo, exec_lo, s27
	s_and_saveexec_b32 s26, s11
	s_cbranch_execz .LBB6_917
.LBB6_916:                              ;   in Loop: Header=BB6_143 Depth=2
	v_bfe_u32 v178, v28, 16, 3
	v_bfe_u32 v182, v28, 19, 4
	s_delay_alu instid0(VALU_DEP_2) | instskip(NEXT) | instid1(VALU_DEP_2)
	v_clz_i32_u32_e32 v180, v178
	v_cmp_eq_u32_e32 vcc_lo, 0, v182
	s_delay_alu instid0(VALU_DEP_2) | instskip(NEXT) | instid1(VALU_DEP_1)
	v_min_u32_e32 v180, 32, v180
	v_subrev_nc_u32_e32 v181, 28, v180
	v_sub_nc_u32_e32 v180, 29, v180
	s_delay_alu instid0(VALU_DEP_1) | instskip(SKIP_1) | instid1(VALU_DEP_2)
	v_dual_cndmask_b32 v180, v182, v180 :: v_dual_lshlrev_b32 v181, v181, v177
	v_lshlrev_b32_e32 v177, 24, v177
	v_and_b32_e32 v181, 7, v181
	s_delay_alu instid0(VALU_DEP_3) | instskip(NEXT) | instid1(VALU_DEP_3)
	v_lshl_add_u32 v180, v180, 23, 0x3b800000
	v_and_b32_e32 v177, 0x80000000, v177
	s_delay_alu instid0(VALU_DEP_3) | instskip(NEXT) | instid1(VALU_DEP_1)
	v_cndmask_b32_e32 v178, v178, v181, vcc_lo
	v_lshlrev_b32_e32 v178, 20, v178
	s_delay_alu instid0(VALU_DEP_1)
	v_or3_b32 v178, v177, v180, v178
.LBB6_917:                              ;   in Loop: Header=BB6_143 Depth=2
	s_or_b32 exec_lo, exec_lo, s26
	s_delay_alu instid0(VALU_DEP_1) | instskip(NEXT) | instid1(VALU_DEP_1)
	v_dual_max_f32 v177, v178, v178 :: v_dual_max_f32 v178, v179, v179
	v_min_f32_e32 v179, v178, v177
.LBB6_918:                              ;   in Loop: Header=BB6_143 Depth=2
	s_delay_alu instid0(VALU_DEP_1) | instskip(NEXT) | instid1(VALU_DEP_1)
	v_and_b32_e32 v177, 0x7f800000, v179
	v_cmp_ne_u32_e32 vcc_lo, 0x7f800000, v177
	v_mov_b32_e32 v177, 0x80
	s_and_saveexec_b32 s26, vcc_lo
	s_cbranch_execz .LBB6_926
; %bb.919:                              ;   in Loop: Header=BB6_143 Depth=2
	v_mov_b32_e32 v177, 0
	s_mov_b32 s27, exec_lo
	v_cmpx_ne_u32_e32 0, v179
	s_cbranch_execz .LBB6_925
; %bb.920:                              ;   in Loop: Header=BB6_143 Depth=2
	v_bfe_u32 v177, v179, 23, 8
	v_and_b32_e32 v178, 0x7fffff, v179
	s_delay_alu instid0(VALU_DEP_2) | instskip(SKIP_1) | instid1(VALU_DEP_3)
	v_sub_nc_u32_e32 v180, 0x78, v177
	v_cmp_gt_u32_e32 vcc_lo, 0x79, v177
	v_or_b32_e32 v181, 0x800000, v178
	s_delay_alu instid0(VALU_DEP_3) | instskip(SKIP_2) | instid1(VALU_DEP_3)
	v_cndmask_b32_e32 v180, 0, v180, vcc_lo
	v_cmp_eq_u32_e32 vcc_lo, 0, v177
	v_add_nc_u32_e32 v177, 0xffffff89, v177
	v_cndmask_b32_e64 v180, v180, 0x77, vcc_lo
	v_cndmask_b32_e32 v178, v181, v178, vcc_lo
	s_delay_alu instid0(VALU_DEP_3) | instskip(NEXT) | instid1(VALU_DEP_3)
	v_cndmask_b32_e64 v177, v177, 0xffffff8a, vcc_lo
	v_lshl_add_u32 v181, 0x100000, v180, -1
	s_delay_alu instid0(VALU_DEP_3) | instskip(SKIP_1) | instid1(VALU_DEP_4)
	v_lshrrev_b32_e32 v182, v180, v178
	v_lshlrev_b32_e64 v40, v180, 0x80000
	v_add_nc_u32_e32 v180, v180, v177
	s_delay_alu instid0(VALU_DEP_4) | instskip(NEXT) | instid1(VALU_DEP_4)
	v_and_b32_e32 v178, v181, v178
	v_bfe_u32 v183, v182, 20, 1
	s_delay_alu instid0(VALU_DEP_2) | instskip(NEXT) | instid1(VALU_DEP_2)
	v_cmp_eq_u32_e64 s11, v178, v40
	v_add_nc_u32_e32 v181, -1, v183
	s_delay_alu instid0(VALU_DEP_1) | instskip(SKIP_2) | instid1(VALU_DEP_2)
	v_cndmask_b32_e64 v178, 0, v181, s11
	v_lshrrev_b32_e32 v181, 23, v182
	s_mov_b32 s11, exec_lo
	v_add_nc_u32_e32 v178, v178, v182
	s_delay_alu instid0(VALU_DEP_2) | instskip(NEXT) | instid1(VALU_DEP_2)
	v_xor_b32_e32 v181, 1, v181
	v_and_b32_e32 v177, 0xfffff, v178
	s_delay_alu instid0(VALU_DEP_1) | instskip(NEXT) | instid1(VALU_DEP_3)
	v_add_nc_u32_e32 v178, v177, v182
                                        ; implicit-def: $vgpr177
	v_cmpx_ne_u32_e64 v180, v181
	s_xor_b32 s11, exec_lo, s11
; %bb.921:                              ;   in Loop: Header=BB6_143 Depth=2
	s_delay_alu instid0(VALU_DEP_2) | instskip(SKIP_2) | instid1(VALU_DEP_2)
	v_cmp_lt_u32_e32 vcc_lo, 0xffffff, v178
	v_sub_nc_u32_e32 v177, v180, v181
	v_cndmask_b32_e64 v180, 0, 1, vcc_lo
	v_add_co_ci_u32_e32 v177, vcc_lo, 0, v177, vcc_lo
	s_delay_alu instid0(VALU_DEP_2)
	v_lshrrev_b32_e32 v178, v180, v178
; %bb.922:                              ;   in Loop: Header=BB6_143 Depth=2
	s_and_not1_saveexec_b32 s11, s11
; %bb.923:                              ;   in Loop: Header=BB6_143 Depth=2
	s_delay_alu instid0(VALU_DEP_1)
	v_bfe_u32 v177, v178, 23, 1
; %bb.924:                              ;   in Loop: Header=BB6_143 Depth=2
	s_or_b32 exec_lo, exec_lo, s11
	v_lshrrev_b32_e32 v178, 20, v178
	s_delay_alu instid0(VALU_DEP_2) | instskip(SKIP_2) | instid1(VALU_DEP_2)
	v_cmp_gt_i32_e32 vcc_lo, 16, v177
	v_lshrrev_b32_e32 v179, 24, v179
	v_min_i32_e32 v180, 15, v177
	v_dual_cndmask_b32 v178, 7, v178 :: v_dual_and_b32 v179, 0x80, v179
	s_delay_alu instid0(VALU_DEP_1) | instskip(SKIP_1) | instid1(VALU_DEP_2)
	v_or_b32_e32 v177, v177, v178
	v_and_b32_e32 v181, 7, v178
	v_cmp_ne_u32_e32 vcc_lo, 0, v177
	v_lshlrev_b32_e32 v180, 3, v180
	s_delay_alu instid0(VALU_DEP_1) | instskip(NEXT) | instid1(VALU_DEP_1)
	v_or3_b32 v178, v180, v179, v181
	v_cndmask_b32_e32 v177, 0, v178, vcc_lo
.LBB6_925:                              ;   in Loop: Header=BB6_143 Depth=2
	s_or_b32 exec_lo, exec_lo, s27
.LBB6_926:                              ;   in Loop: Header=BB6_143 Depth=2
	s_delay_alu instid0(SALU_CYCLE_1)
	s_or_b32 exec_lo, exec_lo, s26
	v_lshrrev_b32_e32 v179, 24, v34
	v_lshrrev_b32_e32 v178, 24, v28
	s_and_not1_b32 vcc_lo, exec_lo, s25
	s_cbranch_vccnz .LBB6_936
; %bb.927:                              ;   in Loop: Header=BB6_143 Depth=2
	s_mov_b32 s11, 0
	s_mov_b32 s27, exec_lo
                                        ; implicit-def: $sgpr26
	v_cmpx_lt_i16_e64 0x7f, v179
	s_xor_b32 s27, exec_lo, s27
	s_cbranch_execnz .LBB6_2429
; %bb.928:                              ;   in Loop: Header=BB6_143 Depth=2
	s_or_saveexec_b32 s27, s27
	v_mov_b32_e32 v180, s26
	s_xor_b32 exec_lo, exec_lo, s27
	s_cbranch_execnz .LBB6_2432
.LBB6_929:                              ;   in Loop: Header=BB6_143 Depth=2
	s_or_b32 exec_lo, exec_lo, s27
	s_and_saveexec_b32 s26, s11
	s_cbranch_execz .LBB6_931
.LBB6_930:                              ;   in Loop: Header=BB6_143 Depth=2
	v_bfe_u32 v180, v34, 24, 3
	v_bfe_u32 v183, v34, 27, 4
	s_delay_alu instid0(VALU_DEP_2) | instskip(NEXT) | instid1(VALU_DEP_2)
	v_clz_i32_u32_e32 v181, v180
	v_cmp_eq_u32_e32 vcc_lo, 0, v183
	s_delay_alu instid0(VALU_DEP_2) | instskip(NEXT) | instid1(VALU_DEP_1)
	v_min_u32_e32 v181, 32, v181
	v_subrev_nc_u32_e32 v182, 28, v181
	v_sub_nc_u32_e32 v181, 29, v181
	s_delay_alu instid0(VALU_DEP_1) | instskip(NEXT) | instid1(VALU_DEP_1)
	v_dual_cndmask_b32 v181, v183, v181 :: v_dual_lshlrev_b32 v182, v182, v179
	v_and_b32_e32 v182, 7, v182
	s_delay_alu instid0(VALU_DEP_2) | instskip(NEXT) | instid1(VALU_DEP_2)
	v_lshl_add_u32 v181, v181, 23, 0x3b800000
	v_cndmask_b32_e32 v180, v180, v182, vcc_lo
	v_and_b32_e32 v182, 0x80000000, v34
	s_delay_alu instid0(VALU_DEP_2) | instskip(NEXT) | instid1(VALU_DEP_1)
	v_lshlrev_b32_e32 v180, 20, v180
	v_or3_b32 v180, v182, v181, v180
.LBB6_931:                              ;   in Loop: Header=BB6_143 Depth=2
	s_or_b32 exec_lo, exec_lo, s26
	s_mov_b32 s11, 0
	s_mov_b32 s27, exec_lo
                                        ; implicit-def: $sgpr26
	v_cmpx_lt_i16_e64 0x7f, v178
	s_xor_b32 s27, exec_lo, s27
	s_cbranch_execnz .LBB6_2433
; %bb.932:                              ;   in Loop: Header=BB6_143 Depth=2
	s_or_saveexec_b32 s27, s27
	v_mov_b32_e32 v181, s26
	s_xor_b32 exec_lo, exec_lo, s27
	s_cbranch_execnz .LBB6_2436
.LBB6_933:                              ;   in Loop: Header=BB6_143 Depth=2
	s_or_b32 exec_lo, exec_lo, s27
	s_and_saveexec_b32 s26, s11
	s_cbranch_execz .LBB6_935
.LBB6_934:                              ;   in Loop: Header=BB6_143 Depth=2
	v_bfe_u32 v181, v28, 24, 3
	v_bfe_u32 v40, v28, 27, 4
	s_delay_alu instid0(VALU_DEP_2) | instskip(NEXT) | instid1(VALU_DEP_2)
	v_clz_i32_u32_e32 v182, v181
	v_cmp_eq_u32_e32 vcc_lo, 0, v40
	s_delay_alu instid0(VALU_DEP_2) | instskip(NEXT) | instid1(VALU_DEP_1)
	v_min_u32_e32 v182, 32, v182
	v_subrev_nc_u32_e32 v183, 28, v182
	v_sub_nc_u32_e32 v182, 29, v182
	s_delay_alu instid0(VALU_DEP_2) | instskip(NEXT) | instid1(VALU_DEP_1)
	v_lshlrev_b32_e32 v183, v183, v178
	v_dual_cndmask_b32 v182, v40, v182 :: v_dual_and_b32 v183, 7, v183
	s_delay_alu instid0(VALU_DEP_1) | instskip(NEXT) | instid1(VALU_DEP_2)
	v_lshl_add_u32 v182, v182, 23, 0x3b800000
	v_cndmask_b32_e32 v181, v181, v183, vcc_lo
	v_and_b32_e32 v183, 0x80000000, v28
	s_delay_alu instid0(VALU_DEP_2) | instskip(NEXT) | instid1(VALU_DEP_1)
	v_lshlrev_b32_e32 v181, 20, v181
	v_or3_b32 v181, v183, v182, v181
.LBB6_935:                              ;   in Loop: Header=BB6_143 Depth=2
	s_or_b32 exec_lo, exec_lo, s26
	s_delay_alu instid0(VALU_DEP_1) | instskip(SKIP_1) | instid1(VALU_DEP_1)
	v_dual_max_f32 v181, v181, v181 :: v_dual_max_f32 v180, v180, v180
	s_mov_b32 s11, 0
	v_max_f32_e32 v180, v180, v181
	s_branch .LBB6_937
.LBB6_936:                              ;   in Loop: Header=BB6_143 Depth=2
	s_mov_b32 s11, -1
                                        ; implicit-def: $vgpr180
.LBB6_937:                              ;   in Loop: Header=BB6_143 Depth=2
	s_delay_alu instid0(SALU_CYCLE_1)
	s_and_b32 vcc_lo, exec_lo, s11
	s_cbranch_vccz .LBB6_947
; %bb.938:                              ;   in Loop: Header=BB6_143 Depth=2
	s_mov_b32 s11, 0
	s_mov_b32 s27, exec_lo
                                        ; implicit-def: $sgpr26
	v_cmpx_lt_i16_e64 0x7f, v179
	s_xor_b32 s27, exec_lo, s27
	s_cbranch_execnz .LBB6_2437
; %bb.939:                              ;   in Loop: Header=BB6_143 Depth=2
	s_or_saveexec_b32 s27, s27
	v_mov_b32_e32 v180, s26
	s_xor_b32 exec_lo, exec_lo, s27
	s_cbranch_execnz .LBB6_2440
.LBB6_940:                              ;   in Loop: Header=BB6_143 Depth=2
	s_or_b32 exec_lo, exec_lo, s27
	s_and_saveexec_b32 s26, s11
	s_cbranch_execz .LBB6_942
.LBB6_941:                              ;   in Loop: Header=BB6_143 Depth=2
	v_bfe_u32 v180, v34, 24, 3
	s_delay_alu instid0(VALU_DEP_1) | instskip(NEXT) | instid1(VALU_DEP_1)
	v_clz_i32_u32_e32 v181, v180
	v_min_u32_e32 v181, 32, v181
	s_delay_alu instid0(VALU_DEP_1) | instskip(SKIP_1) | instid1(VALU_DEP_2)
	v_subrev_nc_u32_e32 v182, 28, v181
	v_sub_nc_u32_e32 v181, 29, v181
	v_lshlrev_b32_e32 v179, v182, v179
	v_bfe_u32 v182, v34, 27, 4
	v_and_b32_e32 v34, 0x80000000, v34
	s_delay_alu instid0(VALU_DEP_3) | instskip(NEXT) | instid1(VALU_DEP_3)
	v_and_b32_e32 v179, 7, v179
	v_cmp_eq_u32_e32 vcc_lo, 0, v182
	v_cndmask_b32_e32 v181, v182, v181, vcc_lo
	s_delay_alu instid0(VALU_DEP_3) | instskip(NEXT) | instid1(VALU_DEP_2)
	v_cndmask_b32_e32 v179, v180, v179, vcc_lo
	v_lshl_add_u32 v180, v181, 23, 0x3b800000
	s_delay_alu instid0(VALU_DEP_2) | instskip(NEXT) | instid1(VALU_DEP_1)
	v_lshlrev_b32_e32 v179, 20, v179
	v_or3_b32 v180, v34, v180, v179
.LBB6_942:                              ;   in Loop: Header=BB6_143 Depth=2
	s_or_b32 exec_lo, exec_lo, s26
	s_mov_b32 s11, 0
	s_mov_b32 s27, exec_lo
                                        ; implicit-def: $sgpr26
	v_cmpx_lt_i16_e64 0x7f, v178
	s_xor_b32 s27, exec_lo, s27
	s_cbranch_execnz .LBB6_2441
; %bb.943:                              ;   in Loop: Header=BB6_143 Depth=2
	s_or_saveexec_b32 s27, s27
	v_mov_b32_e32 v34, s26
	s_xor_b32 exec_lo, exec_lo, s27
	s_cbranch_execnz .LBB6_2444
.LBB6_944:                              ;   in Loop: Header=BB6_143 Depth=2
	s_or_b32 exec_lo, exec_lo, s27
	s_and_saveexec_b32 s26, s11
	s_cbranch_execz .LBB6_946
.LBB6_945:                              ;   in Loop: Header=BB6_143 Depth=2
	v_bfe_u32 v34, v28, 24, 3
	s_delay_alu instid0(VALU_DEP_1) | instskip(NEXT) | instid1(VALU_DEP_1)
	v_clz_i32_u32_e32 v179, v34
	v_min_u32_e32 v179, 32, v179
	s_delay_alu instid0(VALU_DEP_1) | instskip(SKIP_1) | instid1(VALU_DEP_2)
	v_subrev_nc_u32_e32 v181, 28, v179
	v_sub_nc_u32_e32 v179, 29, v179
	v_lshlrev_b32_e32 v178, v181, v178
	v_bfe_u32 v181, v28, 27, 4
	v_and_b32_e32 v28, 0x80000000, v28
	s_delay_alu instid0(VALU_DEP_2) | instskip(NEXT) | instid1(VALU_DEP_4)
	v_cmp_eq_u32_e32 vcc_lo, 0, v181
	v_dual_cndmask_b32 v179, v181, v179 :: v_dual_and_b32 v178, 7, v178
	s_delay_alu instid0(VALU_DEP_1) | instskip(NEXT) | instid1(VALU_DEP_2)
	v_cndmask_b32_e32 v34, v34, v178, vcc_lo
	v_lshl_add_u32 v178, v179, 23, 0x3b800000
	s_delay_alu instid0(VALU_DEP_2) | instskip(NEXT) | instid1(VALU_DEP_1)
	v_lshlrev_b32_e32 v34, 20, v34
	v_or3_b32 v34, v28, v178, v34
.LBB6_946:                              ;   in Loop: Header=BB6_143 Depth=2
	s_or_b32 exec_lo, exec_lo, s26
	s_delay_alu instid0(VALU_DEP_1) | instskip(SKIP_1) | instid1(VALU_DEP_1)
	v_max_f32_e32 v28, v34, v34
	v_max_f32_e32 v34, v180, v180
	v_min_f32_e32 v180, v34, v28
.LBB6_947:                              ;   in Loop: Header=BB6_143 Depth=2
	s_delay_alu instid0(VALU_DEP_1) | instskip(NEXT) | instid1(VALU_DEP_1)
	v_and_b32_e32 v28, 0x7f800000, v180
	v_cmp_ne_u32_e32 vcc_lo, 0x7f800000, v28
	v_mov_b32_e32 v28, 0x80
	s_and_saveexec_b32 s26, vcc_lo
	s_cbranch_execz .LBB6_955
; %bb.948:                              ;   in Loop: Header=BB6_143 Depth=2
	v_mov_b32_e32 v28, 0
	s_mov_b32 s27, exec_lo
	v_cmpx_ne_u32_e32 0, v180
	s_cbranch_execz .LBB6_954
; %bb.949:                              ;   in Loop: Header=BB6_143 Depth=2
	v_bfe_u32 v28, v180, 23, 8
	v_and_b32_e32 v34, 0x7fffff, v180
	s_delay_alu instid0(VALU_DEP_2) | instskip(SKIP_1) | instid1(VALU_DEP_3)
	v_sub_nc_u32_e32 v178, 0x78, v28
	v_cmp_gt_u32_e32 vcc_lo, 0x79, v28
	v_or_b32_e32 v179, 0x800000, v34
	s_delay_alu instid0(VALU_DEP_3) | instskip(SKIP_2) | instid1(VALU_DEP_3)
	v_cndmask_b32_e32 v178, 0, v178, vcc_lo
	v_cmp_eq_u32_e32 vcc_lo, 0, v28
	v_add_nc_u32_e32 v28, 0xffffff89, v28
	v_cndmask_b32_e64 v178, v178, 0x77, vcc_lo
	v_cndmask_b32_e32 v34, v179, v34, vcc_lo
	s_delay_alu instid0(VALU_DEP_3) | instskip(NEXT) | instid1(VALU_DEP_3)
	v_cndmask_b32_e64 v28, v28, 0xffffff8a, vcc_lo
	v_lshl_add_u32 v179, 0x100000, v178, -1
	s_delay_alu instid0(VALU_DEP_3) | instskip(SKIP_1) | instid1(VALU_DEP_4)
	v_lshrrev_b32_e32 v181, v178, v34
	v_lshlrev_b32_e64 v183, v178, 0x80000
	v_add_nc_u32_e32 v178, v178, v28
	s_delay_alu instid0(VALU_DEP_4) | instskip(NEXT) | instid1(VALU_DEP_4)
	v_and_b32_e32 v34, v179, v34
	v_bfe_u32 v182, v181, 20, 1
	s_delay_alu instid0(VALU_DEP_2) | instskip(NEXT) | instid1(VALU_DEP_2)
	v_cmp_eq_u32_e64 s11, v34, v183
	v_add_nc_u32_e32 v179, -1, v182
	s_delay_alu instid0(VALU_DEP_1) | instskip(SKIP_2) | instid1(VALU_DEP_2)
	v_cndmask_b32_e64 v34, 0, v179, s11
	v_lshrrev_b32_e32 v179, 23, v181
	s_mov_b32 s11, exec_lo
	v_add_nc_u32_e32 v34, v34, v181
	s_delay_alu instid0(VALU_DEP_2) | instskip(NEXT) | instid1(VALU_DEP_2)
	v_xor_b32_e32 v179, 1, v179
	v_and_b32_e32 v28, 0xfffff, v34
	s_delay_alu instid0(VALU_DEP_1) | instskip(NEXT) | instid1(VALU_DEP_3)
	v_add_nc_u32_e32 v34, v28, v181
                                        ; implicit-def: $vgpr28
	v_cmpx_ne_u32_e64 v178, v179
	s_xor_b32 s11, exec_lo, s11
; %bb.950:                              ;   in Loop: Header=BB6_143 Depth=2
	s_delay_alu instid0(VALU_DEP_2) | instskip(SKIP_2) | instid1(VALU_DEP_2)
	v_cmp_lt_u32_e32 vcc_lo, 0xffffff, v34
	v_sub_nc_u32_e32 v28, v178, v179
	v_cndmask_b32_e64 v178, 0, 1, vcc_lo
	v_add_co_ci_u32_e32 v28, vcc_lo, 0, v28, vcc_lo
	s_delay_alu instid0(VALU_DEP_2)
	v_lshrrev_b32_e32 v34, v178, v34
; %bb.951:                              ;   in Loop: Header=BB6_143 Depth=2
	s_and_not1_saveexec_b32 s11, s11
; %bb.952:                              ;   in Loop: Header=BB6_143 Depth=2
	s_delay_alu instid0(VALU_DEP_1)
	v_bfe_u32 v28, v34, 23, 1
; %bb.953:                              ;   in Loop: Header=BB6_143 Depth=2
	s_or_b32 exec_lo, exec_lo, s11
	v_lshrrev_b32_e32 v34, 20, v34
	s_delay_alu instid0(VALU_DEP_2) | instskip(SKIP_2) | instid1(VALU_DEP_4)
	v_cmp_gt_i32_e32 vcc_lo, 16, v28
	v_lshrrev_b32_e32 v178, 24, v180
	v_min_i32_e32 v179, 15, v28
	v_cndmask_b32_e32 v34, 7, v34, vcc_lo
	s_delay_alu instid0(VALU_DEP_3) | instskip(NEXT) | instid1(VALU_DEP_3)
	v_and_b32_e32 v178, 0x80, v178
	v_lshlrev_b32_e32 v179, 3, v179
	s_delay_alu instid0(VALU_DEP_3) | instskip(SKIP_1) | instid1(VALU_DEP_2)
	v_and_b32_e32 v180, 7, v34
	v_or_b32_e32 v28, v28, v34
	v_or3_b32 v34, v179, v178, v180
	s_delay_alu instid0(VALU_DEP_2) | instskip(NEXT) | instid1(VALU_DEP_2)
	v_cmp_ne_u32_e32 vcc_lo, 0, v28
	v_cndmask_b32_e32 v28, 0, v34, vcc_lo
.LBB6_954:                              ;   in Loop: Header=BB6_143 Depth=2
	s_or_b32 exec_lo, exec_lo, s27
.LBB6_955:                              ;   in Loop: Header=BB6_143 Depth=2
	s_delay_alu instid0(SALU_CYCLE_1) | instskip(NEXT) | instid1(SALU_CYCLE_1)
	s_or_b32 exec_lo, exec_lo, s26
	s_and_not1_b32 vcc_lo, exec_lo, s25
	s_cbranch_vccnz .LBB6_965
; %bb.956:                              ;   in Loop: Header=BB6_143 Depth=2
	v_and_b32_e32 v178, 0xff, v35
	s_mov_b32 s11, 0
	s_mov_b32 s27, exec_lo
                                        ; implicit-def: $sgpr26
	s_delay_alu instid0(VALU_DEP_1)
	v_cmpx_lt_i16_e64 0x7f, v178
	s_xor_b32 s27, exec_lo, s27
	s_cbranch_execnz .LBB6_2445
; %bb.957:                              ;   in Loop: Header=BB6_143 Depth=2
	s_or_saveexec_b32 s27, s27
	v_mov_b32_e32 v34, s26
	s_xor_b32 exec_lo, exec_lo, s27
	s_cbranch_execnz .LBB6_2448
.LBB6_958:                              ;   in Loop: Header=BB6_143 Depth=2
	s_or_b32 exec_lo, exec_lo, s27
	s_and_saveexec_b32 s26, s11
	s_cbranch_execz .LBB6_960
.LBB6_959:                              ;   in Loop: Header=BB6_143 Depth=2
	v_and_b32_e32 v34, 7, v35
	v_bfe_u32 v180, v35, 3, 4
	v_lshlrev_b32_e32 v181, 24, v35
	s_delay_alu instid0(VALU_DEP_3) | instskip(NEXT) | instid1(VALU_DEP_3)
	v_clz_i32_u32_e32 v178, v34
	v_cmp_eq_u32_e32 vcc_lo, 0, v180
	s_delay_alu instid0(VALU_DEP_2) | instskip(NEXT) | instid1(VALU_DEP_1)
	v_min_u32_e32 v178, 32, v178
	v_subrev_nc_u32_e32 v179, 28, v178
	v_sub_nc_u32_e32 v178, 29, v178
	s_delay_alu instid0(VALU_DEP_1) | instskip(NEXT) | instid1(VALU_DEP_1)
	v_dual_cndmask_b32 v178, v180, v178 :: v_dual_lshlrev_b32 v179, v179, v35
	v_and_b32_e32 v179, 7, v179
	s_delay_alu instid0(VALU_DEP_2) | instskip(NEXT) | instid1(VALU_DEP_2)
	v_lshl_add_u32 v178, v178, 23, 0x3b800000
	v_dual_cndmask_b32 v34, v34, v179 :: v_dual_and_b32 v179, 0x80000000, v181
	s_delay_alu instid0(VALU_DEP_1) | instskip(NEXT) | instid1(VALU_DEP_1)
	v_lshlrev_b32_e32 v34, 20, v34
	v_or3_b32 v34, v179, v178, v34
.LBB6_960:                              ;   in Loop: Header=BB6_143 Depth=2
	s_or_b32 exec_lo, exec_lo, s26
	v_and_b32_e32 v179, 0xff, v29
	s_mov_b32 s11, 0
	s_mov_b32 s27, exec_lo
                                        ; implicit-def: $sgpr26
	s_delay_alu instid0(VALU_DEP_1)
	v_cmpx_lt_i16_e64 0x7f, v179
	s_xor_b32 s27, exec_lo, s27
	s_cbranch_execnz .LBB6_2449
; %bb.961:                              ;   in Loop: Header=BB6_143 Depth=2
	s_or_saveexec_b32 s27, s27
	v_mov_b32_e32 v178, s26
	s_xor_b32 exec_lo, exec_lo, s27
	s_cbranch_execnz .LBB6_2452
.LBB6_962:                              ;   in Loop: Header=BB6_143 Depth=2
	s_or_b32 exec_lo, exec_lo, s27
	s_and_saveexec_b32 s26, s11
	s_cbranch_execz .LBB6_964
.LBB6_963:                              ;   in Loop: Header=BB6_143 Depth=2
	v_bfe_u32 v181, v29, 3, 4
	v_lshlrev_b32_e32 v182, 24, v29
	s_delay_alu instid0(VALU_DEP_2) | instskip(SKIP_1) | instid1(VALU_DEP_1)
	v_cmp_eq_u32_e32 vcc_lo, 0, v181
	v_and_b32_e32 v178, 7, v29
	v_clz_i32_u32_e32 v179, v178
	s_delay_alu instid0(VALU_DEP_1) | instskip(NEXT) | instid1(VALU_DEP_1)
	v_min_u32_e32 v179, 32, v179
	v_subrev_nc_u32_e32 v180, 28, v179
	v_sub_nc_u32_e32 v179, 29, v179
	s_delay_alu instid0(VALU_DEP_1) | instskip(NEXT) | instid1(VALU_DEP_1)
	v_dual_cndmask_b32 v179, v181, v179 :: v_dual_lshlrev_b32 v180, v180, v29
	v_and_b32_e32 v180, 7, v180
	s_delay_alu instid0(VALU_DEP_2) | instskip(NEXT) | instid1(VALU_DEP_2)
	v_lshl_add_u32 v179, v179, 23, 0x3b800000
	v_cndmask_b32_e32 v178, v178, v180, vcc_lo
	v_and_b32_e32 v180, 0x80000000, v182
	s_delay_alu instid0(VALU_DEP_2) | instskip(NEXT) | instid1(VALU_DEP_1)
	v_lshlrev_b32_e32 v178, 20, v178
	v_or3_b32 v178, v180, v179, v178
.LBB6_964:                              ;   in Loop: Header=BB6_143 Depth=2
	s_or_b32 exec_lo, exec_lo, s26
	s_delay_alu instid0(VALU_DEP_1) | instskip(SKIP_2) | instid1(VALU_DEP_1)
	v_max_f32_e32 v178, v178, v178
	v_max_f32_e32 v34, v34, v34
	s_mov_b32 s11, 0
	v_max_f32_e32 v178, v34, v178
	s_branch .LBB6_966
.LBB6_965:                              ;   in Loop: Header=BB6_143 Depth=2
	s_mov_b32 s11, -1
                                        ; implicit-def: $vgpr178
.LBB6_966:                              ;   in Loop: Header=BB6_143 Depth=2
	s_delay_alu instid0(SALU_CYCLE_1)
	s_and_b32 vcc_lo, exec_lo, s11
	s_cbranch_vccz .LBB6_976
; %bb.967:                              ;   in Loop: Header=BB6_143 Depth=2
	v_and_b32_e32 v178, 0xff, v35
	s_mov_b32 s11, 0
	s_mov_b32 s27, exec_lo
                                        ; implicit-def: $sgpr26
	s_delay_alu instid0(VALU_DEP_1)
	v_cmpx_lt_i16_e64 0x7f, v178
	s_xor_b32 s27, exec_lo, s27
	s_cbranch_execnz .LBB6_2453
; %bb.968:                              ;   in Loop: Header=BB6_143 Depth=2
	s_or_saveexec_b32 s27, s27
	v_mov_b32_e32 v34, s26
	s_xor_b32 exec_lo, exec_lo, s27
	s_cbranch_execnz .LBB6_2456
.LBB6_969:                              ;   in Loop: Header=BB6_143 Depth=2
	s_or_b32 exec_lo, exec_lo, s27
	s_and_saveexec_b32 s26, s11
	s_cbranch_execz .LBB6_971
.LBB6_970:                              ;   in Loop: Header=BB6_143 Depth=2
	v_and_b32_e32 v34, 7, v35
	v_bfe_u32 v180, v35, 3, 4
	v_lshlrev_b32_e32 v181, 24, v35
	s_delay_alu instid0(VALU_DEP_3) | instskip(NEXT) | instid1(VALU_DEP_3)
	v_clz_i32_u32_e32 v178, v34
	v_cmp_eq_u32_e32 vcc_lo, 0, v180
	s_delay_alu instid0(VALU_DEP_2) | instskip(NEXT) | instid1(VALU_DEP_1)
	v_min_u32_e32 v178, 32, v178
	v_subrev_nc_u32_e32 v179, 28, v178
	v_sub_nc_u32_e32 v178, 29, v178
	s_delay_alu instid0(VALU_DEP_1) | instskip(NEXT) | instid1(VALU_DEP_1)
	v_dual_cndmask_b32 v178, v180, v178 :: v_dual_lshlrev_b32 v179, v179, v35
	v_and_b32_e32 v179, 7, v179
	s_delay_alu instid0(VALU_DEP_2) | instskip(NEXT) | instid1(VALU_DEP_2)
	v_lshl_add_u32 v178, v178, 23, 0x3b800000
	v_dual_cndmask_b32 v34, v34, v179 :: v_dual_and_b32 v179, 0x80000000, v181
	s_delay_alu instid0(VALU_DEP_1) | instskip(NEXT) | instid1(VALU_DEP_1)
	v_lshlrev_b32_e32 v34, 20, v34
	v_or3_b32 v34, v179, v178, v34
.LBB6_971:                              ;   in Loop: Header=BB6_143 Depth=2
	s_or_b32 exec_lo, exec_lo, s26
	v_and_b32_e32 v179, 0xff, v29
	s_mov_b32 s11, 0
	s_mov_b32 s27, exec_lo
                                        ; implicit-def: $sgpr26
	s_delay_alu instid0(VALU_DEP_1)
	v_cmpx_lt_i16_e64 0x7f, v179
	s_xor_b32 s27, exec_lo, s27
	s_cbranch_execnz .LBB6_2457
; %bb.972:                              ;   in Loop: Header=BB6_143 Depth=2
	s_or_saveexec_b32 s27, s27
	v_mov_b32_e32 v178, s26
	s_xor_b32 exec_lo, exec_lo, s27
	s_cbranch_execnz .LBB6_2460
.LBB6_973:                              ;   in Loop: Header=BB6_143 Depth=2
	s_or_b32 exec_lo, exec_lo, s27
	s_and_saveexec_b32 s26, s11
	s_cbranch_execz .LBB6_975
.LBB6_974:                              ;   in Loop: Header=BB6_143 Depth=2
	v_bfe_u32 v181, v29, 3, 4
	v_lshlrev_b32_e32 v182, 24, v29
	s_delay_alu instid0(VALU_DEP_2) | instskip(SKIP_1) | instid1(VALU_DEP_1)
	v_cmp_eq_u32_e32 vcc_lo, 0, v181
	v_and_b32_e32 v178, 7, v29
	v_clz_i32_u32_e32 v179, v178
	s_delay_alu instid0(VALU_DEP_1) | instskip(NEXT) | instid1(VALU_DEP_1)
	v_min_u32_e32 v179, 32, v179
	v_subrev_nc_u32_e32 v180, 28, v179
	v_sub_nc_u32_e32 v179, 29, v179
	s_delay_alu instid0(VALU_DEP_1) | instskip(NEXT) | instid1(VALU_DEP_1)
	v_dual_cndmask_b32 v179, v181, v179 :: v_dual_lshlrev_b32 v180, v180, v29
	v_and_b32_e32 v180, 7, v180
	s_delay_alu instid0(VALU_DEP_2) | instskip(NEXT) | instid1(VALU_DEP_2)
	v_lshl_add_u32 v179, v179, 23, 0x3b800000
	v_cndmask_b32_e32 v178, v178, v180, vcc_lo
	v_and_b32_e32 v180, 0x80000000, v182
	s_delay_alu instid0(VALU_DEP_2) | instskip(NEXT) | instid1(VALU_DEP_1)
	v_lshlrev_b32_e32 v178, 20, v178
	v_or3_b32 v178, v180, v179, v178
.LBB6_975:                              ;   in Loop: Header=BB6_143 Depth=2
	s_or_b32 exec_lo, exec_lo, s26
	s_delay_alu instid0(VALU_DEP_1) | instskip(SKIP_1) | instid1(VALU_DEP_1)
	v_max_f32_e32 v178, v178, v178
	v_max_f32_e32 v34, v34, v34
	v_min_f32_e32 v178, v34, v178
.LBB6_976:                              ;   in Loop: Header=BB6_143 Depth=2
	s_delay_alu instid0(VALU_DEP_1) | instskip(NEXT) | instid1(VALU_DEP_1)
	v_and_b32_e32 v34, 0x7f800000, v178
	v_cmp_ne_u32_e32 vcc_lo, 0x7f800000, v34
	v_mov_b32_e32 v34, 0x80
	s_and_saveexec_b32 s26, vcc_lo
	s_cbranch_execz .LBB6_984
; %bb.977:                              ;   in Loop: Header=BB6_143 Depth=2
	v_mov_b32_e32 v34, 0
	s_mov_b32 s27, exec_lo
	v_cmpx_ne_u32_e32 0, v178
	s_cbranch_execz .LBB6_983
; %bb.978:                              ;   in Loop: Header=BB6_143 Depth=2
	v_bfe_u32 v34, v178, 23, 8
	s_delay_alu instid0(VALU_DEP_1) | instskip(SKIP_1) | instid1(VALU_DEP_2)
	v_sub_nc_u32_e32 v180, 0x78, v34
	v_cmp_gt_u32_e32 vcc_lo, 0x79, v34
	v_dual_cndmask_b32 v180, 0, v180 :: v_dual_and_b32 v179, 0x7fffff, v178
	s_delay_alu instid0(VALU_DEP_1) | instskip(SKIP_2) | instid1(VALU_DEP_4)
	v_or_b32_e32 v181, 0x800000, v179
	v_cmp_eq_u32_e32 vcc_lo, 0, v34
	v_add_nc_u32_e32 v34, 0xffffff89, v34
	v_cndmask_b32_e64 v180, v180, 0x77, vcc_lo
	s_delay_alu instid0(VALU_DEP_4) | instskip(NEXT) | instid1(VALU_DEP_3)
	v_cndmask_b32_e32 v179, v181, v179, vcc_lo
	v_cndmask_b32_e64 v34, v34, 0xffffff8a, vcc_lo
	s_delay_alu instid0(VALU_DEP_3) | instskip(NEXT) | instid1(VALU_DEP_3)
	v_lshl_add_u32 v181, 0x100000, v180, -1
	v_lshrrev_b32_e32 v182, v180, v179
	v_lshlrev_b32_e64 v40, v180, 0x80000
	s_delay_alu instid0(VALU_DEP_4) | instskip(NEXT) | instid1(VALU_DEP_4)
	v_add_nc_u32_e32 v180, v180, v34
	v_and_b32_e32 v179, v181, v179
	s_delay_alu instid0(VALU_DEP_4) | instskip(NEXT) | instid1(VALU_DEP_2)
	v_bfe_u32 v183, v182, 20, 1
	v_cmp_eq_u32_e64 s11, v179, v40
	s_delay_alu instid0(VALU_DEP_2) | instskip(NEXT) | instid1(VALU_DEP_1)
	v_add_nc_u32_e32 v181, -1, v183
	v_cndmask_b32_e64 v179, 0, v181, s11
	v_lshrrev_b32_e32 v181, 23, v182
	s_mov_b32 s11, exec_lo
	s_delay_alu instid0(VALU_DEP_2) | instskip(NEXT) | instid1(VALU_DEP_2)
	v_add_nc_u32_e32 v179, v179, v182
	v_xor_b32_e32 v181, 1, v181
	s_delay_alu instid0(VALU_DEP_2) | instskip(NEXT) | instid1(VALU_DEP_1)
	v_and_b32_e32 v34, 0xfffff, v179
	v_add_nc_u32_e32 v179, v34, v182
                                        ; implicit-def: $vgpr34
	s_delay_alu instid0(VALU_DEP_3)
	v_cmpx_ne_u32_e64 v180, v181
	s_xor_b32 s11, exec_lo, s11
; %bb.979:                              ;   in Loop: Header=BB6_143 Depth=2
	s_delay_alu instid0(VALU_DEP_2) | instskip(SKIP_2) | instid1(VALU_DEP_2)
	v_cmp_lt_u32_e32 vcc_lo, 0xffffff, v179
	v_sub_nc_u32_e32 v34, v180, v181
	v_cndmask_b32_e64 v180, 0, 1, vcc_lo
	v_add_co_ci_u32_e32 v34, vcc_lo, 0, v34, vcc_lo
	s_delay_alu instid0(VALU_DEP_2)
	v_lshrrev_b32_e32 v179, v180, v179
; %bb.980:                              ;   in Loop: Header=BB6_143 Depth=2
	s_and_not1_saveexec_b32 s11, s11
; %bb.981:                              ;   in Loop: Header=BB6_143 Depth=2
	s_delay_alu instid0(VALU_DEP_1)
	v_bfe_u32 v34, v179, 23, 1
; %bb.982:                              ;   in Loop: Header=BB6_143 Depth=2
	s_or_b32 exec_lo, exec_lo, s11
	v_lshrrev_b32_e32 v179, 20, v179
	s_delay_alu instid0(VALU_DEP_2) | instskip(SKIP_2) | instid1(VALU_DEP_2)
	v_cmp_gt_i32_e32 vcc_lo, 16, v34
	v_lshrrev_b32_e32 v178, 24, v178
	v_min_i32_e32 v180, 15, v34
	v_dual_cndmask_b32 v179, 7, v179 :: v_dual_and_b32 v178, 0x80, v178
	s_delay_alu instid0(VALU_DEP_2) | instskip(NEXT) | instid1(VALU_DEP_2)
	v_lshlrev_b32_e32 v180, 3, v180
	v_or_b32_e32 v34, v34, v179
	s_delay_alu instid0(VALU_DEP_1) | instskip(SKIP_1) | instid1(VALU_DEP_1)
	v_cmp_ne_u32_e32 vcc_lo, 0, v34
	v_and_b32_e32 v181, 7, v179
	v_or3_b32 v178, v180, v178, v181
	s_delay_alu instid0(VALU_DEP_1)
	v_cndmask_b32_e32 v34, 0, v178, vcc_lo
.LBB6_983:                              ;   in Loop: Header=BB6_143 Depth=2
	s_or_b32 exec_lo, exec_lo, s27
.LBB6_984:                              ;   in Loop: Header=BB6_143 Depth=2
	s_delay_alu instid0(SALU_CYCLE_1)
	s_or_b32 exec_lo, exec_lo, s26
	v_lshrrev_b16 v179, 8, v35
	v_lshrrev_b16 v178, 8, v29
	s_and_not1_b32 vcc_lo, exec_lo, s25
	s_cbranch_vccnz .LBB6_994
; %bb.985:                              ;   in Loop: Header=BB6_143 Depth=2
	s_mov_b32 s11, 0
	s_mov_b32 s27, exec_lo
                                        ; implicit-def: $sgpr26
	v_cmpx_lt_i16_e64 0x7f, v179
	s_xor_b32 s27, exec_lo, s27
	s_cbranch_execnz .LBB6_2461
; %bb.986:                              ;   in Loop: Header=BB6_143 Depth=2
	s_or_saveexec_b32 s27, s27
	v_mov_b32_e32 v180, s26
	s_xor_b32 exec_lo, exec_lo, s27
	s_cbranch_execnz .LBB6_2464
.LBB6_987:                              ;   in Loop: Header=BB6_143 Depth=2
	s_or_b32 exec_lo, exec_lo, s27
	s_and_saveexec_b32 s26, s11
	s_cbranch_execz .LBB6_989
.LBB6_988:                              ;   in Loop: Header=BB6_143 Depth=2
	v_and_b32_e32 v180, 0xffff, v179
	v_lshlrev_b32_e32 v40, 16, v35
	s_delay_alu instid0(VALU_DEP_2) | instskip(NEXT) | instid1(VALU_DEP_1)
	v_and_b32_e32 v181, 7, v180
	v_clz_i32_u32_e32 v182, v181
	s_delay_alu instid0(VALU_DEP_1) | instskip(NEXT) | instid1(VALU_DEP_1)
	v_min_u32_e32 v182, 32, v182
	v_subrev_nc_u32_e32 v183, 28, v182
	v_sub_nc_u32_e32 v182, 29, v182
	s_delay_alu instid0(VALU_DEP_2) | instskip(SKIP_1) | instid1(VALU_DEP_2)
	v_lshlrev_b32_e32 v183, v183, v180
	v_bfe_u32 v180, v180, 3, 4
	v_and_b32_e32 v183, 7, v183
	s_delay_alu instid0(VALU_DEP_2) | instskip(NEXT) | instid1(VALU_DEP_2)
	v_cmp_eq_u32_e32 vcc_lo, 0, v180
	v_dual_cndmask_b32 v180, v180, v182 :: v_dual_cndmask_b32 v181, v181, v183
	v_and_b32_e32 v182, 0x80000000, v40
	s_delay_alu instid0(VALU_DEP_2) | instskip(NEXT) | instid1(VALU_DEP_3)
	v_lshl_add_u32 v180, v180, 23, 0x3b800000
	v_lshlrev_b32_e32 v181, 20, v181
	s_delay_alu instid0(VALU_DEP_1)
	v_or3_b32 v180, v182, v180, v181
.LBB6_989:                              ;   in Loop: Header=BB6_143 Depth=2
	s_or_b32 exec_lo, exec_lo, s26
	s_mov_b32 s11, 0
	s_mov_b32 s27, exec_lo
                                        ; implicit-def: $sgpr26
	v_cmpx_lt_i16_e64 0x7f, v178
	s_xor_b32 s27, exec_lo, s27
	s_cbranch_execnz .LBB6_2465
; %bb.990:                              ;   in Loop: Header=BB6_143 Depth=2
	s_or_saveexec_b32 s27, s27
	v_mov_b32_e32 v181, s26
	s_xor_b32 exec_lo, exec_lo, s27
	s_cbranch_execnz .LBB6_2468
.LBB6_991:                              ;   in Loop: Header=BB6_143 Depth=2
	s_or_b32 exec_lo, exec_lo, s27
	s_and_saveexec_b32 s26, s11
	s_cbranch_execz .LBB6_993
.LBB6_992:                              ;   in Loop: Header=BB6_143 Depth=2
	v_and_b32_e32 v181, 0xffff, v178
	v_lshlrev_b32_e32 v41, 16, v29
	s_delay_alu instid0(VALU_DEP_2) | instskip(NEXT) | instid1(VALU_DEP_1)
	v_and_b32_e32 v182, 7, v181
	v_clz_i32_u32_e32 v183, v182
	s_delay_alu instid0(VALU_DEP_1) | instskip(NEXT) | instid1(VALU_DEP_1)
	v_min_u32_e32 v183, 32, v183
	v_subrev_nc_u32_e32 v40, 28, v183
	v_sub_nc_u32_e32 v183, 29, v183
	s_delay_alu instid0(VALU_DEP_2) | instskip(SKIP_1) | instid1(VALU_DEP_2)
	v_lshlrev_b32_e32 v40, v40, v181
	v_bfe_u32 v181, v181, 3, 4
	v_and_b32_e32 v40, 7, v40
	s_delay_alu instid0(VALU_DEP_2) | instskip(NEXT) | instid1(VALU_DEP_2)
	v_cmp_eq_u32_e32 vcc_lo, 0, v181
	v_dual_cndmask_b32 v181, v181, v183 :: v_dual_cndmask_b32 v182, v182, v40
	v_and_b32_e32 v183, 0x80000000, v41
	s_delay_alu instid0(VALU_DEP_2) | instskip(NEXT) | instid1(VALU_DEP_3)
	v_lshl_add_u32 v181, v181, 23, 0x3b800000
	v_lshlrev_b32_e32 v182, 20, v182
	s_delay_alu instid0(VALU_DEP_1)
	v_or3_b32 v181, v183, v181, v182
.LBB6_993:                              ;   in Loop: Header=BB6_143 Depth=2
	s_or_b32 exec_lo, exec_lo, s26
	s_delay_alu instid0(VALU_DEP_1) | instskip(SKIP_1) | instid1(VALU_DEP_1)
	v_dual_max_f32 v181, v181, v181 :: v_dual_max_f32 v180, v180, v180
	s_mov_b32 s11, 0
	v_max_f32_e32 v180, v180, v181
	s_branch .LBB6_995
.LBB6_994:                              ;   in Loop: Header=BB6_143 Depth=2
	s_mov_b32 s11, -1
                                        ; implicit-def: $vgpr180
.LBB6_995:                              ;   in Loop: Header=BB6_143 Depth=2
	s_delay_alu instid0(SALU_CYCLE_1)
	s_and_b32 vcc_lo, exec_lo, s11
	s_cbranch_vccz .LBB6_1005
; %bb.996:                              ;   in Loop: Header=BB6_143 Depth=2
	s_mov_b32 s11, 0
	s_mov_b32 s27, exec_lo
                                        ; implicit-def: $sgpr26
	v_cmpx_lt_i16_e64 0x7f, v179
	s_xor_b32 s27, exec_lo, s27
	s_cbranch_execnz .LBB6_2469
; %bb.997:                              ;   in Loop: Header=BB6_143 Depth=2
	s_or_saveexec_b32 s27, s27
	v_mov_b32_e32 v180, s26
	s_xor_b32 exec_lo, exec_lo, s27
	s_cbranch_execnz .LBB6_2472
.LBB6_998:                              ;   in Loop: Header=BB6_143 Depth=2
	s_or_b32 exec_lo, exec_lo, s27
	s_and_saveexec_b32 s26, s11
	s_cbranch_execz .LBB6_1000
.LBB6_999:                              ;   in Loop: Header=BB6_143 Depth=2
	v_and_b32_e32 v179, 0xffff, v179
	v_lshlrev_b32_e32 v183, 16, v35
	s_delay_alu instid0(VALU_DEP_2) | instskip(NEXT) | instid1(VALU_DEP_1)
	v_and_b32_e32 v180, 7, v179
	v_clz_i32_u32_e32 v181, v180
	s_delay_alu instid0(VALU_DEP_1) | instskip(NEXT) | instid1(VALU_DEP_1)
	v_min_u32_e32 v181, 32, v181
	v_subrev_nc_u32_e32 v182, 28, v181
	v_sub_nc_u32_e32 v181, 29, v181
	s_delay_alu instid0(VALU_DEP_2) | instskip(SKIP_1) | instid1(VALU_DEP_2)
	v_lshlrev_b32_e32 v182, v182, v179
	v_bfe_u32 v179, v179, 3, 4
	v_and_b32_e32 v182, 7, v182
	s_delay_alu instid0(VALU_DEP_2) | instskip(NEXT) | instid1(VALU_DEP_2)
	v_cmp_eq_u32_e32 vcc_lo, 0, v179
	v_dual_cndmask_b32 v179, v179, v181 :: v_dual_cndmask_b32 v180, v180, v182
	v_and_b32_e32 v181, 0x80000000, v183
	s_delay_alu instid0(VALU_DEP_2) | instskip(NEXT) | instid1(VALU_DEP_3)
	v_lshl_add_u32 v179, v179, 23, 0x3b800000
	v_lshlrev_b32_e32 v180, 20, v180
	s_delay_alu instid0(VALU_DEP_1)
	v_or3_b32 v180, v181, v179, v180
.LBB6_1000:                             ;   in Loop: Header=BB6_143 Depth=2
	s_or_b32 exec_lo, exec_lo, s26
	s_mov_b32 s11, 0
	s_mov_b32 s27, exec_lo
                                        ; implicit-def: $sgpr26
	v_cmpx_lt_i16_e64 0x7f, v178
	s_xor_b32 s27, exec_lo, s27
	s_cbranch_execnz .LBB6_2473
; %bb.1001:                             ;   in Loop: Header=BB6_143 Depth=2
	s_or_saveexec_b32 s27, s27
	v_mov_b32_e32 v179, s26
	s_xor_b32 exec_lo, exec_lo, s27
	s_cbranch_execnz .LBB6_2476
.LBB6_1002:                             ;   in Loop: Header=BB6_143 Depth=2
	s_or_b32 exec_lo, exec_lo, s27
	s_and_saveexec_b32 s26, s11
	s_cbranch_execz .LBB6_1004
.LBB6_1003:                             ;   in Loop: Header=BB6_143 Depth=2
	v_and_b32_e32 v178, 0xffff, v178
	v_lshlrev_b32_e32 v183, 16, v29
	s_delay_alu instid0(VALU_DEP_2) | instskip(NEXT) | instid1(VALU_DEP_1)
	v_and_b32_e32 v179, 7, v178
	v_clz_i32_u32_e32 v181, v179
	s_delay_alu instid0(VALU_DEP_1) | instskip(NEXT) | instid1(VALU_DEP_1)
	v_min_u32_e32 v181, 32, v181
	v_subrev_nc_u32_e32 v182, 28, v181
	v_sub_nc_u32_e32 v181, 29, v181
	s_delay_alu instid0(VALU_DEP_2) | instskip(SKIP_1) | instid1(VALU_DEP_2)
	v_lshlrev_b32_e32 v182, v182, v178
	v_bfe_u32 v178, v178, 3, 4
	v_and_b32_e32 v182, 7, v182
	s_delay_alu instid0(VALU_DEP_2) | instskip(NEXT) | instid1(VALU_DEP_2)
	v_cmp_eq_u32_e32 vcc_lo, 0, v178
	v_dual_cndmask_b32 v178, v178, v181 :: v_dual_cndmask_b32 v179, v179, v182
	v_and_b32_e32 v181, 0x80000000, v183
	s_delay_alu instid0(VALU_DEP_2) | instskip(NEXT) | instid1(VALU_DEP_3)
	v_lshl_add_u32 v178, v178, 23, 0x3b800000
	v_lshlrev_b32_e32 v179, 20, v179
	s_delay_alu instid0(VALU_DEP_1)
	v_or3_b32 v179, v181, v178, v179
.LBB6_1004:                             ;   in Loop: Header=BB6_143 Depth=2
	s_or_b32 exec_lo, exec_lo, s26
	s_delay_alu instid0(VALU_DEP_1) | instskip(NEXT) | instid1(VALU_DEP_1)
	v_dual_max_f32 v178, v179, v179 :: v_dual_max_f32 v179, v180, v180
	v_min_f32_e32 v180, v179, v178
.LBB6_1005:                             ;   in Loop: Header=BB6_143 Depth=2
	s_delay_alu instid0(VALU_DEP_1) | instskip(NEXT) | instid1(VALU_DEP_1)
	v_and_b32_e32 v178, 0x7f800000, v180
	v_cmp_ne_u32_e32 vcc_lo, 0x7f800000, v178
	v_mov_b32_e32 v178, 0x80
	s_and_saveexec_b32 s26, vcc_lo
	s_cbranch_execz .LBB6_1013
; %bb.1006:                             ;   in Loop: Header=BB6_143 Depth=2
	v_mov_b32_e32 v178, 0
	s_mov_b32 s27, exec_lo
	v_cmpx_ne_u32_e32 0, v180
	s_cbranch_execz .LBB6_1012
; %bb.1007:                             ;   in Loop: Header=BB6_143 Depth=2
	v_bfe_u32 v178, v180, 23, 8
	v_and_b32_e32 v179, 0x7fffff, v180
	s_delay_alu instid0(VALU_DEP_2) | instskip(SKIP_1) | instid1(VALU_DEP_3)
	v_sub_nc_u32_e32 v181, 0x78, v178
	v_cmp_gt_u32_e32 vcc_lo, 0x79, v178
	v_or_b32_e32 v182, 0x800000, v179
	s_delay_alu instid0(VALU_DEP_3) | instskip(SKIP_2) | instid1(VALU_DEP_3)
	v_cndmask_b32_e32 v181, 0, v181, vcc_lo
	v_cmp_eq_u32_e32 vcc_lo, 0, v178
	v_add_nc_u32_e32 v178, 0xffffff89, v178
	v_cndmask_b32_e64 v181, v181, 0x77, vcc_lo
	v_cndmask_b32_e32 v179, v182, v179, vcc_lo
	s_delay_alu instid0(VALU_DEP_3) | instskip(NEXT) | instid1(VALU_DEP_3)
	v_cndmask_b32_e64 v178, v178, 0xffffff8a, vcc_lo
	v_lshl_add_u32 v182, 0x100000, v181, -1
	s_delay_alu instid0(VALU_DEP_3) | instskip(SKIP_1) | instid1(VALU_DEP_4)
	v_lshrrev_b32_e32 v183, v181, v179
	v_lshlrev_b32_e64 v41, v181, 0x80000
	v_add_nc_u32_e32 v181, v181, v178
	s_delay_alu instid0(VALU_DEP_4) | instskip(NEXT) | instid1(VALU_DEP_4)
	v_and_b32_e32 v179, v182, v179
	v_bfe_u32 v40, v183, 20, 1
	s_delay_alu instid0(VALU_DEP_2) | instskip(NEXT) | instid1(VALU_DEP_2)
	v_cmp_eq_u32_e64 s11, v179, v41
	v_add_nc_u32_e32 v182, -1, v40
	s_delay_alu instid0(VALU_DEP_1) | instskip(SKIP_2) | instid1(VALU_DEP_2)
	v_cndmask_b32_e64 v179, 0, v182, s11
	v_lshrrev_b32_e32 v182, 23, v183
	s_mov_b32 s11, exec_lo
	v_add_nc_u32_e32 v179, v179, v183
	s_delay_alu instid0(VALU_DEP_2) | instskip(NEXT) | instid1(VALU_DEP_2)
	v_xor_b32_e32 v182, 1, v182
	v_and_b32_e32 v178, 0xfffff, v179
	s_delay_alu instid0(VALU_DEP_1) | instskip(NEXT) | instid1(VALU_DEP_3)
	v_add_nc_u32_e32 v179, v178, v183
                                        ; implicit-def: $vgpr178
	v_cmpx_ne_u32_e64 v181, v182
	s_xor_b32 s11, exec_lo, s11
; %bb.1008:                             ;   in Loop: Header=BB6_143 Depth=2
	s_delay_alu instid0(VALU_DEP_2) | instskip(SKIP_2) | instid1(VALU_DEP_2)
	v_cmp_lt_u32_e32 vcc_lo, 0xffffff, v179
	v_sub_nc_u32_e32 v178, v181, v182
	v_cndmask_b32_e64 v181, 0, 1, vcc_lo
	v_add_co_ci_u32_e32 v178, vcc_lo, 0, v178, vcc_lo
	s_delay_alu instid0(VALU_DEP_2)
	v_lshrrev_b32_e32 v179, v181, v179
; %bb.1009:                             ;   in Loop: Header=BB6_143 Depth=2
	s_and_not1_saveexec_b32 s11, s11
; %bb.1010:                             ;   in Loop: Header=BB6_143 Depth=2
	s_delay_alu instid0(VALU_DEP_1)
	v_bfe_u32 v178, v179, 23, 1
; %bb.1011:                             ;   in Loop: Header=BB6_143 Depth=2
	s_or_b32 exec_lo, exec_lo, s11
	v_lshrrev_b32_e32 v179, 20, v179
	s_delay_alu instid0(VALU_DEP_2) | instskip(SKIP_2) | instid1(VALU_DEP_2)
	v_cmp_gt_i32_e32 vcc_lo, 16, v178
	v_lshrrev_b32_e32 v180, 24, v180
	v_min_i32_e32 v181, 15, v178
	v_dual_cndmask_b32 v179, 7, v179 :: v_dual_and_b32 v180, 0x80, v180
	s_delay_alu instid0(VALU_DEP_1) | instskip(SKIP_1) | instid1(VALU_DEP_2)
	v_or_b32_e32 v178, v178, v179
	v_and_b32_e32 v182, 7, v179
	v_cmp_ne_u32_e32 vcc_lo, 0, v178
	v_lshlrev_b32_e32 v181, 3, v181
	s_delay_alu instid0(VALU_DEP_1) | instskip(NEXT) | instid1(VALU_DEP_1)
	v_or3_b32 v179, v181, v180, v182
	v_cndmask_b32_e32 v178, 0, v179, vcc_lo
.LBB6_1012:                             ;   in Loop: Header=BB6_143 Depth=2
	s_or_b32 exec_lo, exec_lo, s27
.LBB6_1013:                             ;   in Loop: Header=BB6_143 Depth=2
	s_delay_alu instid0(SALU_CYCLE_1)
	s_or_b32 exec_lo, exec_lo, s26
	v_lshrrev_b32_e32 v180, 16, v35
	v_lshrrev_b32_e32 v179, 16, v29
	s_and_not1_b32 vcc_lo, exec_lo, s25
	s_cbranch_vccnz .LBB6_1023
; %bb.1014:                             ;   in Loop: Header=BB6_143 Depth=2
	s_delay_alu instid0(VALU_DEP_2) | instskip(SKIP_2) | instid1(VALU_DEP_1)
	v_and_b32_e32 v182, 0xff, v180
	s_mov_b32 s11, 0
	s_mov_b32 s27, exec_lo
                                        ; implicit-def: $sgpr26
	v_cmpx_lt_i16_e64 0x7f, v182
	s_xor_b32 s27, exec_lo, s27
	s_cbranch_execnz .LBB6_2477
; %bb.1015:                             ;   in Loop: Header=BB6_143 Depth=2
	s_or_saveexec_b32 s27, s27
	v_mov_b32_e32 v181, s26
	s_xor_b32 exec_lo, exec_lo, s27
	s_cbranch_execnz .LBB6_2480
.LBB6_1016:                             ;   in Loop: Header=BB6_143 Depth=2
	s_or_b32 exec_lo, exec_lo, s27
	s_and_saveexec_b32 s26, s11
	s_cbranch_execz .LBB6_1018
.LBB6_1017:                             ;   in Loop: Header=BB6_143 Depth=2
	v_bfe_u32 v181, v35, 16, 3
	v_bfe_u32 v40, v35, 19, 4
	v_lshlrev_b32_e32 v41, 24, v180
	s_delay_alu instid0(VALU_DEP_3) | instskip(NEXT) | instid1(VALU_DEP_3)
	v_clz_i32_u32_e32 v182, v181
	v_cmp_eq_u32_e32 vcc_lo, 0, v40
	s_delay_alu instid0(VALU_DEP_2) | instskip(NEXT) | instid1(VALU_DEP_1)
	v_min_u32_e32 v182, 32, v182
	v_subrev_nc_u32_e32 v183, 28, v182
	v_sub_nc_u32_e32 v182, 29, v182
	s_delay_alu instid0(VALU_DEP_1) | instskip(NEXT) | instid1(VALU_DEP_1)
	v_dual_cndmask_b32 v182, v40, v182 :: v_dual_lshlrev_b32 v183, v183, v180
	v_and_b32_e32 v183, 7, v183
	s_delay_alu instid0(VALU_DEP_2) | instskip(NEXT) | instid1(VALU_DEP_2)
	v_lshl_add_u32 v182, v182, 23, 0x3b800000
	v_cndmask_b32_e32 v181, v181, v183, vcc_lo
	v_and_b32_e32 v183, 0x80000000, v41
	s_delay_alu instid0(VALU_DEP_2) | instskip(NEXT) | instid1(VALU_DEP_1)
	v_lshlrev_b32_e32 v181, 20, v181
	v_or3_b32 v181, v183, v182, v181
.LBB6_1018:                             ;   in Loop: Header=BB6_143 Depth=2
	s_or_b32 exec_lo, exec_lo, s26
	v_and_b32_e32 v183, 0xff, v179
	s_mov_b32 s11, 0
	s_mov_b32 s27, exec_lo
                                        ; implicit-def: $sgpr26
	s_delay_alu instid0(VALU_DEP_1)
	v_cmpx_lt_i16_e64 0x7f, v183
	s_xor_b32 s27, exec_lo, s27
	s_cbranch_execnz .LBB6_2481
; %bb.1019:                             ;   in Loop: Header=BB6_143 Depth=2
	s_or_saveexec_b32 s27, s27
	v_mov_b32_e32 v182, s26
	s_xor_b32 exec_lo, exec_lo, s27
	s_cbranch_execnz .LBB6_2484
.LBB6_1020:                             ;   in Loop: Header=BB6_143 Depth=2
	s_or_b32 exec_lo, exec_lo, s27
	s_and_saveexec_b32 s26, s11
	s_cbranch_execz .LBB6_1022
.LBB6_1021:                             ;   in Loop: Header=BB6_143 Depth=2
	v_bfe_u32 v182, v29, 16, 3
	v_bfe_u32 v41, v29, 19, 4
	v_lshlrev_b32_e32 v42, 24, v179
	s_delay_alu instid0(VALU_DEP_3) | instskip(NEXT) | instid1(VALU_DEP_3)
	v_clz_i32_u32_e32 v183, v182
	v_cmp_eq_u32_e32 vcc_lo, 0, v41
	s_delay_alu instid0(VALU_DEP_2) | instskip(NEXT) | instid1(VALU_DEP_1)
	v_min_u32_e32 v183, 32, v183
	v_subrev_nc_u32_e32 v40, 28, v183
	v_sub_nc_u32_e32 v183, 29, v183
	s_delay_alu instid0(VALU_DEP_2) | instskip(NEXT) | instid1(VALU_DEP_1)
	v_lshlrev_b32_e32 v40, v40, v179
	v_dual_cndmask_b32 v183, v41, v183 :: v_dual_and_b32 v40, 7, v40
	s_delay_alu instid0(VALU_DEP_1) | instskip(NEXT) | instid1(VALU_DEP_2)
	v_lshl_add_u32 v183, v183, 23, 0x3b800000
	v_cndmask_b32_e32 v182, v182, v40, vcc_lo
	v_and_b32_e32 v40, 0x80000000, v42
	s_delay_alu instid0(VALU_DEP_2) | instskip(NEXT) | instid1(VALU_DEP_1)
	v_lshlrev_b32_e32 v182, 20, v182
	v_or3_b32 v182, v40, v183, v182
.LBB6_1022:                             ;   in Loop: Header=BB6_143 Depth=2
	s_or_b32 exec_lo, exec_lo, s26
	s_delay_alu instid0(VALU_DEP_1) | instskip(SKIP_1) | instid1(VALU_DEP_1)
	v_dual_max_f32 v182, v182, v182 :: v_dual_max_f32 v181, v181, v181
	s_mov_b32 s11, 0
	v_max_f32_e32 v181, v181, v182
	s_branch .LBB6_1024
.LBB6_1023:                             ;   in Loop: Header=BB6_143 Depth=2
	s_mov_b32 s11, -1
                                        ; implicit-def: $vgpr181
.LBB6_1024:                             ;   in Loop: Header=BB6_143 Depth=2
	s_delay_alu instid0(SALU_CYCLE_1)
	s_and_b32 vcc_lo, exec_lo, s11
	s_cbranch_vccz .LBB6_1034
; %bb.1025:                             ;   in Loop: Header=BB6_143 Depth=2
	v_and_b32_e32 v182, 0xff, v180
	s_mov_b32 s11, 0
	s_mov_b32 s27, exec_lo
                                        ; implicit-def: $sgpr26
	s_delay_alu instid0(VALU_DEP_1)
	v_cmpx_lt_i16_e64 0x7f, v182
	s_xor_b32 s27, exec_lo, s27
	s_cbranch_execnz .LBB6_2485
; %bb.1026:                             ;   in Loop: Header=BB6_143 Depth=2
	s_or_saveexec_b32 s27, s27
	v_mov_b32_e32 v181, s26
	s_xor_b32 exec_lo, exec_lo, s27
	s_cbranch_execnz .LBB6_2488
.LBB6_1027:                             ;   in Loop: Header=BB6_143 Depth=2
	s_or_b32 exec_lo, exec_lo, s27
	s_and_saveexec_b32 s26, s11
	s_cbranch_execz .LBB6_1029
.LBB6_1028:                             ;   in Loop: Header=BB6_143 Depth=2
	v_bfe_u32 v181, v35, 16, 3
	v_bfe_u32 v40, v35, 19, 4
	s_delay_alu instid0(VALU_DEP_2) | instskip(NEXT) | instid1(VALU_DEP_2)
	v_clz_i32_u32_e32 v182, v181
	v_cmp_eq_u32_e32 vcc_lo, 0, v40
	s_delay_alu instid0(VALU_DEP_2) | instskip(NEXT) | instid1(VALU_DEP_1)
	v_min_u32_e32 v182, 32, v182
	v_subrev_nc_u32_e32 v183, 28, v182
	v_sub_nc_u32_e32 v182, 29, v182
	s_delay_alu instid0(VALU_DEP_1) | instskip(NEXT) | instid1(VALU_DEP_1)
	v_dual_cndmask_b32 v182, v40, v182 :: v_dual_lshlrev_b32 v183, v183, v180
	v_and_b32_e32 v183, 7, v183
	v_lshlrev_b32_e32 v180, 24, v180
	s_delay_alu instid0(VALU_DEP_3) | instskip(NEXT) | instid1(VALU_DEP_2)
	v_lshl_add_u32 v182, v182, 23, 0x3b800000
	v_dual_cndmask_b32 v181, v181, v183 :: v_dual_and_b32 v180, 0x80000000, v180
	s_delay_alu instid0(VALU_DEP_1) | instskip(NEXT) | instid1(VALU_DEP_1)
	v_lshlrev_b32_e32 v181, 20, v181
	v_or3_b32 v181, v180, v182, v181
.LBB6_1029:                             ;   in Loop: Header=BB6_143 Depth=2
	s_or_b32 exec_lo, exec_lo, s26
	v_and_b32_e32 v182, 0xff, v179
	s_mov_b32 s11, 0
	s_mov_b32 s27, exec_lo
                                        ; implicit-def: $sgpr26
	s_delay_alu instid0(VALU_DEP_1)
	v_cmpx_lt_i16_e64 0x7f, v182
	s_xor_b32 s27, exec_lo, s27
	s_cbranch_execnz .LBB6_2489
; %bb.1030:                             ;   in Loop: Header=BB6_143 Depth=2
	s_or_saveexec_b32 s27, s27
	v_mov_b32_e32 v180, s26
	s_xor_b32 exec_lo, exec_lo, s27
	s_cbranch_execnz .LBB6_2492
.LBB6_1031:                             ;   in Loop: Header=BB6_143 Depth=2
	s_or_b32 exec_lo, exec_lo, s27
	s_and_saveexec_b32 s26, s11
	s_cbranch_execz .LBB6_1033
.LBB6_1032:                             ;   in Loop: Header=BB6_143 Depth=2
	v_bfe_u32 v180, v29, 16, 3
	v_bfe_u32 v40, v29, 19, 4
	s_delay_alu instid0(VALU_DEP_2) | instskip(NEXT) | instid1(VALU_DEP_2)
	v_clz_i32_u32_e32 v182, v180
	v_cmp_eq_u32_e32 vcc_lo, 0, v40
	s_delay_alu instid0(VALU_DEP_2) | instskip(NEXT) | instid1(VALU_DEP_1)
	v_min_u32_e32 v182, 32, v182
	v_subrev_nc_u32_e32 v183, 28, v182
	v_sub_nc_u32_e32 v182, 29, v182
	s_delay_alu instid0(VALU_DEP_1) | instskip(SKIP_1) | instid1(VALU_DEP_2)
	v_dual_cndmask_b32 v182, v40, v182 :: v_dual_lshlrev_b32 v183, v183, v179
	v_lshlrev_b32_e32 v179, 24, v179
	v_and_b32_e32 v183, 7, v183
	s_delay_alu instid0(VALU_DEP_3) | instskip(NEXT) | instid1(VALU_DEP_3)
	v_lshl_add_u32 v182, v182, 23, 0x3b800000
	v_and_b32_e32 v179, 0x80000000, v179
	s_delay_alu instid0(VALU_DEP_3) | instskip(NEXT) | instid1(VALU_DEP_1)
	v_cndmask_b32_e32 v180, v180, v183, vcc_lo
	v_lshlrev_b32_e32 v180, 20, v180
	s_delay_alu instid0(VALU_DEP_1)
	v_or3_b32 v180, v179, v182, v180
.LBB6_1033:                             ;   in Loop: Header=BB6_143 Depth=2
	s_or_b32 exec_lo, exec_lo, s26
	s_delay_alu instid0(VALU_DEP_1) | instskip(NEXT) | instid1(VALU_DEP_1)
	v_dual_max_f32 v179, v180, v180 :: v_dual_max_f32 v180, v181, v181
	v_min_f32_e32 v181, v180, v179
.LBB6_1034:                             ;   in Loop: Header=BB6_143 Depth=2
	s_delay_alu instid0(VALU_DEP_1) | instskip(NEXT) | instid1(VALU_DEP_1)
	v_and_b32_e32 v179, 0x7f800000, v181
	v_cmp_ne_u32_e32 vcc_lo, 0x7f800000, v179
	v_mov_b32_e32 v179, 0x80
	s_and_saveexec_b32 s26, vcc_lo
	s_cbranch_execz .LBB6_1042
; %bb.1035:                             ;   in Loop: Header=BB6_143 Depth=2
	v_mov_b32_e32 v179, 0
	s_mov_b32 s27, exec_lo
	v_cmpx_ne_u32_e32 0, v181
	s_cbranch_execz .LBB6_1041
; %bb.1036:                             ;   in Loop: Header=BB6_143 Depth=2
	v_bfe_u32 v179, v181, 23, 8
	v_and_b32_e32 v180, 0x7fffff, v181
	s_delay_alu instid0(VALU_DEP_2) | instskip(SKIP_1) | instid1(VALU_DEP_3)
	v_sub_nc_u32_e32 v182, 0x78, v179
	v_cmp_gt_u32_e32 vcc_lo, 0x79, v179
	v_or_b32_e32 v183, 0x800000, v180
	s_delay_alu instid0(VALU_DEP_3) | instskip(SKIP_2) | instid1(VALU_DEP_3)
	v_cndmask_b32_e32 v182, 0, v182, vcc_lo
	v_cmp_eq_u32_e32 vcc_lo, 0, v179
	v_add_nc_u32_e32 v179, 0xffffff89, v179
	v_cndmask_b32_e64 v182, v182, 0x77, vcc_lo
	v_cndmask_b32_e32 v180, v183, v180, vcc_lo
	s_delay_alu instid0(VALU_DEP_3) | instskip(NEXT) | instid1(VALU_DEP_3)
	v_cndmask_b32_e64 v179, v179, 0xffffff8a, vcc_lo
	v_lshl_add_u32 v183, 0x100000, v182, -1
	s_delay_alu instid0(VALU_DEP_3) | instskip(SKIP_1) | instid1(VALU_DEP_4)
	v_lshrrev_b32_e32 v40, v182, v180
	v_lshlrev_b32_e64 v42, v182, 0x80000
	v_add_nc_u32_e32 v182, v182, v179
	s_delay_alu instid0(VALU_DEP_4) | instskip(NEXT) | instid1(VALU_DEP_4)
	v_and_b32_e32 v180, v183, v180
	v_bfe_u32 v41, v40, 20, 1
	s_delay_alu instid0(VALU_DEP_2) | instskip(NEXT) | instid1(VALU_DEP_2)
	v_cmp_eq_u32_e64 s11, v180, v42
	v_add_nc_u32_e32 v183, -1, v41
	s_delay_alu instid0(VALU_DEP_1) | instskip(SKIP_2) | instid1(VALU_DEP_2)
	v_cndmask_b32_e64 v180, 0, v183, s11
	v_lshrrev_b32_e32 v183, 23, v40
	s_mov_b32 s11, exec_lo
	v_add_nc_u32_e32 v180, v180, v40
	s_delay_alu instid0(VALU_DEP_2) | instskip(NEXT) | instid1(VALU_DEP_2)
	v_xor_b32_e32 v183, 1, v183
	v_and_b32_e32 v179, 0xfffff, v180
	s_delay_alu instid0(VALU_DEP_1) | instskip(NEXT) | instid1(VALU_DEP_3)
	v_add_nc_u32_e32 v180, v179, v40
                                        ; implicit-def: $vgpr179
	v_cmpx_ne_u32_e64 v182, v183
	s_xor_b32 s11, exec_lo, s11
; %bb.1037:                             ;   in Loop: Header=BB6_143 Depth=2
	s_delay_alu instid0(VALU_DEP_2) | instskip(SKIP_2) | instid1(VALU_DEP_2)
	v_cmp_lt_u32_e32 vcc_lo, 0xffffff, v180
	v_sub_nc_u32_e32 v179, v182, v183
	v_cndmask_b32_e64 v182, 0, 1, vcc_lo
	v_add_co_ci_u32_e32 v179, vcc_lo, 0, v179, vcc_lo
	s_delay_alu instid0(VALU_DEP_2)
	v_lshrrev_b32_e32 v180, v182, v180
; %bb.1038:                             ;   in Loop: Header=BB6_143 Depth=2
	s_and_not1_saveexec_b32 s11, s11
; %bb.1039:                             ;   in Loop: Header=BB6_143 Depth=2
	s_delay_alu instid0(VALU_DEP_1)
	v_bfe_u32 v179, v180, 23, 1
; %bb.1040:                             ;   in Loop: Header=BB6_143 Depth=2
	s_or_b32 exec_lo, exec_lo, s11
	v_lshrrev_b32_e32 v180, 20, v180
	s_delay_alu instid0(VALU_DEP_2) | instskip(SKIP_2) | instid1(VALU_DEP_2)
	v_cmp_gt_i32_e32 vcc_lo, 16, v179
	v_lshrrev_b32_e32 v181, 24, v181
	v_min_i32_e32 v182, 15, v179
	v_dual_cndmask_b32 v180, 7, v180 :: v_dual_and_b32 v181, 0x80, v181
	s_delay_alu instid0(VALU_DEP_1) | instskip(SKIP_1) | instid1(VALU_DEP_2)
	v_or_b32_e32 v179, v179, v180
	v_and_b32_e32 v183, 7, v180
	v_cmp_ne_u32_e32 vcc_lo, 0, v179
	v_lshlrev_b32_e32 v182, 3, v182
	s_delay_alu instid0(VALU_DEP_1) | instskip(NEXT) | instid1(VALU_DEP_1)
	v_and_b32_e32 v182, 0xf8, v182
	v_or3_b32 v180, v182, v181, v183
	s_delay_alu instid0(VALU_DEP_1)
	v_cndmask_b32_e32 v179, 0, v180, vcc_lo
.LBB6_1041:                             ;   in Loop: Header=BB6_143 Depth=2
	s_or_b32 exec_lo, exec_lo, s27
.LBB6_1042:                             ;   in Loop: Header=BB6_143 Depth=2
	s_delay_alu instid0(SALU_CYCLE_1)
	s_or_b32 exec_lo, exec_lo, s26
	v_lshrrev_b32_e32 v181, 24, v35
	v_lshrrev_b32_e32 v180, 24, v29
	s_and_not1_b32 vcc_lo, exec_lo, s25
	s_cbranch_vccnz .LBB6_1052
; %bb.1043:                             ;   in Loop: Header=BB6_143 Depth=2
	s_mov_b32 s11, 0
	s_mov_b32 s27, exec_lo
                                        ; implicit-def: $sgpr26
	v_cmpx_lt_i16_e64 0x7f, v181
	s_xor_b32 s27, exec_lo, s27
	s_cbranch_execnz .LBB6_2493
; %bb.1044:                             ;   in Loop: Header=BB6_143 Depth=2
	s_or_saveexec_b32 s27, s27
	v_mov_b32_e32 v182, s26
	s_xor_b32 exec_lo, exec_lo, s27
	s_cbranch_execnz .LBB6_2496
.LBB6_1045:                             ;   in Loop: Header=BB6_143 Depth=2
	s_or_b32 exec_lo, exec_lo, s27
	s_and_saveexec_b32 s26, s11
	s_cbranch_execz .LBB6_1047
.LBB6_1046:                             ;   in Loop: Header=BB6_143 Depth=2
	v_bfe_u32 v182, v35, 24, 3
	v_bfe_u32 v41, v35, 27, 4
	s_delay_alu instid0(VALU_DEP_2) | instskip(NEXT) | instid1(VALU_DEP_2)
	v_clz_i32_u32_e32 v183, v182
	v_cmp_eq_u32_e32 vcc_lo, 0, v41
	s_delay_alu instid0(VALU_DEP_2) | instskip(NEXT) | instid1(VALU_DEP_1)
	v_min_u32_e32 v183, 32, v183
	v_subrev_nc_u32_e32 v40, 28, v183
	v_sub_nc_u32_e32 v183, 29, v183
	s_delay_alu instid0(VALU_DEP_1) | instskip(NEXT) | instid1(VALU_DEP_1)
	v_dual_cndmask_b32 v183, v41, v183 :: v_dual_lshlrev_b32 v40, v40, v181
	v_and_b32_e32 v40, 7, v40
	s_delay_alu instid0(VALU_DEP_2) | instskip(NEXT) | instid1(VALU_DEP_2)
	v_lshl_add_u32 v183, v183, 23, 0x3b800000
	v_cndmask_b32_e32 v182, v182, v40, vcc_lo
	v_and_b32_e32 v40, 0x80000000, v35
	s_delay_alu instid0(VALU_DEP_2) | instskip(NEXT) | instid1(VALU_DEP_1)
	v_lshlrev_b32_e32 v182, 20, v182
	v_or3_b32 v182, v40, v183, v182
.LBB6_1047:                             ;   in Loop: Header=BB6_143 Depth=2
	s_or_b32 exec_lo, exec_lo, s26
	s_mov_b32 s11, 0
	s_mov_b32 s27, exec_lo
                                        ; implicit-def: $sgpr26
	v_cmpx_lt_i16_e64 0x7f, v180
	s_xor_b32 s27, exec_lo, s27
	s_cbranch_execnz .LBB6_2497
; %bb.1048:                             ;   in Loop: Header=BB6_143 Depth=2
	s_or_saveexec_b32 s27, s27
	v_mov_b32_e32 v183, s26
	s_xor_b32 exec_lo, exec_lo, s27
	s_cbranch_execnz .LBB6_2500
.LBB6_1049:                             ;   in Loop: Header=BB6_143 Depth=2
	s_or_b32 exec_lo, exec_lo, s27
	s_and_saveexec_b32 s26, s11
	s_cbranch_execz .LBB6_1051
.LBB6_1050:                             ;   in Loop: Header=BB6_143 Depth=2
	v_bfe_u32 v183, v29, 24, 3
	v_bfe_u32 v42, v29, 27, 4
	s_delay_alu instid0(VALU_DEP_2) | instskip(NEXT) | instid1(VALU_DEP_2)
	v_clz_i32_u32_e32 v40, v183
	v_cmp_eq_u32_e32 vcc_lo, 0, v42
	s_delay_alu instid0(VALU_DEP_2) | instskip(NEXT) | instid1(VALU_DEP_1)
	v_min_u32_e32 v40, 32, v40
	v_subrev_nc_u32_e32 v41, 28, v40
	v_sub_nc_u32_e32 v40, 29, v40
	s_delay_alu instid0(VALU_DEP_2) | instskip(NEXT) | instid1(VALU_DEP_1)
	v_lshlrev_b32_e32 v41, v41, v180
	v_dual_cndmask_b32 v40, v42, v40 :: v_dual_and_b32 v41, 7, v41
	s_delay_alu instid0(VALU_DEP_1) | instskip(NEXT) | instid1(VALU_DEP_2)
	v_lshl_add_u32 v40, v40, 23, 0x3b800000
	v_cndmask_b32_e32 v183, v183, v41, vcc_lo
	v_and_b32_e32 v41, 0x80000000, v29
	s_delay_alu instid0(VALU_DEP_2) | instskip(NEXT) | instid1(VALU_DEP_1)
	v_lshlrev_b32_e32 v183, 20, v183
	v_or3_b32 v183, v41, v40, v183
.LBB6_1051:                             ;   in Loop: Header=BB6_143 Depth=2
	s_or_b32 exec_lo, exec_lo, s26
	s_delay_alu instid0(VALU_DEP_1) | instskip(SKIP_1) | instid1(VALU_DEP_1)
	v_dual_max_f32 v183, v183, v183 :: v_dual_max_f32 v182, v182, v182
	s_mov_b32 s11, 0
	v_max_f32_e32 v182, v182, v183
	s_branch .LBB6_1053
.LBB6_1052:                             ;   in Loop: Header=BB6_143 Depth=2
	s_mov_b32 s11, -1
                                        ; implicit-def: $vgpr182
.LBB6_1053:                             ;   in Loop: Header=BB6_143 Depth=2
	s_delay_alu instid0(SALU_CYCLE_1)
	s_and_b32 vcc_lo, exec_lo, s11
	s_cbranch_vccz .LBB6_1063
; %bb.1054:                             ;   in Loop: Header=BB6_143 Depth=2
	s_mov_b32 s11, 0
	s_mov_b32 s27, exec_lo
                                        ; implicit-def: $sgpr26
	v_cmpx_lt_i16_e64 0x7f, v181
	s_xor_b32 s27, exec_lo, s27
	s_cbranch_execnz .LBB6_2501
; %bb.1055:                             ;   in Loop: Header=BB6_143 Depth=2
	s_or_saveexec_b32 s27, s27
	v_mov_b32_e32 v182, s26
	s_xor_b32 exec_lo, exec_lo, s27
	s_cbranch_execnz .LBB6_2504
.LBB6_1056:                             ;   in Loop: Header=BB6_143 Depth=2
	s_or_b32 exec_lo, exec_lo, s27
	s_and_saveexec_b32 s26, s11
	s_cbranch_execz .LBB6_1058
.LBB6_1057:                             ;   in Loop: Header=BB6_143 Depth=2
	v_bfe_u32 v182, v35, 24, 3
	s_delay_alu instid0(VALU_DEP_1) | instskip(NEXT) | instid1(VALU_DEP_1)
	v_clz_i32_u32_e32 v183, v182
	v_min_u32_e32 v183, 32, v183
	s_delay_alu instid0(VALU_DEP_1) | instskip(SKIP_1) | instid1(VALU_DEP_2)
	v_subrev_nc_u32_e32 v40, 28, v183
	v_sub_nc_u32_e32 v183, 29, v183
	v_lshlrev_b32_e32 v181, v40, v181
	v_bfe_u32 v40, v35, 27, 4
	v_and_b32_e32 v35, 0x80000000, v35
	s_delay_alu instid0(VALU_DEP_3) | instskip(NEXT) | instid1(VALU_DEP_3)
	v_and_b32_e32 v181, 7, v181
	v_cmp_eq_u32_e32 vcc_lo, 0, v40
	v_cndmask_b32_e32 v183, v40, v183, vcc_lo
	s_delay_alu instid0(VALU_DEP_3) | instskip(NEXT) | instid1(VALU_DEP_2)
	v_cndmask_b32_e32 v181, v182, v181, vcc_lo
	v_lshl_add_u32 v182, v183, 23, 0x3b800000
	s_delay_alu instid0(VALU_DEP_2) | instskip(NEXT) | instid1(VALU_DEP_1)
	v_lshlrev_b32_e32 v181, 20, v181
	v_or3_b32 v182, v35, v182, v181
.LBB6_1058:                             ;   in Loop: Header=BB6_143 Depth=2
	s_or_b32 exec_lo, exec_lo, s26
	s_mov_b32 s11, 0
	s_mov_b32 s27, exec_lo
                                        ; implicit-def: $sgpr26
	v_cmpx_lt_i16_e64 0x7f, v180
	s_xor_b32 s27, exec_lo, s27
	s_cbranch_execnz .LBB6_2505
; %bb.1059:                             ;   in Loop: Header=BB6_143 Depth=2
	s_or_saveexec_b32 s27, s27
	v_mov_b32_e32 v35, s26
	s_xor_b32 exec_lo, exec_lo, s27
	s_cbranch_execnz .LBB6_2508
.LBB6_1060:                             ;   in Loop: Header=BB6_143 Depth=2
	s_or_b32 exec_lo, exec_lo, s27
	s_and_saveexec_b32 s26, s11
	s_cbranch_execz .LBB6_1062
.LBB6_1061:                             ;   in Loop: Header=BB6_143 Depth=2
	v_bfe_u32 v35, v29, 24, 3
	s_delay_alu instid0(VALU_DEP_1) | instskip(NEXT) | instid1(VALU_DEP_1)
	v_clz_i32_u32_e32 v181, v35
	v_min_u32_e32 v181, 32, v181
	s_delay_alu instid0(VALU_DEP_1) | instskip(SKIP_1) | instid1(VALU_DEP_2)
	v_subrev_nc_u32_e32 v183, 28, v181
	v_sub_nc_u32_e32 v181, 29, v181
	v_lshlrev_b32_e32 v180, v183, v180
	v_bfe_u32 v183, v29, 27, 4
	v_and_b32_e32 v29, 0x80000000, v29
	s_delay_alu instid0(VALU_DEP_2) | instskip(NEXT) | instid1(VALU_DEP_4)
	v_cmp_eq_u32_e32 vcc_lo, 0, v183
	v_dual_cndmask_b32 v181, v183, v181 :: v_dual_and_b32 v180, 7, v180
	s_delay_alu instid0(VALU_DEP_1) | instskip(NEXT) | instid1(VALU_DEP_2)
	v_cndmask_b32_e32 v35, v35, v180, vcc_lo
	v_lshl_add_u32 v180, v181, 23, 0x3b800000
	s_delay_alu instid0(VALU_DEP_2) | instskip(NEXT) | instid1(VALU_DEP_1)
	v_lshlrev_b32_e32 v35, 20, v35
	v_or3_b32 v35, v29, v180, v35
.LBB6_1062:                             ;   in Loop: Header=BB6_143 Depth=2
	s_or_b32 exec_lo, exec_lo, s26
	s_delay_alu instid0(VALU_DEP_1) | instskip(SKIP_1) | instid1(VALU_DEP_1)
	v_max_f32_e32 v29, v35, v35
	v_max_f32_e32 v35, v182, v182
	v_min_f32_e32 v182, v35, v29
.LBB6_1063:                             ;   in Loop: Header=BB6_143 Depth=2
	s_delay_alu instid0(VALU_DEP_1) | instskip(NEXT) | instid1(VALU_DEP_1)
	v_and_b32_e32 v29, 0x7f800000, v182
	v_cmp_ne_u32_e32 vcc_lo, 0x7f800000, v29
	v_mov_b32_e32 v29, 0x8000
	s_and_saveexec_b32 s26, vcc_lo
	s_cbranch_execz .LBB6_1071
; %bb.1064:                             ;   in Loop: Header=BB6_143 Depth=2
	v_mov_b32_e32 v29, 0
	s_mov_b32 s27, exec_lo
	v_cmpx_ne_u32_e32 0, v182
	s_cbranch_execz .LBB6_1070
; %bb.1065:                             ;   in Loop: Header=BB6_143 Depth=2
	v_bfe_u32 v29, v182, 23, 8
	s_delay_alu instid0(VALU_DEP_1) | instskip(SKIP_1) | instid1(VALU_DEP_2)
	v_sub_nc_u32_e32 v180, 0x78, v29
	v_cmp_gt_u32_e32 vcc_lo, 0x79, v29
	v_dual_cndmask_b32 v180, 0, v180 :: v_dual_and_b32 v35, 0x7fffff, v182
	s_delay_alu instid0(VALU_DEP_1) | instskip(SKIP_2) | instid1(VALU_DEP_4)
	v_or_b32_e32 v181, 0x800000, v35
	v_cmp_eq_u32_e32 vcc_lo, 0, v29
	v_add_nc_u32_e32 v29, 0xffffff89, v29
	v_cndmask_b32_e64 v180, v180, 0x77, vcc_lo
	s_delay_alu instid0(VALU_DEP_2) | instskip(SKIP_1) | instid1(VALU_DEP_3)
	v_cndmask_b32_e64 v29, v29, 0xffffff8a, vcc_lo
	v_cndmask_b32_e32 v35, v181, v35, vcc_lo
	v_lshl_add_u32 v181, 0x100000, v180, -1
	v_lshlrev_b32_e64 v41, v180, 0x80000
	s_delay_alu instid0(VALU_DEP_3) | instskip(SKIP_1) | instid1(VALU_DEP_4)
	v_lshrrev_b32_e32 v183, v180, v35
	v_add_nc_u32_e32 v180, v180, v29
	v_and_b32_e32 v35, v181, v35
	s_delay_alu instid0(VALU_DEP_3) | instskip(NEXT) | instid1(VALU_DEP_2)
	v_bfe_u32 v40, v183, 20, 1
	v_cmp_eq_u32_e64 s11, v35, v41
	s_delay_alu instid0(VALU_DEP_2) | instskip(NEXT) | instid1(VALU_DEP_1)
	v_add_nc_u32_e32 v181, -1, v40
	v_cndmask_b32_e64 v35, 0, v181, s11
	v_lshrrev_b32_e32 v181, 23, v183
	s_mov_b32 s11, exec_lo
	s_delay_alu instid0(VALU_DEP_2) | instskip(NEXT) | instid1(VALU_DEP_2)
	v_add_nc_u32_e32 v35, v35, v183
	v_xor_b32_e32 v181, 1, v181
	s_delay_alu instid0(VALU_DEP_2) | instskip(NEXT) | instid1(VALU_DEP_1)
	v_and_b32_e32 v29, 0xfffff, v35
	v_add_nc_u32_e32 v35, v29, v183
                                        ; implicit-def: $vgpr29
	s_delay_alu instid0(VALU_DEP_3)
	v_cmpx_ne_u32_e64 v180, v181
	s_xor_b32 s11, exec_lo, s11
; %bb.1066:                             ;   in Loop: Header=BB6_143 Depth=2
	s_delay_alu instid0(VALU_DEP_2) | instskip(SKIP_2) | instid1(VALU_DEP_2)
	v_cmp_lt_u32_e32 vcc_lo, 0xffffff, v35
	v_sub_nc_u32_e32 v29, v180, v181
	v_cndmask_b32_e64 v180, 0, 1, vcc_lo
	v_add_co_ci_u32_e32 v29, vcc_lo, 0, v29, vcc_lo
	s_delay_alu instid0(VALU_DEP_2)
	v_lshrrev_b32_e32 v35, v180, v35
; %bb.1067:                             ;   in Loop: Header=BB6_143 Depth=2
	s_and_not1_saveexec_b32 s11, s11
; %bb.1068:                             ;   in Loop: Header=BB6_143 Depth=2
	s_delay_alu instid0(VALU_DEP_1)
	v_bfe_u32 v29, v35, 23, 1
; %bb.1069:                             ;   in Loop: Header=BB6_143 Depth=2
	s_or_b32 exec_lo, exec_lo, s11
	v_lshrrev_b32_e32 v35, 20, v35
	s_delay_alu instid0(VALU_DEP_2) | instskip(SKIP_2) | instid1(VALU_DEP_2)
	v_cmp_gt_i32_e32 vcc_lo, 16, v29
	v_min_i32_e32 v180, 15, v29
	v_lshrrev_b32_e32 v181, 24, v182
	v_dual_cndmask_b32 v35, 7, v35 :: v_dual_lshlrev_b32 v180, 3, v180
	s_delay_alu instid0(VALU_DEP_2) | instskip(NEXT) | instid1(VALU_DEP_2)
	v_and_b32_e32 v181, 0x80, v181
	v_or_b32_e32 v29, v29, v35
	v_and_b32_e32 v182, 7, v35
	s_delay_alu instid0(VALU_DEP_2) | instskip(SKIP_1) | instid1(VALU_DEP_1)
	v_cmp_ne_u32_e32 vcc_lo, 0, v29
	v_and_b32_e32 v180, 0xf8, v180
	v_or3_b32 v180, v181, v180, v182
	s_delay_alu instid0(VALU_DEP_1) | instskip(NEXT) | instid1(VALU_DEP_1)
	v_lshlrev_b32_e32 v35, 8, v180
	v_cndmask_b32_e32 v29, 0, v35, vcc_lo
.LBB6_1070:                             ;   in Loop: Header=BB6_143 Depth=2
	s_or_b32 exec_lo, exec_lo, s27
.LBB6_1071:                             ;   in Loop: Header=BB6_143 Depth=2
	s_delay_alu instid0(SALU_CYCLE_1) | instskip(NEXT) | instid1(SALU_CYCLE_1)
	s_or_b32 exec_lo, exec_lo, s26
	s_and_not1_b32 vcc_lo, exec_lo, s25
	s_cbranch_vccnz .LBB6_1081
; %bb.1072:                             ;   in Loop: Header=BB6_143 Depth=2
	v_and_b32_e32 v180, 0xff, v22
	s_mov_b32 s11, 0
	s_mov_b32 s27, exec_lo
                                        ; implicit-def: $sgpr26
	s_delay_alu instid0(VALU_DEP_1)
	v_cmpx_lt_i16_e64 0x7f, v180
	s_xor_b32 s27, exec_lo, s27
	s_cbranch_execnz .LBB6_2509
; %bb.1073:                             ;   in Loop: Header=BB6_143 Depth=2
	s_or_saveexec_b32 s27, s27
	v_mov_b32_e32 v35, s26
	s_xor_b32 exec_lo, exec_lo, s27
	s_cbranch_execnz .LBB6_2512
.LBB6_1074:                             ;   in Loop: Header=BB6_143 Depth=2
	s_or_b32 exec_lo, exec_lo, s27
	s_and_saveexec_b32 s26, s11
	s_cbranch_execz .LBB6_1076
.LBB6_1075:                             ;   in Loop: Header=BB6_143 Depth=2
	v_bfe_u32 v182, v22, 3, 4
	v_lshlrev_b32_e32 v183, 24, v22
	s_delay_alu instid0(VALU_DEP_2) | instskip(SKIP_1) | instid1(VALU_DEP_1)
	v_cmp_eq_u32_e32 vcc_lo, 0, v182
	v_and_b32_e32 v35, 7, v22
	v_clz_i32_u32_e32 v180, v35
	s_delay_alu instid0(VALU_DEP_1) | instskip(NEXT) | instid1(VALU_DEP_1)
	v_min_u32_e32 v180, 32, v180
	v_subrev_nc_u32_e32 v181, 28, v180
	v_sub_nc_u32_e32 v180, 29, v180
	s_delay_alu instid0(VALU_DEP_1) | instskip(NEXT) | instid1(VALU_DEP_1)
	v_dual_cndmask_b32 v180, v182, v180 :: v_dual_lshlrev_b32 v181, v181, v22
	v_and_b32_e32 v181, 7, v181
	s_delay_alu instid0(VALU_DEP_2) | instskip(NEXT) | instid1(VALU_DEP_2)
	v_lshl_add_u32 v180, v180, 23, 0x3b800000
	v_cndmask_b32_e32 v35, v35, v181, vcc_lo
	v_and_b32_e32 v181, 0x80000000, v183
	s_delay_alu instid0(VALU_DEP_2) | instskip(NEXT) | instid1(VALU_DEP_1)
	v_lshlrev_b32_e32 v35, 20, v35
	v_or3_b32 v35, v181, v180, v35
.LBB6_1076:                             ;   in Loop: Header=BB6_143 Depth=2
	s_or_b32 exec_lo, exec_lo, s26
	s_waitcnt vmcnt(1)
	v_and_b32_e32 v181, 0xff, v18
	s_mov_b32 s11, 0
	s_mov_b32 s27, exec_lo
                                        ; implicit-def: $sgpr26
	s_delay_alu instid0(VALU_DEP_1)
	v_cmpx_lt_i16_e64 0x7f, v181
	s_xor_b32 s27, exec_lo, s27
	s_cbranch_execnz .LBB6_2513
; %bb.1077:                             ;   in Loop: Header=BB6_143 Depth=2
	s_or_saveexec_b32 s27, s27
	v_mov_b32_e32 v180, s26
	s_xor_b32 exec_lo, exec_lo, s27
	s_cbranch_execnz .LBB6_2516
.LBB6_1078:                             ;   in Loop: Header=BB6_143 Depth=2
	s_or_b32 exec_lo, exec_lo, s27
	s_and_saveexec_b32 s26, s11
	s_cbranch_execz .LBB6_1080
.LBB6_1079:                             ;   in Loop: Header=BB6_143 Depth=2
	v_bfe_u32 v183, v18, 3, 4
	v_lshlrev_b32_e32 v40, 24, v18
	s_delay_alu instid0(VALU_DEP_2) | instskip(SKIP_1) | instid1(VALU_DEP_1)
	v_cmp_eq_u32_e32 vcc_lo, 0, v183
	v_and_b32_e32 v180, 7, v18
	v_clz_i32_u32_e32 v181, v180
	s_delay_alu instid0(VALU_DEP_1) | instskip(NEXT) | instid1(VALU_DEP_1)
	v_min_u32_e32 v181, 32, v181
	v_subrev_nc_u32_e32 v182, 28, v181
	v_sub_nc_u32_e32 v181, 29, v181
	s_delay_alu instid0(VALU_DEP_1) | instskip(NEXT) | instid1(VALU_DEP_1)
	v_dual_cndmask_b32 v181, v183, v181 :: v_dual_lshlrev_b32 v182, v182, v18
	v_and_b32_e32 v182, 7, v182
	s_delay_alu instid0(VALU_DEP_2) | instskip(NEXT) | instid1(VALU_DEP_2)
	v_lshl_add_u32 v181, v181, 23, 0x3b800000
	v_cndmask_b32_e32 v180, v180, v182, vcc_lo
	v_and_b32_e32 v182, 0x80000000, v40
	s_delay_alu instid0(VALU_DEP_2) | instskip(NEXT) | instid1(VALU_DEP_1)
	v_lshlrev_b32_e32 v180, 20, v180
	v_or3_b32 v180, v182, v181, v180
.LBB6_1080:                             ;   in Loop: Header=BB6_143 Depth=2
	s_or_b32 exec_lo, exec_lo, s26
	s_delay_alu instid0(VALU_DEP_1) | instskip(SKIP_1) | instid1(VALU_DEP_1)
	v_dual_max_f32 v180, v180, v180 :: v_dual_max_f32 v35, v35, v35
	s_mov_b32 s11, 0
	v_max_f32_e32 v180, v35, v180
	s_branch .LBB6_1082
.LBB6_1081:                             ;   in Loop: Header=BB6_143 Depth=2
	s_mov_b32 s11, -1
                                        ; implicit-def: $vgpr180
.LBB6_1082:                             ;   in Loop: Header=BB6_143 Depth=2
	s_delay_alu instid0(SALU_CYCLE_1)
	s_and_b32 vcc_lo, exec_lo, s11
	s_cbranch_vccz .LBB6_1092
; %bb.1083:                             ;   in Loop: Header=BB6_143 Depth=2
	v_and_b32_e32 v180, 0xff, v22
	s_mov_b32 s11, 0
	s_mov_b32 s27, exec_lo
                                        ; implicit-def: $sgpr26
	s_delay_alu instid0(VALU_DEP_1)
	v_cmpx_lt_i16_e64 0x7f, v180
	s_xor_b32 s27, exec_lo, s27
	s_cbranch_execnz .LBB6_2517
; %bb.1084:                             ;   in Loop: Header=BB6_143 Depth=2
	s_or_saveexec_b32 s27, s27
	v_mov_b32_e32 v35, s26
	s_xor_b32 exec_lo, exec_lo, s27
	s_cbranch_execnz .LBB6_2520
.LBB6_1085:                             ;   in Loop: Header=BB6_143 Depth=2
	s_or_b32 exec_lo, exec_lo, s27
	s_and_saveexec_b32 s26, s11
	s_cbranch_execz .LBB6_1087
.LBB6_1086:                             ;   in Loop: Header=BB6_143 Depth=2
	v_bfe_u32 v182, v22, 3, 4
	v_lshlrev_b32_e32 v183, 24, v22
	s_delay_alu instid0(VALU_DEP_2) | instskip(SKIP_1) | instid1(VALU_DEP_1)
	v_cmp_eq_u32_e32 vcc_lo, 0, v182
	v_and_b32_e32 v35, 7, v22
	v_clz_i32_u32_e32 v180, v35
	s_delay_alu instid0(VALU_DEP_1) | instskip(NEXT) | instid1(VALU_DEP_1)
	v_min_u32_e32 v180, 32, v180
	v_subrev_nc_u32_e32 v181, 28, v180
	v_sub_nc_u32_e32 v180, 29, v180
	s_delay_alu instid0(VALU_DEP_1) | instskip(NEXT) | instid1(VALU_DEP_1)
	v_dual_cndmask_b32 v180, v182, v180 :: v_dual_lshlrev_b32 v181, v181, v22
	v_and_b32_e32 v181, 7, v181
	s_delay_alu instid0(VALU_DEP_2) | instskip(NEXT) | instid1(VALU_DEP_2)
	v_lshl_add_u32 v180, v180, 23, 0x3b800000
	v_cndmask_b32_e32 v35, v35, v181, vcc_lo
	v_and_b32_e32 v181, 0x80000000, v183
	s_delay_alu instid0(VALU_DEP_2) | instskip(NEXT) | instid1(VALU_DEP_1)
	v_lshlrev_b32_e32 v35, 20, v35
	v_or3_b32 v35, v181, v180, v35
.LBB6_1087:                             ;   in Loop: Header=BB6_143 Depth=2
	s_or_b32 exec_lo, exec_lo, s26
	s_waitcnt vmcnt(1)
	v_and_b32_e32 v181, 0xff, v18
	s_mov_b32 s11, 0
	s_mov_b32 s27, exec_lo
                                        ; implicit-def: $sgpr26
	s_delay_alu instid0(VALU_DEP_1)
	v_cmpx_lt_i16_e64 0x7f, v181
	s_xor_b32 s27, exec_lo, s27
	s_cbranch_execnz .LBB6_2521
; %bb.1088:                             ;   in Loop: Header=BB6_143 Depth=2
	s_or_saveexec_b32 s27, s27
	v_mov_b32_e32 v180, s26
	s_xor_b32 exec_lo, exec_lo, s27
	s_cbranch_execnz .LBB6_2524
.LBB6_1089:                             ;   in Loop: Header=BB6_143 Depth=2
	s_or_b32 exec_lo, exec_lo, s27
	s_and_saveexec_b32 s26, s11
	s_cbranch_execz .LBB6_1091
.LBB6_1090:                             ;   in Loop: Header=BB6_143 Depth=2
	v_bfe_u32 v183, v18, 3, 4
	v_lshlrev_b32_e32 v40, 24, v18
	s_delay_alu instid0(VALU_DEP_2) | instskip(SKIP_1) | instid1(VALU_DEP_1)
	v_cmp_eq_u32_e32 vcc_lo, 0, v183
	v_and_b32_e32 v180, 7, v18
	v_clz_i32_u32_e32 v181, v180
	s_delay_alu instid0(VALU_DEP_1) | instskip(NEXT) | instid1(VALU_DEP_1)
	v_min_u32_e32 v181, 32, v181
	v_subrev_nc_u32_e32 v182, 28, v181
	v_sub_nc_u32_e32 v181, 29, v181
	s_delay_alu instid0(VALU_DEP_1) | instskip(NEXT) | instid1(VALU_DEP_1)
	v_dual_cndmask_b32 v181, v183, v181 :: v_dual_lshlrev_b32 v182, v182, v18
	v_and_b32_e32 v182, 7, v182
	s_delay_alu instid0(VALU_DEP_2) | instskip(NEXT) | instid1(VALU_DEP_2)
	v_lshl_add_u32 v181, v181, 23, 0x3b800000
	v_cndmask_b32_e32 v180, v180, v182, vcc_lo
	v_and_b32_e32 v182, 0x80000000, v40
	s_delay_alu instid0(VALU_DEP_2) | instskip(NEXT) | instid1(VALU_DEP_1)
	v_lshlrev_b32_e32 v180, 20, v180
	v_or3_b32 v180, v182, v181, v180
.LBB6_1091:                             ;   in Loop: Header=BB6_143 Depth=2
	s_or_b32 exec_lo, exec_lo, s26
	s_delay_alu instid0(VALU_DEP_1) | instskip(NEXT) | instid1(VALU_DEP_1)
	v_dual_max_f32 v180, v180, v180 :: v_dual_max_f32 v35, v35, v35
	v_min_f32_e32 v180, v35, v180
.LBB6_1092:                             ;   in Loop: Header=BB6_143 Depth=2
	s_delay_alu instid0(VALU_DEP_1) | instskip(NEXT) | instid1(VALU_DEP_1)
	v_and_b32_e32 v35, 0x7f800000, v180
	v_cmp_ne_u32_e32 vcc_lo, 0x7f800000, v35
	v_mov_b32_e32 v35, 0x80
	s_and_saveexec_b32 s26, vcc_lo
	s_cbranch_execz .LBB6_1100
; %bb.1093:                             ;   in Loop: Header=BB6_143 Depth=2
	v_mov_b32_e32 v35, 0
	s_mov_b32 s27, exec_lo
	v_cmpx_ne_u32_e32 0, v180
	s_cbranch_execz .LBB6_1099
; %bb.1094:                             ;   in Loop: Header=BB6_143 Depth=2
	v_bfe_u32 v35, v180, 23, 8
	s_delay_alu instid0(VALU_DEP_1) | instskip(SKIP_1) | instid1(VALU_DEP_2)
	v_sub_nc_u32_e32 v182, 0x78, v35
	v_cmp_gt_u32_e32 vcc_lo, 0x79, v35
	v_dual_cndmask_b32 v182, 0, v182 :: v_dual_and_b32 v181, 0x7fffff, v180
	s_delay_alu instid0(VALU_DEP_1) | instskip(SKIP_2) | instid1(VALU_DEP_4)
	v_or_b32_e32 v183, 0x800000, v181
	v_cmp_eq_u32_e32 vcc_lo, 0, v35
	v_add_nc_u32_e32 v35, 0xffffff89, v35
	v_cndmask_b32_e64 v182, v182, 0x77, vcc_lo
	s_delay_alu instid0(VALU_DEP_2) | instskip(SKIP_1) | instid1(VALU_DEP_3)
	v_cndmask_b32_e64 v35, v35, 0xffffff8a, vcc_lo
	v_cndmask_b32_e32 v181, v183, v181, vcc_lo
	v_lshl_add_u32 v183, 0x100000, v182, -1
	v_lshlrev_b32_e64 v42, v182, 0x80000
	s_delay_alu instid0(VALU_DEP_3) | instskip(SKIP_1) | instid1(VALU_DEP_4)
	v_lshrrev_b32_e32 v40, v182, v181
	v_add_nc_u32_e32 v182, v182, v35
	v_and_b32_e32 v181, v183, v181
	s_delay_alu instid0(VALU_DEP_3) | instskip(NEXT) | instid1(VALU_DEP_2)
	v_bfe_u32 v41, v40, 20, 1
	v_cmp_eq_u32_e64 s11, v181, v42
	s_delay_alu instid0(VALU_DEP_2) | instskip(NEXT) | instid1(VALU_DEP_1)
	v_add_nc_u32_e32 v183, -1, v41
	v_cndmask_b32_e64 v181, 0, v183, s11
	v_lshrrev_b32_e32 v183, 23, v40
	s_mov_b32 s11, exec_lo
	s_delay_alu instid0(VALU_DEP_2) | instskip(NEXT) | instid1(VALU_DEP_2)
	v_add_nc_u32_e32 v181, v181, v40
	v_xor_b32_e32 v183, 1, v183
	s_delay_alu instid0(VALU_DEP_2) | instskip(NEXT) | instid1(VALU_DEP_1)
	v_and_b32_e32 v35, 0xfffff, v181
	v_add_nc_u32_e32 v181, v35, v40
                                        ; implicit-def: $vgpr35
	s_delay_alu instid0(VALU_DEP_3)
	v_cmpx_ne_u32_e64 v182, v183
	s_xor_b32 s11, exec_lo, s11
; %bb.1095:                             ;   in Loop: Header=BB6_143 Depth=2
	s_delay_alu instid0(VALU_DEP_2) | instskip(SKIP_2) | instid1(VALU_DEP_2)
	v_cmp_lt_u32_e32 vcc_lo, 0xffffff, v181
	v_sub_nc_u32_e32 v35, v182, v183
	v_cndmask_b32_e64 v182, 0, 1, vcc_lo
	v_add_co_ci_u32_e32 v35, vcc_lo, 0, v35, vcc_lo
	s_delay_alu instid0(VALU_DEP_2)
	v_lshrrev_b32_e32 v181, v182, v181
; %bb.1096:                             ;   in Loop: Header=BB6_143 Depth=2
	s_and_not1_saveexec_b32 s11, s11
; %bb.1097:                             ;   in Loop: Header=BB6_143 Depth=2
	s_delay_alu instid0(VALU_DEP_1)
	v_bfe_u32 v35, v181, 23, 1
; %bb.1098:                             ;   in Loop: Header=BB6_143 Depth=2
	s_or_b32 exec_lo, exec_lo, s11
	v_lshrrev_b32_e32 v181, 20, v181
	s_delay_alu instid0(VALU_DEP_2) | instskip(SKIP_2) | instid1(VALU_DEP_2)
	v_cmp_gt_i32_e32 vcc_lo, 16, v35
	v_lshrrev_b32_e32 v180, 24, v180
	v_min_i32_e32 v182, 15, v35
	v_dual_cndmask_b32 v181, 7, v181 :: v_dual_and_b32 v180, 0x80, v180
	s_delay_alu instid0(VALU_DEP_1) | instskip(SKIP_1) | instid1(VALU_DEP_2)
	v_or_b32_e32 v35, v35, v181
	v_and_b32_e32 v183, 7, v181
	v_cmp_ne_u32_e32 vcc_lo, 0, v35
	v_lshlrev_b32_e32 v182, 3, v182
	s_delay_alu instid0(VALU_DEP_1) | instskip(NEXT) | instid1(VALU_DEP_1)
	v_or3_b32 v180, v182, v180, v183
	v_cndmask_b32_e32 v35, 0, v180, vcc_lo
.LBB6_1099:                             ;   in Loop: Header=BB6_143 Depth=2
	s_or_b32 exec_lo, exec_lo, s27
.LBB6_1100:                             ;   in Loop: Header=BB6_143 Depth=2
	s_delay_alu instid0(SALU_CYCLE_1)
	s_or_b32 exec_lo, exec_lo, s26
	v_lshrrev_b16 v181, 8, v22
	s_waitcnt vmcnt(1)
	v_lshrrev_b16 v180, 8, v18
	s_and_not1_b32 vcc_lo, exec_lo, s25
	s_cbranch_vccnz .LBB6_1110
; %bb.1101:                             ;   in Loop: Header=BB6_143 Depth=2
	s_mov_b32 s11, 0
	s_mov_b32 s27, exec_lo
                                        ; implicit-def: $sgpr26
	v_cmpx_lt_i16_e64 0x7f, v181
	s_xor_b32 s27, exec_lo, s27
	s_cbranch_execnz .LBB6_2525
; %bb.1102:                             ;   in Loop: Header=BB6_143 Depth=2
	s_or_saveexec_b32 s27, s27
	v_mov_b32_e32 v182, s26
	s_xor_b32 exec_lo, exec_lo, s27
	s_cbranch_execnz .LBB6_2528
.LBB6_1103:                             ;   in Loop: Header=BB6_143 Depth=2
	s_or_b32 exec_lo, exec_lo, s27
	s_and_saveexec_b32 s26, s11
	s_cbranch_execz .LBB6_1105
.LBB6_1104:                             ;   in Loop: Header=BB6_143 Depth=2
	v_and_b32_e32 v182, 0xffff, v181
	s_delay_alu instid0(VALU_DEP_1) | instskip(NEXT) | instid1(VALU_DEP_1)
	v_and_b32_e32 v183, 7, v182
	v_clz_i32_u32_e32 v40, v183
	s_delay_alu instid0(VALU_DEP_1) | instskip(NEXT) | instid1(VALU_DEP_1)
	v_min_u32_e32 v40, 32, v40
	v_subrev_nc_u32_e32 v41, 28, v40
	v_sub_nc_u32_e32 v40, 29, v40
	s_delay_alu instid0(VALU_DEP_2) | instskip(SKIP_1) | instid1(VALU_DEP_2)
	v_lshlrev_b32_e32 v41, v41, v182
	v_bfe_u32 v182, v182, 3, 4
	v_and_b32_e32 v41, 7, v41
	s_delay_alu instid0(VALU_DEP_2) | instskip(SKIP_1) | instid1(VALU_DEP_3)
	v_cmp_eq_u32_e32 vcc_lo, 0, v182
	v_cndmask_b32_e32 v182, v182, v40, vcc_lo
	v_dual_cndmask_b32 v183, v183, v41 :: v_dual_lshlrev_b32 v42, 16, v22
	s_delay_alu instid0(VALU_DEP_2) | instskip(NEXT) | instid1(VALU_DEP_2)
	v_lshl_add_u32 v182, v182, 23, 0x3b800000
	v_and_b32_e32 v40, 0x80000000, v42
	s_delay_alu instid0(VALU_DEP_3) | instskip(NEXT) | instid1(VALU_DEP_1)
	v_lshlrev_b32_e32 v183, 20, v183
	v_or3_b32 v182, v40, v182, v183
.LBB6_1105:                             ;   in Loop: Header=BB6_143 Depth=2
	s_or_b32 exec_lo, exec_lo, s26
	s_mov_b32 s11, 0
	s_mov_b32 s27, exec_lo
                                        ; implicit-def: $sgpr26
	v_cmpx_lt_i16_e64 0x7f, v180
	s_xor_b32 s27, exec_lo, s27
	s_cbranch_execnz .LBB6_2529
; %bb.1106:                             ;   in Loop: Header=BB6_143 Depth=2
	s_or_saveexec_b32 s27, s27
	v_mov_b32_e32 v183, s26
	s_xor_b32 exec_lo, exec_lo, s27
	s_cbranch_execnz .LBB6_2532
.LBB6_1107:                             ;   in Loop: Header=BB6_143 Depth=2
	s_or_b32 exec_lo, exec_lo, s27
	s_and_saveexec_b32 s26, s11
	s_cbranch_execz .LBB6_1109
.LBB6_1108:                             ;   in Loop: Header=BB6_143 Depth=2
	v_and_b32_e32 v183, 0xffff, v180
	v_lshlrev_b32_e32 v43, 16, v18
	s_delay_alu instid0(VALU_DEP_2) | instskip(NEXT) | instid1(VALU_DEP_1)
	v_and_b32_e32 v40, 7, v183
	v_clz_i32_u32_e32 v41, v40
	s_delay_alu instid0(VALU_DEP_1) | instskip(NEXT) | instid1(VALU_DEP_1)
	v_min_u32_e32 v41, 32, v41
	v_subrev_nc_u32_e32 v42, 28, v41
	v_sub_nc_u32_e32 v41, 29, v41
	s_delay_alu instid0(VALU_DEP_2) | instskip(SKIP_1) | instid1(VALU_DEP_2)
	v_lshlrev_b32_e32 v42, v42, v183
	v_bfe_u32 v183, v183, 3, 4
	v_and_b32_e32 v42, 7, v42
	s_delay_alu instid0(VALU_DEP_2) | instskip(NEXT) | instid1(VALU_DEP_2)
	v_cmp_eq_u32_e32 vcc_lo, 0, v183
	v_dual_cndmask_b32 v183, v183, v41 :: v_dual_cndmask_b32 v40, v40, v42
	v_and_b32_e32 v41, 0x80000000, v43
	s_delay_alu instid0(VALU_DEP_2) | instskip(NEXT) | instid1(VALU_DEP_3)
	v_lshl_add_u32 v183, v183, 23, 0x3b800000
	v_lshlrev_b32_e32 v40, 20, v40
	s_delay_alu instid0(VALU_DEP_1)
	v_or3_b32 v183, v41, v183, v40
.LBB6_1109:                             ;   in Loop: Header=BB6_143 Depth=2
	s_or_b32 exec_lo, exec_lo, s26
	s_delay_alu instid0(VALU_DEP_1) | instskip(SKIP_1) | instid1(VALU_DEP_1)
	v_dual_max_f32 v183, v183, v183 :: v_dual_max_f32 v182, v182, v182
	s_mov_b32 s11, 0
	v_max_f32_e32 v182, v182, v183
	s_branch .LBB6_1111
.LBB6_1110:                             ;   in Loop: Header=BB6_143 Depth=2
	s_mov_b32 s11, -1
                                        ; implicit-def: $vgpr182
.LBB6_1111:                             ;   in Loop: Header=BB6_143 Depth=2
	s_delay_alu instid0(SALU_CYCLE_1)
	s_and_b32 vcc_lo, exec_lo, s11
	s_cbranch_vccz .LBB6_1121
; %bb.1112:                             ;   in Loop: Header=BB6_143 Depth=2
	s_mov_b32 s11, 0
	s_mov_b32 s27, exec_lo
                                        ; implicit-def: $sgpr26
	v_cmpx_lt_i16_e64 0x7f, v181
	s_xor_b32 s27, exec_lo, s27
	s_cbranch_execnz .LBB6_2533
; %bb.1113:                             ;   in Loop: Header=BB6_143 Depth=2
	s_or_saveexec_b32 s27, s27
	v_mov_b32_e32 v182, s26
	s_xor_b32 exec_lo, exec_lo, s27
	s_cbranch_execnz .LBB6_2536
.LBB6_1114:                             ;   in Loop: Header=BB6_143 Depth=2
	s_or_b32 exec_lo, exec_lo, s27
	s_and_saveexec_b32 s26, s11
	s_cbranch_execz .LBB6_1116
.LBB6_1115:                             ;   in Loop: Header=BB6_143 Depth=2
	v_and_b32_e32 v181, 0xffff, v181
	v_lshlrev_b32_e32 v41, 16, v22
	s_delay_alu instid0(VALU_DEP_2) | instskip(NEXT) | instid1(VALU_DEP_1)
	v_and_b32_e32 v182, 7, v181
	v_clz_i32_u32_e32 v183, v182
	s_delay_alu instid0(VALU_DEP_1) | instskip(NEXT) | instid1(VALU_DEP_1)
	v_min_u32_e32 v183, 32, v183
	v_subrev_nc_u32_e32 v40, 28, v183
	v_sub_nc_u32_e32 v183, 29, v183
	s_delay_alu instid0(VALU_DEP_2) | instskip(SKIP_1) | instid1(VALU_DEP_2)
	v_lshlrev_b32_e32 v40, v40, v181
	v_bfe_u32 v181, v181, 3, 4
	v_and_b32_e32 v40, 7, v40
	s_delay_alu instid0(VALU_DEP_2) | instskip(NEXT) | instid1(VALU_DEP_2)
	v_cmp_eq_u32_e32 vcc_lo, 0, v181
	v_dual_cndmask_b32 v181, v181, v183 :: v_dual_cndmask_b32 v182, v182, v40
	v_and_b32_e32 v183, 0x80000000, v41
	s_delay_alu instid0(VALU_DEP_2) | instskip(NEXT) | instid1(VALU_DEP_3)
	v_lshl_add_u32 v181, v181, 23, 0x3b800000
	v_lshlrev_b32_e32 v182, 20, v182
	s_delay_alu instid0(VALU_DEP_1)
	v_or3_b32 v182, v183, v181, v182
.LBB6_1116:                             ;   in Loop: Header=BB6_143 Depth=2
	s_or_b32 exec_lo, exec_lo, s26
	s_mov_b32 s11, 0
	s_mov_b32 s27, exec_lo
                                        ; implicit-def: $sgpr26
	v_cmpx_lt_i16_e64 0x7f, v180
	s_xor_b32 s27, exec_lo, s27
	s_cbranch_execnz .LBB6_2537
; %bb.1117:                             ;   in Loop: Header=BB6_143 Depth=2
	s_or_saveexec_b32 s27, s27
	v_mov_b32_e32 v181, s26
	s_xor_b32 exec_lo, exec_lo, s27
	s_cbranch_execnz .LBB6_2540
.LBB6_1118:                             ;   in Loop: Header=BB6_143 Depth=2
	s_or_b32 exec_lo, exec_lo, s27
	s_and_saveexec_b32 s26, s11
	s_cbranch_execz .LBB6_1120
.LBB6_1119:                             ;   in Loop: Header=BB6_143 Depth=2
	v_and_b32_e32 v180, 0xffff, v180
	v_lshlrev_b32_e32 v41, 16, v18
	s_delay_alu instid0(VALU_DEP_2) | instskip(NEXT) | instid1(VALU_DEP_1)
	v_and_b32_e32 v181, 7, v180
	v_clz_i32_u32_e32 v183, v181
	s_delay_alu instid0(VALU_DEP_1) | instskip(NEXT) | instid1(VALU_DEP_1)
	v_min_u32_e32 v183, 32, v183
	v_subrev_nc_u32_e32 v40, 28, v183
	v_sub_nc_u32_e32 v183, 29, v183
	s_delay_alu instid0(VALU_DEP_2) | instskip(SKIP_1) | instid1(VALU_DEP_2)
	v_lshlrev_b32_e32 v40, v40, v180
	v_bfe_u32 v180, v180, 3, 4
	v_and_b32_e32 v40, 7, v40
	s_delay_alu instid0(VALU_DEP_2) | instskip(NEXT) | instid1(VALU_DEP_2)
	v_cmp_eq_u32_e32 vcc_lo, 0, v180
	v_dual_cndmask_b32 v180, v180, v183 :: v_dual_cndmask_b32 v181, v181, v40
	v_and_b32_e32 v183, 0x80000000, v41
	s_delay_alu instid0(VALU_DEP_2) | instskip(NEXT) | instid1(VALU_DEP_3)
	v_lshl_add_u32 v180, v180, 23, 0x3b800000
	v_lshlrev_b32_e32 v181, 20, v181
	s_delay_alu instid0(VALU_DEP_1)
	v_or3_b32 v181, v183, v180, v181
.LBB6_1120:                             ;   in Loop: Header=BB6_143 Depth=2
	s_or_b32 exec_lo, exec_lo, s26
	s_delay_alu instid0(VALU_DEP_1) | instskip(NEXT) | instid1(VALU_DEP_1)
	v_dual_max_f32 v180, v181, v181 :: v_dual_max_f32 v181, v182, v182
	v_min_f32_e32 v182, v181, v180
.LBB6_1121:                             ;   in Loop: Header=BB6_143 Depth=2
	s_delay_alu instid0(VALU_DEP_1) | instskip(NEXT) | instid1(VALU_DEP_1)
	v_and_b32_e32 v180, 0x7f800000, v182
	v_cmp_ne_u32_e32 vcc_lo, 0x7f800000, v180
	v_mov_b32_e32 v180, 0x80
	s_and_saveexec_b32 s26, vcc_lo
	s_cbranch_execz .LBB6_1129
; %bb.1122:                             ;   in Loop: Header=BB6_143 Depth=2
	v_mov_b32_e32 v180, 0
	s_mov_b32 s27, exec_lo
	v_cmpx_ne_u32_e32 0, v182
	s_cbranch_execz .LBB6_1128
; %bb.1123:                             ;   in Loop: Header=BB6_143 Depth=2
	v_bfe_u32 v180, v182, 23, 8
	v_and_b32_e32 v181, 0x7fffff, v182
	s_delay_alu instid0(VALU_DEP_2) | instskip(SKIP_1) | instid1(VALU_DEP_3)
	v_sub_nc_u32_e32 v183, 0x78, v180
	v_cmp_gt_u32_e32 vcc_lo, 0x79, v180
	v_or_b32_e32 v40, 0x800000, v181
	s_delay_alu instid0(VALU_DEP_3) | instskip(SKIP_2) | instid1(VALU_DEP_3)
	v_cndmask_b32_e32 v183, 0, v183, vcc_lo
	v_cmp_eq_u32_e32 vcc_lo, 0, v180
	v_add_nc_u32_e32 v180, 0xffffff89, v180
	v_cndmask_b32_e64 v183, v183, 0x77, vcc_lo
	v_cndmask_b32_e32 v181, v40, v181, vcc_lo
	s_delay_alu instid0(VALU_DEP_3) | instskip(NEXT) | instid1(VALU_DEP_3)
	v_cndmask_b32_e64 v180, v180, 0xffffff8a, vcc_lo
	v_lshl_add_u32 v40, 0x100000, v183, -1
	s_delay_alu instid0(VALU_DEP_3) | instskip(SKIP_1) | instid1(VALU_DEP_4)
	v_lshrrev_b32_e32 v41, v183, v181
	v_lshlrev_b32_e64 v43, v183, 0x80000
	v_add_nc_u32_e32 v183, v183, v180
	s_delay_alu instid0(VALU_DEP_4) | instskip(NEXT) | instid1(VALU_DEP_4)
	v_and_b32_e32 v181, v40, v181
	v_bfe_u32 v42, v41, 20, 1
	s_delay_alu instid0(VALU_DEP_2) | instskip(NEXT) | instid1(VALU_DEP_2)
	v_cmp_eq_u32_e64 s11, v181, v43
	v_add_nc_u32_e32 v40, -1, v42
	s_delay_alu instid0(VALU_DEP_1) | instskip(SKIP_2) | instid1(VALU_DEP_2)
	v_cndmask_b32_e64 v181, 0, v40, s11
	v_lshrrev_b32_e32 v40, 23, v41
	s_mov_b32 s11, exec_lo
	v_add_nc_u32_e32 v181, v181, v41
	s_delay_alu instid0(VALU_DEP_2) | instskip(NEXT) | instid1(VALU_DEP_2)
	v_xor_b32_e32 v40, 1, v40
	v_and_b32_e32 v180, 0xfffff, v181
	s_delay_alu instid0(VALU_DEP_1) | instskip(NEXT) | instid1(VALU_DEP_3)
	v_add_nc_u32_e32 v181, v180, v41
                                        ; implicit-def: $vgpr180
	v_cmpx_ne_u32_e64 v183, v40
	s_xor_b32 s11, exec_lo, s11
; %bb.1124:                             ;   in Loop: Header=BB6_143 Depth=2
	s_delay_alu instid0(VALU_DEP_2) | instskip(SKIP_2) | instid1(VALU_DEP_2)
	v_cmp_lt_u32_e32 vcc_lo, 0xffffff, v181
	v_sub_nc_u32_e32 v180, v183, v40
	v_cndmask_b32_e64 v183, 0, 1, vcc_lo
	v_add_co_ci_u32_e32 v180, vcc_lo, 0, v180, vcc_lo
	s_delay_alu instid0(VALU_DEP_2)
	v_lshrrev_b32_e32 v181, v183, v181
; %bb.1125:                             ;   in Loop: Header=BB6_143 Depth=2
	s_and_not1_saveexec_b32 s11, s11
; %bb.1126:                             ;   in Loop: Header=BB6_143 Depth=2
	s_delay_alu instid0(VALU_DEP_1)
	v_bfe_u32 v180, v181, 23, 1
; %bb.1127:                             ;   in Loop: Header=BB6_143 Depth=2
	s_or_b32 exec_lo, exec_lo, s11
	v_lshrrev_b32_e32 v181, 20, v181
	s_delay_alu instid0(VALU_DEP_2) | instskip(SKIP_2) | instid1(VALU_DEP_2)
	v_cmp_gt_i32_e32 vcc_lo, 16, v180
	v_lshrrev_b32_e32 v182, 24, v182
	v_min_i32_e32 v183, 15, v180
	v_dual_cndmask_b32 v181, 7, v181 :: v_dual_and_b32 v182, 0x80, v182
	s_delay_alu instid0(VALU_DEP_1) | instskip(SKIP_1) | instid1(VALU_DEP_2)
	v_or_b32_e32 v180, v180, v181
	v_and_b32_e32 v40, 7, v181
	v_cmp_ne_u32_e32 vcc_lo, 0, v180
	v_lshlrev_b32_e32 v183, 3, v183
	s_delay_alu instid0(VALU_DEP_1) | instskip(NEXT) | instid1(VALU_DEP_1)
	v_or3_b32 v181, v183, v182, v40
	v_cndmask_b32_e32 v180, 0, v181, vcc_lo
.LBB6_1128:                             ;   in Loop: Header=BB6_143 Depth=2
	s_or_b32 exec_lo, exec_lo, s27
.LBB6_1129:                             ;   in Loop: Header=BB6_143 Depth=2
	s_delay_alu instid0(SALU_CYCLE_1)
	s_or_b32 exec_lo, exec_lo, s26
	v_lshrrev_b32_e32 v182, 16, v22
	v_lshrrev_b32_e32 v181, 16, v18
	s_and_not1_b32 vcc_lo, exec_lo, s25
	s_cbranch_vccnz .LBB6_1139
; %bb.1130:                             ;   in Loop: Header=BB6_143 Depth=2
	s_delay_alu instid0(VALU_DEP_2) | instskip(SKIP_2) | instid1(VALU_DEP_1)
	v_and_b32_e32 v40, 0xff, v182
	s_mov_b32 s11, 0
	s_mov_b32 s27, exec_lo
                                        ; implicit-def: $sgpr26
	v_cmpx_lt_i16_e32 0x7f, v40
	s_xor_b32 s27, exec_lo, s27
	s_cbranch_execnz .LBB6_2541
; %bb.1131:                             ;   in Loop: Header=BB6_143 Depth=2
	s_or_saveexec_b32 s27, s27
	v_mov_b32_e32 v183, s26
	s_xor_b32 exec_lo, exec_lo, s27
	s_cbranch_execnz .LBB6_2544
.LBB6_1132:                             ;   in Loop: Header=BB6_143 Depth=2
	s_or_b32 exec_lo, exec_lo, s27
	s_and_saveexec_b32 s26, s11
	s_cbranch_execz .LBB6_1134
.LBB6_1133:                             ;   in Loop: Header=BB6_143 Depth=2
	v_bfe_u32 v183, v22, 16, 3
	v_bfe_u32 v42, v22, 19, 4
	v_lshlrev_b32_e32 v43, 24, v182
	s_delay_alu instid0(VALU_DEP_3) | instskip(NEXT) | instid1(VALU_DEP_3)
	v_clz_i32_u32_e32 v40, v183
	v_cmp_eq_u32_e32 vcc_lo, 0, v42
	s_delay_alu instid0(VALU_DEP_2) | instskip(NEXT) | instid1(VALU_DEP_1)
	v_min_u32_e32 v40, 32, v40
	v_subrev_nc_u32_e32 v41, 28, v40
	v_sub_nc_u32_e32 v40, 29, v40
	s_delay_alu instid0(VALU_DEP_1) | instskip(NEXT) | instid1(VALU_DEP_1)
	v_dual_cndmask_b32 v40, v42, v40 :: v_dual_lshlrev_b32 v41, v41, v182
	v_and_b32_e32 v41, 7, v41
	s_delay_alu instid0(VALU_DEP_2) | instskip(NEXT) | instid1(VALU_DEP_2)
	v_lshl_add_u32 v40, v40, 23, 0x3b800000
	v_cndmask_b32_e32 v183, v183, v41, vcc_lo
	v_and_b32_e32 v41, 0x80000000, v43
	s_delay_alu instid0(VALU_DEP_2) | instskip(NEXT) | instid1(VALU_DEP_1)
	v_lshlrev_b32_e32 v183, 20, v183
	v_or3_b32 v183, v41, v40, v183
.LBB6_1134:                             ;   in Loop: Header=BB6_143 Depth=2
	s_or_b32 exec_lo, exec_lo, s26
	v_and_b32_e32 v41, 0xff, v181
	s_mov_b32 s11, 0
	s_mov_b32 s27, exec_lo
                                        ; implicit-def: $sgpr26
	s_delay_alu instid0(VALU_DEP_1)
	v_cmpx_lt_i16_e32 0x7f, v41
	s_xor_b32 s27, exec_lo, s27
	s_cbranch_execnz .LBB6_2545
; %bb.1135:                             ;   in Loop: Header=BB6_143 Depth=2
	s_or_saveexec_b32 s27, s27
	v_mov_b32_e32 v40, s26
	s_xor_b32 exec_lo, exec_lo, s27
	s_cbranch_execnz .LBB6_2548
.LBB6_1136:                             ;   in Loop: Header=BB6_143 Depth=2
	s_or_b32 exec_lo, exec_lo, s27
	s_and_saveexec_b32 s26, s11
	s_cbranch_execz .LBB6_1138
.LBB6_1137:                             ;   in Loop: Header=BB6_143 Depth=2
	v_bfe_u32 v40, v18, 16, 3
	v_bfe_u32 v43, v18, 19, 4
	v_lshlrev_b32_e32 v44, 24, v181
	s_delay_alu instid0(VALU_DEP_3) | instskip(NEXT) | instid1(VALU_DEP_3)
	v_clz_i32_u32_e32 v41, v40
	v_cmp_eq_u32_e32 vcc_lo, 0, v43
	s_delay_alu instid0(VALU_DEP_2) | instskip(NEXT) | instid1(VALU_DEP_1)
	v_min_u32_e32 v41, 32, v41
	v_subrev_nc_u32_e32 v42, 28, v41
	v_sub_nc_u32_e32 v41, 29, v41
	s_delay_alu instid0(VALU_DEP_2) | instskip(NEXT) | instid1(VALU_DEP_1)
	v_lshlrev_b32_e32 v42, v42, v181
	v_dual_cndmask_b32 v41, v43, v41 :: v_dual_and_b32 v42, 7, v42
	s_delay_alu instid0(VALU_DEP_1) | instskip(NEXT) | instid1(VALU_DEP_2)
	v_lshl_add_u32 v41, v41, 23, 0x3b800000
	v_cndmask_b32_e32 v40, v40, v42, vcc_lo
	v_and_b32_e32 v42, 0x80000000, v44
	s_delay_alu instid0(VALU_DEP_2) | instskip(NEXT) | instid1(VALU_DEP_1)
	v_lshlrev_b32_e32 v40, 20, v40
	v_or3_b32 v40, v42, v41, v40
.LBB6_1138:                             ;   in Loop: Header=BB6_143 Depth=2
	s_or_b32 exec_lo, exec_lo, s26
	s_delay_alu instid0(VALU_DEP_1) | instskip(SKIP_1) | instid1(VALU_DEP_1)
	v_dual_max_f32 v40, v40, v40 :: v_dual_max_f32 v183, v183, v183
	s_mov_b32 s11, 0
	v_max_f32_e32 v183, v183, v40
	s_branch .LBB6_1140
.LBB6_1139:                             ;   in Loop: Header=BB6_143 Depth=2
	s_mov_b32 s11, -1
                                        ; implicit-def: $vgpr183
.LBB6_1140:                             ;   in Loop: Header=BB6_143 Depth=2
	s_delay_alu instid0(SALU_CYCLE_1)
	s_and_b32 vcc_lo, exec_lo, s11
	s_cbranch_vccz .LBB6_1150
; %bb.1141:                             ;   in Loop: Header=BB6_143 Depth=2
	v_and_b32_e32 v40, 0xff, v182
	s_mov_b32 s11, 0
	s_mov_b32 s27, exec_lo
                                        ; implicit-def: $sgpr26
	s_delay_alu instid0(VALU_DEP_1)
	v_cmpx_lt_i16_e32 0x7f, v40
	s_xor_b32 s27, exec_lo, s27
	s_cbranch_execnz .LBB6_2549
; %bb.1142:                             ;   in Loop: Header=BB6_143 Depth=2
	s_or_saveexec_b32 s27, s27
	v_mov_b32_e32 v183, s26
	s_xor_b32 exec_lo, exec_lo, s27
	s_cbranch_execnz .LBB6_2552
.LBB6_1143:                             ;   in Loop: Header=BB6_143 Depth=2
	s_or_b32 exec_lo, exec_lo, s27
	s_and_saveexec_b32 s26, s11
	s_cbranch_execz .LBB6_1145
.LBB6_1144:                             ;   in Loop: Header=BB6_143 Depth=2
	v_bfe_u32 v183, v22, 16, 3
	v_bfe_u32 v42, v22, 19, 4
	s_delay_alu instid0(VALU_DEP_2) | instskip(NEXT) | instid1(VALU_DEP_2)
	v_clz_i32_u32_e32 v40, v183
	v_cmp_eq_u32_e32 vcc_lo, 0, v42
	s_delay_alu instid0(VALU_DEP_2) | instskip(NEXT) | instid1(VALU_DEP_1)
	v_min_u32_e32 v40, 32, v40
	v_subrev_nc_u32_e32 v41, 28, v40
	v_sub_nc_u32_e32 v40, 29, v40
	s_delay_alu instid0(VALU_DEP_1) | instskip(NEXT) | instid1(VALU_DEP_1)
	v_dual_cndmask_b32 v40, v42, v40 :: v_dual_lshlrev_b32 v41, v41, v182
	v_and_b32_e32 v41, 7, v41
	v_lshlrev_b32_e32 v182, 24, v182
	s_delay_alu instid0(VALU_DEP_3) | instskip(NEXT) | instid1(VALU_DEP_2)
	v_lshl_add_u32 v40, v40, 23, 0x3b800000
	v_dual_cndmask_b32 v183, v183, v41 :: v_dual_and_b32 v182, 0x80000000, v182
	s_delay_alu instid0(VALU_DEP_1) | instskip(NEXT) | instid1(VALU_DEP_1)
	v_lshlrev_b32_e32 v183, 20, v183
	v_or3_b32 v183, v182, v40, v183
.LBB6_1145:                             ;   in Loop: Header=BB6_143 Depth=2
	s_or_b32 exec_lo, exec_lo, s26
	v_and_b32_e32 v40, 0xff, v181
	s_mov_b32 s11, 0
	s_mov_b32 s27, exec_lo
                                        ; implicit-def: $sgpr26
	s_delay_alu instid0(VALU_DEP_1)
	v_cmpx_lt_i16_e32 0x7f, v40
	s_xor_b32 s27, exec_lo, s27
	s_cbranch_execnz .LBB6_2553
; %bb.1146:                             ;   in Loop: Header=BB6_143 Depth=2
	s_or_saveexec_b32 s27, s27
	v_mov_b32_e32 v182, s26
	s_xor_b32 exec_lo, exec_lo, s27
	s_cbranch_execnz .LBB6_2556
.LBB6_1147:                             ;   in Loop: Header=BB6_143 Depth=2
	s_or_b32 exec_lo, exec_lo, s27
	s_and_saveexec_b32 s26, s11
	s_cbranch_execz .LBB6_1149
.LBB6_1148:                             ;   in Loop: Header=BB6_143 Depth=2
	v_bfe_u32 v182, v18, 16, 3
	v_bfe_u32 v42, v18, 19, 4
	s_delay_alu instid0(VALU_DEP_2) | instskip(NEXT) | instid1(VALU_DEP_2)
	v_clz_i32_u32_e32 v40, v182
	v_cmp_eq_u32_e32 vcc_lo, 0, v42
	s_delay_alu instid0(VALU_DEP_2) | instskip(NEXT) | instid1(VALU_DEP_1)
	v_min_u32_e32 v40, 32, v40
	v_subrev_nc_u32_e32 v41, 28, v40
	v_sub_nc_u32_e32 v40, 29, v40
	s_delay_alu instid0(VALU_DEP_1) | instskip(SKIP_1) | instid1(VALU_DEP_2)
	v_dual_cndmask_b32 v40, v42, v40 :: v_dual_lshlrev_b32 v41, v41, v181
	v_lshlrev_b32_e32 v181, 24, v181
	v_and_b32_e32 v41, 7, v41
	s_delay_alu instid0(VALU_DEP_3) | instskip(NEXT) | instid1(VALU_DEP_3)
	v_lshl_add_u32 v40, v40, 23, 0x3b800000
	v_and_b32_e32 v181, 0x80000000, v181
	s_delay_alu instid0(VALU_DEP_3) | instskip(NEXT) | instid1(VALU_DEP_1)
	v_cndmask_b32_e32 v182, v182, v41, vcc_lo
	v_lshlrev_b32_e32 v182, 20, v182
	s_delay_alu instid0(VALU_DEP_1)
	v_or3_b32 v182, v181, v40, v182
.LBB6_1149:                             ;   in Loop: Header=BB6_143 Depth=2
	s_or_b32 exec_lo, exec_lo, s26
	s_delay_alu instid0(VALU_DEP_1) | instskip(NEXT) | instid1(VALU_DEP_1)
	v_dual_max_f32 v181, v182, v182 :: v_dual_max_f32 v182, v183, v183
	v_min_f32_e32 v183, v182, v181
.LBB6_1150:                             ;   in Loop: Header=BB6_143 Depth=2
	s_delay_alu instid0(VALU_DEP_1) | instskip(NEXT) | instid1(VALU_DEP_1)
	v_and_b32_e32 v181, 0x7f800000, v183
	v_cmp_ne_u32_e32 vcc_lo, 0x7f800000, v181
	v_mov_b32_e32 v181, 0x80
	s_and_saveexec_b32 s26, vcc_lo
	s_cbranch_execz .LBB6_1158
; %bb.1151:                             ;   in Loop: Header=BB6_143 Depth=2
	v_mov_b32_e32 v181, 0
	s_mov_b32 s27, exec_lo
	v_cmpx_ne_u32_e32 0, v183
	s_cbranch_execz .LBB6_1157
; %bb.1152:                             ;   in Loop: Header=BB6_143 Depth=2
	v_bfe_u32 v181, v183, 23, 8
	v_and_b32_e32 v182, 0x7fffff, v183
	s_delay_alu instid0(VALU_DEP_2) | instskip(SKIP_1) | instid1(VALU_DEP_3)
	v_sub_nc_u32_e32 v40, 0x78, v181
	v_cmp_gt_u32_e32 vcc_lo, 0x79, v181
	v_or_b32_e32 v41, 0x800000, v182
	s_delay_alu instid0(VALU_DEP_3) | instskip(SKIP_2) | instid1(VALU_DEP_3)
	v_cndmask_b32_e32 v40, 0, v40, vcc_lo
	v_cmp_eq_u32_e32 vcc_lo, 0, v181
	v_add_nc_u32_e32 v181, 0xffffff89, v181
	v_cndmask_b32_e64 v40, v40, 0x77, vcc_lo
	v_cndmask_b32_e32 v182, v41, v182, vcc_lo
	s_delay_alu instid0(VALU_DEP_3) | instskip(NEXT) | instid1(VALU_DEP_3)
	v_cndmask_b32_e64 v181, v181, 0xffffff8a, vcc_lo
	v_lshl_add_u32 v41, 0x100000, v40, -1
	s_delay_alu instid0(VALU_DEP_3) | instskip(SKIP_1) | instid1(VALU_DEP_4)
	v_lshrrev_b32_e32 v42, v40, v182
	v_lshlrev_b32_e64 v44, v40, 0x80000
	v_add_nc_u32_e32 v40, v40, v181
	s_delay_alu instid0(VALU_DEP_4) | instskip(NEXT) | instid1(VALU_DEP_4)
	v_and_b32_e32 v182, v41, v182
	v_bfe_u32 v43, v42, 20, 1
	s_delay_alu instid0(VALU_DEP_2) | instskip(NEXT) | instid1(VALU_DEP_2)
	v_cmp_eq_u32_e64 s11, v182, v44
	v_add_nc_u32_e32 v41, -1, v43
	s_delay_alu instid0(VALU_DEP_1) | instskip(SKIP_2) | instid1(VALU_DEP_2)
	v_cndmask_b32_e64 v182, 0, v41, s11
	v_lshrrev_b32_e32 v41, 23, v42
	s_mov_b32 s11, exec_lo
	v_add_nc_u32_e32 v182, v182, v42
	s_delay_alu instid0(VALU_DEP_2) | instskip(NEXT) | instid1(VALU_DEP_2)
	v_xor_b32_e32 v41, 1, v41
	v_and_b32_e32 v181, 0xfffff, v182
	s_delay_alu instid0(VALU_DEP_1) | instskip(NEXT) | instid1(VALU_DEP_3)
	v_add_nc_u32_e32 v182, v181, v42
                                        ; implicit-def: $vgpr181
	v_cmpx_ne_u32_e64 v40, v41
	s_xor_b32 s11, exec_lo, s11
; %bb.1153:                             ;   in Loop: Header=BB6_143 Depth=2
	s_delay_alu instid0(VALU_DEP_2) | instskip(SKIP_2) | instid1(VALU_DEP_2)
	v_cmp_lt_u32_e32 vcc_lo, 0xffffff, v182
	v_sub_nc_u32_e32 v181, v40, v41
	v_cndmask_b32_e64 v40, 0, 1, vcc_lo
	v_add_co_ci_u32_e32 v181, vcc_lo, 0, v181, vcc_lo
	s_delay_alu instid0(VALU_DEP_2)
	v_lshrrev_b32_e32 v182, v40, v182
; %bb.1154:                             ;   in Loop: Header=BB6_143 Depth=2
	s_and_not1_saveexec_b32 s11, s11
; %bb.1155:                             ;   in Loop: Header=BB6_143 Depth=2
	s_delay_alu instid0(VALU_DEP_1)
	v_bfe_u32 v181, v182, 23, 1
; %bb.1156:                             ;   in Loop: Header=BB6_143 Depth=2
	s_or_b32 exec_lo, exec_lo, s11
	v_lshrrev_b32_e32 v182, 20, v182
	s_delay_alu instid0(VALU_DEP_2) | instskip(SKIP_2) | instid1(VALU_DEP_2)
	v_cmp_gt_i32_e32 vcc_lo, 16, v181
	v_lshrrev_b32_e32 v183, 24, v183
	v_min_i32_e32 v40, 15, v181
	v_dual_cndmask_b32 v182, 7, v182 :: v_dual_and_b32 v183, 0x80, v183
	s_delay_alu instid0(VALU_DEP_1) | instskip(SKIP_1) | instid1(VALU_DEP_2)
	v_or_b32_e32 v181, v181, v182
	v_and_b32_e32 v41, 7, v182
	v_cmp_ne_u32_e32 vcc_lo, 0, v181
	v_lshlrev_b32_e32 v40, 3, v40
	s_delay_alu instid0(VALU_DEP_1) | instskip(NEXT) | instid1(VALU_DEP_1)
	v_or3_b32 v182, v40, v183, v41
	v_cndmask_b32_e32 v181, 0, v182, vcc_lo
.LBB6_1157:                             ;   in Loop: Header=BB6_143 Depth=2
	s_or_b32 exec_lo, exec_lo, s27
.LBB6_1158:                             ;   in Loop: Header=BB6_143 Depth=2
	s_delay_alu instid0(SALU_CYCLE_1)
	s_or_b32 exec_lo, exec_lo, s26
	v_lshrrev_b32_e32 v183, 24, v22
	v_lshrrev_b32_e32 v182, 24, v18
	s_and_not1_b32 vcc_lo, exec_lo, s25
	s_cbranch_vccnz .LBB6_1168
; %bb.1159:                             ;   in Loop: Header=BB6_143 Depth=2
	s_mov_b32 s11, 0
	s_mov_b32 s27, exec_lo
                                        ; implicit-def: $sgpr26
	v_cmpx_lt_i16_e64 0x7f, v183
	s_xor_b32 s27, exec_lo, s27
	s_cbranch_execnz .LBB6_2557
; %bb.1160:                             ;   in Loop: Header=BB6_143 Depth=2
	s_or_saveexec_b32 s27, s27
	v_mov_b32_e32 v40, s26
	s_xor_b32 exec_lo, exec_lo, s27
	s_cbranch_execnz .LBB6_2560
.LBB6_1161:                             ;   in Loop: Header=BB6_143 Depth=2
	s_or_b32 exec_lo, exec_lo, s27
	s_and_saveexec_b32 s26, s11
	s_cbranch_execz .LBB6_1163
.LBB6_1162:                             ;   in Loop: Header=BB6_143 Depth=2
	v_bfe_u32 v40, v22, 24, 3
	v_bfe_u32 v43, v22, 27, 4
	s_delay_alu instid0(VALU_DEP_2) | instskip(NEXT) | instid1(VALU_DEP_2)
	v_clz_i32_u32_e32 v41, v40
	v_cmp_eq_u32_e32 vcc_lo, 0, v43
	s_delay_alu instid0(VALU_DEP_2) | instskip(NEXT) | instid1(VALU_DEP_1)
	v_min_u32_e32 v41, 32, v41
	v_subrev_nc_u32_e32 v42, 28, v41
	v_sub_nc_u32_e32 v41, 29, v41
	s_delay_alu instid0(VALU_DEP_1) | instskip(NEXT) | instid1(VALU_DEP_1)
	v_dual_cndmask_b32 v41, v43, v41 :: v_dual_lshlrev_b32 v42, v42, v183
	v_and_b32_e32 v42, 7, v42
	s_delay_alu instid0(VALU_DEP_2) | instskip(NEXT) | instid1(VALU_DEP_2)
	v_lshl_add_u32 v41, v41, 23, 0x3b800000
	v_cndmask_b32_e32 v40, v40, v42, vcc_lo
	v_and_b32_e32 v42, 0x80000000, v22
	s_delay_alu instid0(VALU_DEP_2) | instskip(NEXT) | instid1(VALU_DEP_1)
	v_lshlrev_b32_e32 v40, 20, v40
	v_or3_b32 v40, v42, v41, v40
.LBB6_1163:                             ;   in Loop: Header=BB6_143 Depth=2
	s_or_b32 exec_lo, exec_lo, s26
	s_mov_b32 s11, 0
	s_mov_b32 s27, exec_lo
                                        ; implicit-def: $sgpr26
	v_cmpx_lt_i16_e64 0x7f, v182
	s_xor_b32 s27, exec_lo, s27
	s_cbranch_execnz .LBB6_2561
; %bb.1164:                             ;   in Loop: Header=BB6_143 Depth=2
	s_or_saveexec_b32 s27, s27
	v_mov_b32_e32 v41, s26
	s_xor_b32 exec_lo, exec_lo, s27
	s_cbranch_execnz .LBB6_2564
.LBB6_1165:                             ;   in Loop: Header=BB6_143 Depth=2
	s_or_b32 exec_lo, exec_lo, s27
	s_and_saveexec_b32 s26, s11
	s_cbranch_execz .LBB6_1167
.LBB6_1166:                             ;   in Loop: Header=BB6_143 Depth=2
	v_bfe_u32 v41, v18, 24, 3
	v_bfe_u32 v44, v18, 27, 4
	s_delay_alu instid0(VALU_DEP_2) | instskip(NEXT) | instid1(VALU_DEP_2)
	v_clz_i32_u32_e32 v42, v41
	v_cmp_eq_u32_e32 vcc_lo, 0, v44
	s_delay_alu instid0(VALU_DEP_2) | instskip(NEXT) | instid1(VALU_DEP_1)
	v_min_u32_e32 v42, 32, v42
	v_subrev_nc_u32_e32 v43, 28, v42
	v_sub_nc_u32_e32 v42, 29, v42
	s_delay_alu instid0(VALU_DEP_2) | instskip(NEXT) | instid1(VALU_DEP_1)
	v_lshlrev_b32_e32 v43, v43, v182
	v_dual_cndmask_b32 v42, v44, v42 :: v_dual_and_b32 v43, 7, v43
	s_delay_alu instid0(VALU_DEP_1) | instskip(NEXT) | instid1(VALU_DEP_2)
	v_lshl_add_u32 v42, v42, 23, 0x3b800000
	v_cndmask_b32_e32 v41, v41, v43, vcc_lo
	v_and_b32_e32 v43, 0x80000000, v18
	s_delay_alu instid0(VALU_DEP_2) | instskip(NEXT) | instid1(VALU_DEP_1)
	v_lshlrev_b32_e32 v41, 20, v41
	v_or3_b32 v41, v43, v42, v41
.LBB6_1167:                             ;   in Loop: Header=BB6_143 Depth=2
	s_or_b32 exec_lo, exec_lo, s26
	s_delay_alu instid0(VALU_DEP_1) | instskip(SKIP_1) | instid1(VALU_DEP_1)
	v_dual_max_f32 v41, v41, v41 :: v_dual_max_f32 v40, v40, v40
	s_mov_b32 s11, 0
	v_max_f32_e32 v40, v40, v41
	s_branch .LBB6_1169
.LBB6_1168:                             ;   in Loop: Header=BB6_143 Depth=2
	s_mov_b32 s11, -1
                                        ; implicit-def: $vgpr40
.LBB6_1169:                             ;   in Loop: Header=BB6_143 Depth=2
	s_delay_alu instid0(SALU_CYCLE_1)
	s_and_b32 vcc_lo, exec_lo, s11
	s_cbranch_vccz .LBB6_1179
; %bb.1170:                             ;   in Loop: Header=BB6_143 Depth=2
	s_mov_b32 s11, 0
	s_mov_b32 s27, exec_lo
                                        ; implicit-def: $sgpr26
	v_cmpx_lt_i16_e64 0x7f, v183
	s_xor_b32 s27, exec_lo, s27
	s_cbranch_execnz .LBB6_2565
; %bb.1171:                             ;   in Loop: Header=BB6_143 Depth=2
	s_or_saveexec_b32 s27, s27
	v_mov_b32_e32 v40, s26
	s_xor_b32 exec_lo, exec_lo, s27
	s_cbranch_execnz .LBB6_2568
.LBB6_1172:                             ;   in Loop: Header=BB6_143 Depth=2
	s_or_b32 exec_lo, exec_lo, s27
	s_and_saveexec_b32 s26, s11
	s_cbranch_execz .LBB6_1174
.LBB6_1173:                             ;   in Loop: Header=BB6_143 Depth=2
	v_bfe_u32 v40, v22, 24, 3
	s_delay_alu instid0(VALU_DEP_1) | instskip(NEXT) | instid1(VALU_DEP_1)
	v_clz_i32_u32_e32 v41, v40
	v_min_u32_e32 v41, 32, v41
	s_delay_alu instid0(VALU_DEP_1) | instskip(SKIP_1) | instid1(VALU_DEP_2)
	v_subrev_nc_u32_e32 v42, 28, v41
	v_sub_nc_u32_e32 v41, 29, v41
	v_lshlrev_b32_e32 v183, v42, v183
	v_bfe_u32 v42, v22, 27, 4
	v_and_b32_e32 v22, 0x80000000, v22
	s_delay_alu instid0(VALU_DEP_3) | instskip(NEXT) | instid1(VALU_DEP_3)
	v_and_b32_e32 v183, 7, v183
	v_cmp_eq_u32_e32 vcc_lo, 0, v42
	v_cndmask_b32_e32 v41, v42, v41, vcc_lo
	s_delay_alu instid0(VALU_DEP_3) | instskip(NEXT) | instid1(VALU_DEP_2)
	v_cndmask_b32_e32 v183, v40, v183, vcc_lo
	v_lshl_add_u32 v40, v41, 23, 0x3b800000
	s_delay_alu instid0(VALU_DEP_2) | instskip(NEXT) | instid1(VALU_DEP_1)
	v_lshlrev_b32_e32 v183, 20, v183
	v_or3_b32 v40, v22, v40, v183
.LBB6_1174:                             ;   in Loop: Header=BB6_143 Depth=2
	s_or_b32 exec_lo, exec_lo, s26
	s_mov_b32 s11, 0
	s_mov_b32 s27, exec_lo
                                        ; implicit-def: $sgpr26
	v_cmpx_lt_i16_e64 0x7f, v182
	s_xor_b32 s27, exec_lo, s27
	s_cbranch_execnz .LBB6_2569
; %bb.1175:                             ;   in Loop: Header=BB6_143 Depth=2
	s_or_saveexec_b32 s27, s27
	v_mov_b32_e32 v22, s26
	s_xor_b32 exec_lo, exec_lo, s27
	s_cbranch_execnz .LBB6_2572
.LBB6_1176:                             ;   in Loop: Header=BB6_143 Depth=2
	s_or_b32 exec_lo, exec_lo, s27
	s_and_saveexec_b32 s26, s11
	s_cbranch_execz .LBB6_1178
.LBB6_1177:                             ;   in Loop: Header=BB6_143 Depth=2
	v_bfe_u32 v22, v18, 24, 3
	s_delay_alu instid0(VALU_DEP_1) | instskip(NEXT) | instid1(VALU_DEP_1)
	v_clz_i32_u32_e32 v183, v22
	v_min_u32_e32 v183, 32, v183
	s_delay_alu instid0(VALU_DEP_1) | instskip(SKIP_1) | instid1(VALU_DEP_2)
	v_subrev_nc_u32_e32 v41, 28, v183
	v_sub_nc_u32_e32 v183, 29, v183
	v_lshlrev_b32_e32 v182, v41, v182
	v_bfe_u32 v41, v18, 27, 4
	v_and_b32_e32 v18, 0x80000000, v18
	s_delay_alu instid0(VALU_DEP_2) | instskip(NEXT) | instid1(VALU_DEP_4)
	v_cmp_eq_u32_e32 vcc_lo, 0, v41
	v_dual_cndmask_b32 v183, v41, v183 :: v_dual_and_b32 v182, 7, v182
	s_delay_alu instid0(VALU_DEP_1) | instskip(NEXT) | instid1(VALU_DEP_2)
	v_cndmask_b32_e32 v22, v22, v182, vcc_lo
	v_lshl_add_u32 v182, v183, 23, 0x3b800000
	s_delay_alu instid0(VALU_DEP_2) | instskip(NEXT) | instid1(VALU_DEP_1)
	v_lshlrev_b32_e32 v22, 20, v22
	v_or3_b32 v22, v18, v182, v22
.LBB6_1178:                             ;   in Loop: Header=BB6_143 Depth=2
	s_or_b32 exec_lo, exec_lo, s26
	s_delay_alu instid0(VALU_DEP_1) | instskip(SKIP_1) | instid1(VALU_DEP_1)
	v_max_f32_e32 v18, v22, v22
	v_max_f32_e32 v22, v40, v40
	v_min_f32_e32 v40, v22, v18
.LBB6_1179:                             ;   in Loop: Header=BB6_143 Depth=2
	s_delay_alu instid0(VALU_DEP_1) | instskip(NEXT) | instid1(VALU_DEP_1)
	v_and_b32_e32 v18, 0x7f800000, v40
	v_cmp_ne_u32_e32 vcc_lo, 0x7f800000, v18
	v_mov_b32_e32 v18, 0x80
	s_and_saveexec_b32 s26, vcc_lo
	s_cbranch_execz .LBB6_1187
; %bb.1180:                             ;   in Loop: Header=BB6_143 Depth=2
	v_mov_b32_e32 v18, 0
	s_mov_b32 s27, exec_lo
	v_cmpx_ne_u32_e32 0, v40
	s_cbranch_execz .LBB6_1186
; %bb.1181:                             ;   in Loop: Header=BB6_143 Depth=2
	v_bfe_u32 v18, v40, 23, 8
	v_and_b32_e32 v22, 0x7fffff, v40
	s_delay_alu instid0(VALU_DEP_2) | instskip(SKIP_1) | instid1(VALU_DEP_3)
	v_sub_nc_u32_e32 v182, 0x78, v18
	v_cmp_gt_u32_e32 vcc_lo, 0x79, v18
	v_or_b32_e32 v183, 0x800000, v22
	s_delay_alu instid0(VALU_DEP_3) | instskip(SKIP_2) | instid1(VALU_DEP_3)
	v_cndmask_b32_e32 v182, 0, v182, vcc_lo
	v_cmp_eq_u32_e32 vcc_lo, 0, v18
	v_add_nc_u32_e32 v18, 0xffffff89, v18
	v_cndmask_b32_e64 v182, v182, 0x77, vcc_lo
	v_cndmask_b32_e32 v22, v183, v22, vcc_lo
	s_delay_alu instid0(VALU_DEP_3) | instskip(NEXT) | instid1(VALU_DEP_3)
	v_cndmask_b32_e64 v18, v18, 0xffffff8a, vcc_lo
	v_lshl_add_u32 v183, 0x100000, v182, -1
	s_delay_alu instid0(VALU_DEP_3) | instskip(SKIP_1) | instid1(VALU_DEP_4)
	v_lshrrev_b32_e32 v41, v182, v22
	v_lshlrev_b32_e64 v43, v182, 0x80000
	v_add_nc_u32_e32 v182, v182, v18
	s_delay_alu instid0(VALU_DEP_4) | instskip(NEXT) | instid1(VALU_DEP_4)
	v_and_b32_e32 v22, v183, v22
	v_bfe_u32 v42, v41, 20, 1
	s_delay_alu instid0(VALU_DEP_2) | instskip(NEXT) | instid1(VALU_DEP_2)
	v_cmp_eq_u32_e64 s11, v22, v43
	v_add_nc_u32_e32 v183, -1, v42
	s_delay_alu instid0(VALU_DEP_1) | instskip(SKIP_2) | instid1(VALU_DEP_2)
	v_cndmask_b32_e64 v22, 0, v183, s11
	v_lshrrev_b32_e32 v183, 23, v41
	s_mov_b32 s11, exec_lo
	v_add_nc_u32_e32 v22, v22, v41
	s_delay_alu instid0(VALU_DEP_2) | instskip(NEXT) | instid1(VALU_DEP_2)
	v_xor_b32_e32 v183, 1, v183
	v_and_b32_e32 v18, 0xfffff, v22
	s_delay_alu instid0(VALU_DEP_1) | instskip(NEXT) | instid1(VALU_DEP_3)
	v_add_nc_u32_e32 v22, v18, v41
                                        ; implicit-def: $vgpr18
	v_cmpx_ne_u32_e64 v182, v183
	s_xor_b32 s11, exec_lo, s11
; %bb.1182:                             ;   in Loop: Header=BB6_143 Depth=2
	s_delay_alu instid0(VALU_DEP_2) | instskip(SKIP_2) | instid1(VALU_DEP_2)
	v_cmp_lt_u32_e32 vcc_lo, 0xffffff, v22
	v_sub_nc_u32_e32 v18, v182, v183
	v_cndmask_b32_e64 v182, 0, 1, vcc_lo
	v_add_co_ci_u32_e32 v18, vcc_lo, 0, v18, vcc_lo
	s_delay_alu instid0(VALU_DEP_2)
	v_lshrrev_b32_e32 v22, v182, v22
; %bb.1183:                             ;   in Loop: Header=BB6_143 Depth=2
	s_and_not1_saveexec_b32 s11, s11
; %bb.1184:                             ;   in Loop: Header=BB6_143 Depth=2
	s_delay_alu instid0(VALU_DEP_1)
	v_bfe_u32 v18, v22, 23, 1
; %bb.1185:                             ;   in Loop: Header=BB6_143 Depth=2
	s_or_b32 exec_lo, exec_lo, s11
	v_lshrrev_b32_e32 v22, 20, v22
	s_delay_alu instid0(VALU_DEP_2) | instskip(SKIP_2) | instid1(VALU_DEP_4)
	v_cmp_gt_i32_e32 vcc_lo, 16, v18
	v_lshrrev_b32_e32 v182, 24, v40
	v_min_i32_e32 v183, 15, v18
	v_cndmask_b32_e32 v22, 7, v22, vcc_lo
	s_delay_alu instid0(VALU_DEP_3) | instskip(NEXT) | instid1(VALU_DEP_3)
	v_and_b32_e32 v182, 0x80, v182
	v_lshlrev_b32_e32 v183, 3, v183
	s_delay_alu instid0(VALU_DEP_3) | instskip(SKIP_1) | instid1(VALU_DEP_2)
	v_and_b32_e32 v40, 7, v22
	v_or_b32_e32 v18, v18, v22
	v_or3_b32 v22, v183, v182, v40
	s_delay_alu instid0(VALU_DEP_2) | instskip(NEXT) | instid1(VALU_DEP_2)
	v_cmp_ne_u32_e32 vcc_lo, 0, v18
	v_cndmask_b32_e32 v18, 0, v22, vcc_lo
.LBB6_1186:                             ;   in Loop: Header=BB6_143 Depth=2
	s_or_b32 exec_lo, exec_lo, s27
.LBB6_1187:                             ;   in Loop: Header=BB6_143 Depth=2
	s_delay_alu instid0(SALU_CYCLE_1) | instskip(NEXT) | instid1(SALU_CYCLE_1)
	s_or_b32 exec_lo, exec_lo, s26
	s_and_not1_b32 vcc_lo, exec_lo, s25
	s_cbranch_vccnz .LBB6_1197
; %bb.1188:                             ;   in Loop: Header=BB6_143 Depth=2
	v_and_b32_e32 v182, 0xff, v23
	s_mov_b32 s11, 0
	s_mov_b32 s27, exec_lo
                                        ; implicit-def: $sgpr26
	s_delay_alu instid0(VALU_DEP_1)
	v_cmpx_lt_i16_e64 0x7f, v182
	s_xor_b32 s27, exec_lo, s27
	s_cbranch_execnz .LBB6_2573
; %bb.1189:                             ;   in Loop: Header=BB6_143 Depth=2
	s_or_saveexec_b32 s27, s27
	v_mov_b32_e32 v22, s26
	s_xor_b32 exec_lo, exec_lo, s27
	s_cbranch_execnz .LBB6_2576
.LBB6_1190:                             ;   in Loop: Header=BB6_143 Depth=2
	s_or_b32 exec_lo, exec_lo, s27
	s_and_saveexec_b32 s26, s11
	s_cbranch_execz .LBB6_1192
.LBB6_1191:                             ;   in Loop: Header=BB6_143 Depth=2
	v_and_b32_e32 v22, 7, v23
	v_bfe_u32 v40, v23, 3, 4
	v_lshlrev_b32_e32 v41, 24, v23
	s_delay_alu instid0(VALU_DEP_3) | instskip(NEXT) | instid1(VALU_DEP_3)
	v_clz_i32_u32_e32 v182, v22
	v_cmp_eq_u32_e32 vcc_lo, 0, v40
	s_delay_alu instid0(VALU_DEP_2) | instskip(NEXT) | instid1(VALU_DEP_1)
	v_min_u32_e32 v182, 32, v182
	v_subrev_nc_u32_e32 v183, 28, v182
	v_sub_nc_u32_e32 v182, 29, v182
	s_delay_alu instid0(VALU_DEP_1) | instskip(NEXT) | instid1(VALU_DEP_1)
	v_dual_cndmask_b32 v182, v40, v182 :: v_dual_lshlrev_b32 v183, v183, v23
	v_and_b32_e32 v183, 7, v183
	s_delay_alu instid0(VALU_DEP_2) | instskip(NEXT) | instid1(VALU_DEP_2)
	v_lshl_add_u32 v182, v182, 23, 0x3b800000
	v_dual_cndmask_b32 v22, v22, v183 :: v_dual_and_b32 v183, 0x80000000, v41
	s_delay_alu instid0(VALU_DEP_1) | instskip(NEXT) | instid1(VALU_DEP_1)
	v_lshlrev_b32_e32 v22, 20, v22
	v_or3_b32 v22, v183, v182, v22
.LBB6_1192:                             ;   in Loop: Header=BB6_143 Depth=2
	s_or_b32 exec_lo, exec_lo, s26
	v_and_b32_e32 v183, 0xff, v19
	s_mov_b32 s11, 0
	s_mov_b32 s27, exec_lo
                                        ; implicit-def: $sgpr26
	s_delay_alu instid0(VALU_DEP_1)
	v_cmpx_lt_i16_e64 0x7f, v183
	s_xor_b32 s27, exec_lo, s27
	s_cbranch_execnz .LBB6_2577
; %bb.1193:                             ;   in Loop: Header=BB6_143 Depth=2
	s_or_saveexec_b32 s27, s27
	v_mov_b32_e32 v182, s26
	s_xor_b32 exec_lo, exec_lo, s27
	s_cbranch_execnz .LBB6_2580
.LBB6_1194:                             ;   in Loop: Header=BB6_143 Depth=2
	s_or_b32 exec_lo, exec_lo, s27
	s_and_saveexec_b32 s26, s11
	s_cbranch_execz .LBB6_1196
.LBB6_1195:                             ;   in Loop: Header=BB6_143 Depth=2
	v_and_b32_e32 v182, 7, v19
	v_bfe_u32 v41, v19, 3, 4
	v_lshlrev_b32_e32 v42, 24, v19
	s_delay_alu instid0(VALU_DEP_3) | instskip(NEXT) | instid1(VALU_DEP_3)
	v_clz_i32_u32_e32 v183, v182
	v_cmp_eq_u32_e32 vcc_lo, 0, v41
	s_delay_alu instid0(VALU_DEP_2) | instskip(NEXT) | instid1(VALU_DEP_1)
	v_min_u32_e32 v183, 32, v183
	v_subrev_nc_u32_e32 v40, 28, v183
	v_sub_nc_u32_e32 v183, 29, v183
	s_delay_alu instid0(VALU_DEP_2) | instskip(NEXT) | instid1(VALU_DEP_1)
	v_lshlrev_b32_e32 v40, v40, v19
	v_dual_cndmask_b32 v183, v41, v183 :: v_dual_and_b32 v40, 7, v40
	s_delay_alu instid0(VALU_DEP_1) | instskip(NEXT) | instid1(VALU_DEP_2)
	v_lshl_add_u32 v183, v183, 23, 0x3b800000
	v_cndmask_b32_e32 v182, v182, v40, vcc_lo
	v_and_b32_e32 v40, 0x80000000, v42
	s_delay_alu instid0(VALU_DEP_2) | instskip(NEXT) | instid1(VALU_DEP_1)
	v_lshlrev_b32_e32 v182, 20, v182
	v_or3_b32 v182, v40, v183, v182
.LBB6_1196:                             ;   in Loop: Header=BB6_143 Depth=2
	s_or_b32 exec_lo, exec_lo, s26
	s_delay_alu instid0(VALU_DEP_1) | instskip(SKIP_2) | instid1(VALU_DEP_1)
	v_max_f32_e32 v182, v182, v182
	v_max_f32_e32 v22, v22, v22
	s_mov_b32 s11, 0
	v_max_f32_e32 v182, v22, v182
	s_branch .LBB6_1198
.LBB6_1197:                             ;   in Loop: Header=BB6_143 Depth=2
	s_mov_b32 s11, -1
                                        ; implicit-def: $vgpr182
.LBB6_1198:                             ;   in Loop: Header=BB6_143 Depth=2
	s_delay_alu instid0(SALU_CYCLE_1)
	s_and_b32 vcc_lo, exec_lo, s11
	s_cbranch_vccz .LBB6_1208
; %bb.1199:                             ;   in Loop: Header=BB6_143 Depth=2
	v_and_b32_e32 v182, 0xff, v23
	s_mov_b32 s11, 0
	s_mov_b32 s27, exec_lo
                                        ; implicit-def: $sgpr26
	s_delay_alu instid0(VALU_DEP_1)
	v_cmpx_lt_i16_e64 0x7f, v182
	s_xor_b32 s27, exec_lo, s27
	s_cbranch_execnz .LBB6_2581
; %bb.1200:                             ;   in Loop: Header=BB6_143 Depth=2
	s_or_saveexec_b32 s27, s27
	v_mov_b32_e32 v22, s26
	s_xor_b32 exec_lo, exec_lo, s27
	s_cbranch_execnz .LBB6_2584
.LBB6_1201:                             ;   in Loop: Header=BB6_143 Depth=2
	s_or_b32 exec_lo, exec_lo, s27
	s_and_saveexec_b32 s26, s11
	s_cbranch_execz .LBB6_1203
.LBB6_1202:                             ;   in Loop: Header=BB6_143 Depth=2
	v_and_b32_e32 v22, 7, v23
	v_bfe_u32 v40, v23, 3, 4
	v_lshlrev_b32_e32 v41, 24, v23
	s_delay_alu instid0(VALU_DEP_3) | instskip(NEXT) | instid1(VALU_DEP_3)
	v_clz_i32_u32_e32 v182, v22
	v_cmp_eq_u32_e32 vcc_lo, 0, v40
	s_delay_alu instid0(VALU_DEP_2) | instskip(NEXT) | instid1(VALU_DEP_1)
	v_min_u32_e32 v182, 32, v182
	v_subrev_nc_u32_e32 v183, 28, v182
	v_sub_nc_u32_e32 v182, 29, v182
	s_delay_alu instid0(VALU_DEP_1) | instskip(NEXT) | instid1(VALU_DEP_1)
	v_dual_cndmask_b32 v182, v40, v182 :: v_dual_lshlrev_b32 v183, v183, v23
	v_and_b32_e32 v183, 7, v183
	s_delay_alu instid0(VALU_DEP_2) | instskip(NEXT) | instid1(VALU_DEP_2)
	v_lshl_add_u32 v182, v182, 23, 0x3b800000
	v_dual_cndmask_b32 v22, v22, v183 :: v_dual_and_b32 v183, 0x80000000, v41
	s_delay_alu instid0(VALU_DEP_1) | instskip(NEXT) | instid1(VALU_DEP_1)
	v_lshlrev_b32_e32 v22, 20, v22
	v_or3_b32 v22, v183, v182, v22
.LBB6_1203:                             ;   in Loop: Header=BB6_143 Depth=2
	s_or_b32 exec_lo, exec_lo, s26
	v_and_b32_e32 v183, 0xff, v19
	s_mov_b32 s11, 0
	s_mov_b32 s27, exec_lo
                                        ; implicit-def: $sgpr26
	s_delay_alu instid0(VALU_DEP_1)
	v_cmpx_lt_i16_e64 0x7f, v183
	s_xor_b32 s27, exec_lo, s27
	s_cbranch_execnz .LBB6_2585
; %bb.1204:                             ;   in Loop: Header=BB6_143 Depth=2
	s_or_saveexec_b32 s27, s27
	v_mov_b32_e32 v182, s26
	s_xor_b32 exec_lo, exec_lo, s27
	s_cbranch_execnz .LBB6_2588
.LBB6_1205:                             ;   in Loop: Header=BB6_143 Depth=2
	s_or_b32 exec_lo, exec_lo, s27
	s_and_saveexec_b32 s26, s11
	s_cbranch_execz .LBB6_1207
.LBB6_1206:                             ;   in Loop: Header=BB6_143 Depth=2
	v_and_b32_e32 v182, 7, v19
	v_bfe_u32 v41, v19, 3, 4
	v_lshlrev_b32_e32 v42, 24, v19
	s_delay_alu instid0(VALU_DEP_3) | instskip(NEXT) | instid1(VALU_DEP_3)
	v_clz_i32_u32_e32 v183, v182
	v_cmp_eq_u32_e32 vcc_lo, 0, v41
	s_delay_alu instid0(VALU_DEP_2) | instskip(NEXT) | instid1(VALU_DEP_1)
	v_min_u32_e32 v183, 32, v183
	v_subrev_nc_u32_e32 v40, 28, v183
	v_sub_nc_u32_e32 v183, 29, v183
	s_delay_alu instid0(VALU_DEP_2) | instskip(NEXT) | instid1(VALU_DEP_1)
	v_lshlrev_b32_e32 v40, v40, v19
	v_dual_cndmask_b32 v183, v41, v183 :: v_dual_and_b32 v40, 7, v40
	s_delay_alu instid0(VALU_DEP_1) | instskip(NEXT) | instid1(VALU_DEP_2)
	v_lshl_add_u32 v183, v183, 23, 0x3b800000
	v_cndmask_b32_e32 v182, v182, v40, vcc_lo
	v_and_b32_e32 v40, 0x80000000, v42
	s_delay_alu instid0(VALU_DEP_2) | instskip(NEXT) | instid1(VALU_DEP_1)
	v_lshlrev_b32_e32 v182, 20, v182
	v_or3_b32 v182, v40, v183, v182
.LBB6_1207:                             ;   in Loop: Header=BB6_143 Depth=2
	s_or_b32 exec_lo, exec_lo, s26
	s_delay_alu instid0(VALU_DEP_1) | instskip(SKIP_1) | instid1(VALU_DEP_1)
	v_max_f32_e32 v182, v182, v182
	v_max_f32_e32 v22, v22, v22
	v_min_f32_e32 v182, v22, v182
.LBB6_1208:                             ;   in Loop: Header=BB6_143 Depth=2
	s_delay_alu instid0(VALU_DEP_1) | instskip(NEXT) | instid1(VALU_DEP_1)
	v_and_b32_e32 v22, 0x7f800000, v182
	v_cmp_ne_u32_e32 vcc_lo, 0x7f800000, v22
	v_mov_b32_e32 v22, 0x80
	s_and_saveexec_b32 s26, vcc_lo
	s_cbranch_execz .LBB6_1216
; %bb.1209:                             ;   in Loop: Header=BB6_143 Depth=2
	v_mov_b32_e32 v22, 0
	s_mov_b32 s27, exec_lo
	v_cmpx_ne_u32_e32 0, v182
	s_cbranch_execz .LBB6_1215
; %bb.1210:                             ;   in Loop: Header=BB6_143 Depth=2
	v_bfe_u32 v22, v182, 23, 8
	s_delay_alu instid0(VALU_DEP_1) | instskip(SKIP_1) | instid1(VALU_DEP_2)
	v_sub_nc_u32_e32 v40, 0x78, v22
	v_cmp_gt_u32_e32 vcc_lo, 0x79, v22
	v_dual_cndmask_b32 v40, 0, v40 :: v_dual_and_b32 v183, 0x7fffff, v182
	s_delay_alu instid0(VALU_DEP_1) | instskip(SKIP_2) | instid1(VALU_DEP_4)
	v_or_b32_e32 v41, 0x800000, v183
	v_cmp_eq_u32_e32 vcc_lo, 0, v22
	v_add_nc_u32_e32 v22, 0xffffff89, v22
	v_cndmask_b32_e64 v40, v40, 0x77, vcc_lo
	s_delay_alu instid0(VALU_DEP_4) | instskip(NEXT) | instid1(VALU_DEP_3)
	v_cndmask_b32_e32 v183, v41, v183, vcc_lo
	v_cndmask_b32_e64 v22, v22, 0xffffff8a, vcc_lo
	s_delay_alu instid0(VALU_DEP_3) | instskip(NEXT) | instid1(VALU_DEP_3)
	v_lshl_add_u32 v41, 0x100000, v40, -1
	v_lshrrev_b32_e32 v42, v40, v183
	v_lshlrev_b32_e64 v44, v40, 0x80000
	s_delay_alu instid0(VALU_DEP_4) | instskip(NEXT) | instid1(VALU_DEP_4)
	v_add_nc_u32_e32 v40, v40, v22
	v_and_b32_e32 v183, v41, v183
	s_delay_alu instid0(VALU_DEP_4) | instskip(NEXT) | instid1(VALU_DEP_2)
	v_bfe_u32 v43, v42, 20, 1
	v_cmp_eq_u32_e64 s11, v183, v44
	s_delay_alu instid0(VALU_DEP_2) | instskip(NEXT) | instid1(VALU_DEP_1)
	v_add_nc_u32_e32 v41, -1, v43
	v_cndmask_b32_e64 v183, 0, v41, s11
	v_lshrrev_b32_e32 v41, 23, v42
	s_mov_b32 s11, exec_lo
	s_delay_alu instid0(VALU_DEP_2) | instskip(NEXT) | instid1(VALU_DEP_2)
	v_add_nc_u32_e32 v183, v183, v42
	v_xor_b32_e32 v41, 1, v41
	s_delay_alu instid0(VALU_DEP_2) | instskip(NEXT) | instid1(VALU_DEP_1)
	v_and_b32_e32 v22, 0xfffff, v183
	v_add_nc_u32_e32 v183, v22, v42
                                        ; implicit-def: $vgpr22
	s_delay_alu instid0(VALU_DEP_3)
	v_cmpx_ne_u32_e64 v40, v41
	s_xor_b32 s11, exec_lo, s11
; %bb.1211:                             ;   in Loop: Header=BB6_143 Depth=2
	s_delay_alu instid0(VALU_DEP_2) | instskip(SKIP_2) | instid1(VALU_DEP_2)
	v_cmp_lt_u32_e32 vcc_lo, 0xffffff, v183
	v_sub_nc_u32_e32 v22, v40, v41
	v_cndmask_b32_e64 v40, 0, 1, vcc_lo
	v_add_co_ci_u32_e32 v22, vcc_lo, 0, v22, vcc_lo
	s_delay_alu instid0(VALU_DEP_2)
	v_lshrrev_b32_e32 v183, v40, v183
; %bb.1212:                             ;   in Loop: Header=BB6_143 Depth=2
	s_and_not1_saveexec_b32 s11, s11
; %bb.1213:                             ;   in Loop: Header=BB6_143 Depth=2
	s_delay_alu instid0(VALU_DEP_1)
	v_bfe_u32 v22, v183, 23, 1
; %bb.1214:                             ;   in Loop: Header=BB6_143 Depth=2
	s_or_b32 exec_lo, exec_lo, s11
	v_lshrrev_b32_e32 v183, 20, v183
	s_delay_alu instid0(VALU_DEP_2) | instskip(SKIP_2) | instid1(VALU_DEP_2)
	v_cmp_gt_i32_e32 vcc_lo, 16, v22
	v_lshrrev_b32_e32 v182, 24, v182
	v_min_i32_e32 v40, 15, v22
	v_dual_cndmask_b32 v183, 7, v183 :: v_dual_and_b32 v182, 0x80, v182
	s_delay_alu instid0(VALU_DEP_2) | instskip(NEXT) | instid1(VALU_DEP_2)
	v_lshlrev_b32_e32 v40, 3, v40
	v_or_b32_e32 v22, v22, v183
	s_delay_alu instid0(VALU_DEP_1) | instskip(SKIP_1) | instid1(VALU_DEP_1)
	v_cmp_ne_u32_e32 vcc_lo, 0, v22
	v_and_b32_e32 v41, 7, v183
	v_or3_b32 v182, v40, v182, v41
	s_delay_alu instid0(VALU_DEP_1)
	v_cndmask_b32_e32 v22, 0, v182, vcc_lo
.LBB6_1215:                             ;   in Loop: Header=BB6_143 Depth=2
	s_or_b32 exec_lo, exec_lo, s27
.LBB6_1216:                             ;   in Loop: Header=BB6_143 Depth=2
	s_delay_alu instid0(SALU_CYCLE_1)
	s_or_b32 exec_lo, exec_lo, s26
	v_lshrrev_b16 v183, 8, v23
	v_lshrrev_b16 v182, 8, v19
	s_and_not1_b32 vcc_lo, exec_lo, s25
	s_cbranch_vccnz .LBB6_1226
; %bb.1217:                             ;   in Loop: Header=BB6_143 Depth=2
	s_mov_b32 s11, 0
	s_mov_b32 s27, exec_lo
                                        ; implicit-def: $sgpr26
	v_cmpx_lt_i16_e64 0x7f, v183
	s_xor_b32 s27, exec_lo, s27
	s_cbranch_execnz .LBB6_2589
; %bb.1218:                             ;   in Loop: Header=BB6_143 Depth=2
	s_or_saveexec_b32 s27, s27
	v_mov_b32_e32 v40, s26
	s_xor_b32 exec_lo, exec_lo, s27
	s_cbranch_execnz .LBB6_2592
.LBB6_1219:                             ;   in Loop: Header=BB6_143 Depth=2
	s_or_b32 exec_lo, exec_lo, s27
	s_and_saveexec_b32 s26, s11
	s_cbranch_execz .LBB6_1221
.LBB6_1220:                             ;   in Loop: Header=BB6_143 Depth=2
	v_and_b32_e32 v40, 0xffff, v183
	v_lshlrev_b32_e32 v44, 16, v23
	s_delay_alu instid0(VALU_DEP_2) | instskip(NEXT) | instid1(VALU_DEP_1)
	v_and_b32_e32 v41, 7, v40
	v_clz_i32_u32_e32 v42, v41
	s_delay_alu instid0(VALU_DEP_1) | instskip(NEXT) | instid1(VALU_DEP_1)
	v_min_u32_e32 v42, 32, v42
	v_subrev_nc_u32_e32 v43, 28, v42
	v_sub_nc_u32_e32 v42, 29, v42
	s_delay_alu instid0(VALU_DEP_2) | instskip(SKIP_1) | instid1(VALU_DEP_2)
	v_lshlrev_b32_e32 v43, v43, v40
	v_bfe_u32 v40, v40, 3, 4
	v_and_b32_e32 v43, 7, v43
	s_delay_alu instid0(VALU_DEP_2) | instskip(NEXT) | instid1(VALU_DEP_2)
	v_cmp_eq_u32_e32 vcc_lo, 0, v40
	v_dual_cndmask_b32 v40, v40, v42 :: v_dual_cndmask_b32 v41, v41, v43
	v_and_b32_e32 v42, 0x80000000, v44
	s_delay_alu instid0(VALU_DEP_2) | instskip(NEXT) | instid1(VALU_DEP_3)
	v_lshl_add_u32 v40, v40, 23, 0x3b800000
	v_lshlrev_b32_e32 v41, 20, v41
	s_delay_alu instid0(VALU_DEP_1)
	v_or3_b32 v40, v42, v40, v41
.LBB6_1221:                             ;   in Loop: Header=BB6_143 Depth=2
	s_or_b32 exec_lo, exec_lo, s26
	s_mov_b32 s11, 0
	s_mov_b32 s27, exec_lo
                                        ; implicit-def: $sgpr26
	v_cmpx_lt_i16_e64 0x7f, v182
	s_xor_b32 s27, exec_lo, s27
	s_cbranch_execnz .LBB6_2593
; %bb.1222:                             ;   in Loop: Header=BB6_143 Depth=2
	s_or_saveexec_b32 s27, s27
	v_mov_b32_e32 v41, s26
	s_xor_b32 exec_lo, exec_lo, s27
	s_cbranch_execnz .LBB6_2596
.LBB6_1223:                             ;   in Loop: Header=BB6_143 Depth=2
	s_or_b32 exec_lo, exec_lo, s27
	s_and_saveexec_b32 s26, s11
	s_cbranch_execz .LBB6_1225
.LBB6_1224:                             ;   in Loop: Header=BB6_143 Depth=2
	v_and_b32_e32 v41, 0xffff, v182
	v_lshlrev_b32_e32 v45, 16, v19
	s_delay_alu instid0(VALU_DEP_2) | instskip(NEXT) | instid1(VALU_DEP_1)
	v_and_b32_e32 v42, 7, v41
	v_clz_i32_u32_e32 v43, v42
	s_delay_alu instid0(VALU_DEP_1) | instskip(NEXT) | instid1(VALU_DEP_1)
	v_min_u32_e32 v43, 32, v43
	v_subrev_nc_u32_e32 v44, 28, v43
	v_sub_nc_u32_e32 v43, 29, v43
	s_delay_alu instid0(VALU_DEP_2) | instskip(SKIP_1) | instid1(VALU_DEP_2)
	v_lshlrev_b32_e32 v44, v44, v41
	v_bfe_u32 v41, v41, 3, 4
	v_and_b32_e32 v44, 7, v44
	s_delay_alu instid0(VALU_DEP_2) | instskip(NEXT) | instid1(VALU_DEP_2)
	v_cmp_eq_u32_e32 vcc_lo, 0, v41
	v_dual_cndmask_b32 v41, v41, v43 :: v_dual_cndmask_b32 v42, v42, v44
	v_and_b32_e32 v43, 0x80000000, v45
	s_delay_alu instid0(VALU_DEP_2) | instskip(NEXT) | instid1(VALU_DEP_3)
	v_lshl_add_u32 v41, v41, 23, 0x3b800000
	v_lshlrev_b32_e32 v42, 20, v42
	s_delay_alu instid0(VALU_DEP_1)
	v_or3_b32 v41, v43, v41, v42
.LBB6_1225:                             ;   in Loop: Header=BB6_143 Depth=2
	s_or_b32 exec_lo, exec_lo, s26
	s_delay_alu instid0(VALU_DEP_1) | instskip(SKIP_1) | instid1(VALU_DEP_1)
	v_dual_max_f32 v41, v41, v41 :: v_dual_max_f32 v40, v40, v40
	s_mov_b32 s11, 0
	v_max_f32_e32 v40, v40, v41
	s_branch .LBB6_1227
.LBB6_1226:                             ;   in Loop: Header=BB6_143 Depth=2
	s_mov_b32 s11, -1
                                        ; implicit-def: $vgpr40
.LBB6_1227:                             ;   in Loop: Header=BB6_143 Depth=2
	s_delay_alu instid0(SALU_CYCLE_1)
	s_and_b32 vcc_lo, exec_lo, s11
	s_cbranch_vccz .LBB6_1237
; %bb.1228:                             ;   in Loop: Header=BB6_143 Depth=2
	s_mov_b32 s11, 0
	s_mov_b32 s27, exec_lo
                                        ; implicit-def: $sgpr26
	v_cmpx_lt_i16_e64 0x7f, v183
	s_xor_b32 s27, exec_lo, s27
	s_cbranch_execnz .LBB6_2597
; %bb.1229:                             ;   in Loop: Header=BB6_143 Depth=2
	s_or_saveexec_b32 s27, s27
	v_mov_b32_e32 v40, s26
	s_xor_b32 exec_lo, exec_lo, s27
	s_cbranch_execnz .LBB6_2600
.LBB6_1230:                             ;   in Loop: Header=BB6_143 Depth=2
	s_or_b32 exec_lo, exec_lo, s27
	s_and_saveexec_b32 s26, s11
	s_cbranch_execz .LBB6_1232
.LBB6_1231:                             ;   in Loop: Header=BB6_143 Depth=2
	v_and_b32_e32 v183, 0xffff, v183
	v_lshlrev_b32_e32 v43, 16, v23
	s_delay_alu instid0(VALU_DEP_2) | instskip(NEXT) | instid1(VALU_DEP_1)
	v_and_b32_e32 v40, 7, v183
	v_clz_i32_u32_e32 v41, v40
	s_delay_alu instid0(VALU_DEP_1) | instskip(NEXT) | instid1(VALU_DEP_1)
	v_min_u32_e32 v41, 32, v41
	v_subrev_nc_u32_e32 v42, 28, v41
	v_sub_nc_u32_e32 v41, 29, v41
	s_delay_alu instid0(VALU_DEP_2) | instskip(SKIP_1) | instid1(VALU_DEP_2)
	v_lshlrev_b32_e32 v42, v42, v183
	v_bfe_u32 v183, v183, 3, 4
	v_and_b32_e32 v42, 7, v42
	s_delay_alu instid0(VALU_DEP_2) | instskip(NEXT) | instid1(VALU_DEP_2)
	v_cmp_eq_u32_e32 vcc_lo, 0, v183
	v_dual_cndmask_b32 v183, v183, v41 :: v_dual_cndmask_b32 v40, v40, v42
	v_and_b32_e32 v41, 0x80000000, v43
	s_delay_alu instid0(VALU_DEP_2) | instskip(NEXT) | instid1(VALU_DEP_3)
	v_lshl_add_u32 v183, v183, 23, 0x3b800000
	v_lshlrev_b32_e32 v40, 20, v40
	s_delay_alu instid0(VALU_DEP_1)
	v_or3_b32 v40, v41, v183, v40
.LBB6_1232:                             ;   in Loop: Header=BB6_143 Depth=2
	s_or_b32 exec_lo, exec_lo, s26
	s_mov_b32 s11, 0
	s_mov_b32 s27, exec_lo
                                        ; implicit-def: $sgpr26
	v_cmpx_lt_i16_e64 0x7f, v182
	s_xor_b32 s27, exec_lo, s27
	s_cbranch_execnz .LBB6_2601
; %bb.1233:                             ;   in Loop: Header=BB6_143 Depth=2
	s_or_saveexec_b32 s27, s27
	v_mov_b32_e32 v183, s26
	s_xor_b32 exec_lo, exec_lo, s27
	s_cbranch_execnz .LBB6_2604
.LBB6_1234:                             ;   in Loop: Header=BB6_143 Depth=2
	s_or_b32 exec_lo, exec_lo, s27
	s_and_saveexec_b32 s26, s11
	s_cbranch_execz .LBB6_1236
.LBB6_1235:                             ;   in Loop: Header=BB6_143 Depth=2
	v_and_b32_e32 v182, 0xffff, v182
	v_lshlrev_b32_e32 v43, 16, v19
	s_delay_alu instid0(VALU_DEP_2) | instskip(NEXT) | instid1(VALU_DEP_1)
	v_and_b32_e32 v183, 7, v182
	v_clz_i32_u32_e32 v41, v183
	s_delay_alu instid0(VALU_DEP_1) | instskip(NEXT) | instid1(VALU_DEP_1)
	v_min_u32_e32 v41, 32, v41
	v_subrev_nc_u32_e32 v42, 28, v41
	v_sub_nc_u32_e32 v41, 29, v41
	s_delay_alu instid0(VALU_DEP_2) | instskip(SKIP_1) | instid1(VALU_DEP_2)
	v_lshlrev_b32_e32 v42, v42, v182
	v_bfe_u32 v182, v182, 3, 4
	v_and_b32_e32 v42, 7, v42
	s_delay_alu instid0(VALU_DEP_2) | instskip(NEXT) | instid1(VALU_DEP_2)
	v_cmp_eq_u32_e32 vcc_lo, 0, v182
	v_dual_cndmask_b32 v182, v182, v41 :: v_dual_cndmask_b32 v183, v183, v42
	v_and_b32_e32 v41, 0x80000000, v43
	s_delay_alu instid0(VALU_DEP_2) | instskip(NEXT) | instid1(VALU_DEP_3)
	v_lshl_add_u32 v182, v182, 23, 0x3b800000
	v_lshlrev_b32_e32 v183, 20, v183
	s_delay_alu instid0(VALU_DEP_1)
	v_or3_b32 v183, v41, v182, v183
.LBB6_1236:                             ;   in Loop: Header=BB6_143 Depth=2
	s_or_b32 exec_lo, exec_lo, s26
	s_delay_alu instid0(VALU_DEP_1) | instskip(NEXT) | instid1(VALU_DEP_1)
	v_dual_max_f32 v182, v183, v183 :: v_dual_max_f32 v183, v40, v40
	v_min_f32_e32 v40, v183, v182
.LBB6_1237:                             ;   in Loop: Header=BB6_143 Depth=2
	s_delay_alu instid0(VALU_DEP_1) | instskip(NEXT) | instid1(VALU_DEP_1)
	v_and_b32_e32 v182, 0x7f800000, v40
	v_cmp_ne_u32_e32 vcc_lo, 0x7f800000, v182
	v_mov_b32_e32 v182, 0x80
	s_and_saveexec_b32 s26, vcc_lo
	s_cbranch_execz .LBB6_1245
; %bb.1238:                             ;   in Loop: Header=BB6_143 Depth=2
	v_mov_b32_e32 v182, 0
	s_mov_b32 s27, exec_lo
	v_cmpx_ne_u32_e32 0, v40
	s_cbranch_execz .LBB6_1244
; %bb.1239:                             ;   in Loop: Header=BB6_143 Depth=2
	v_bfe_u32 v182, v40, 23, 8
	v_and_b32_e32 v183, 0x7fffff, v40
	s_delay_alu instid0(VALU_DEP_2) | instskip(SKIP_1) | instid1(VALU_DEP_3)
	v_sub_nc_u32_e32 v41, 0x78, v182
	v_cmp_gt_u32_e32 vcc_lo, 0x79, v182
	v_or_b32_e32 v42, 0x800000, v183
	s_delay_alu instid0(VALU_DEP_3) | instskip(SKIP_2) | instid1(VALU_DEP_3)
	v_cndmask_b32_e32 v41, 0, v41, vcc_lo
	v_cmp_eq_u32_e32 vcc_lo, 0, v182
	v_add_nc_u32_e32 v182, 0xffffff89, v182
	v_cndmask_b32_e64 v41, v41, 0x77, vcc_lo
	v_cndmask_b32_e32 v183, v42, v183, vcc_lo
	s_delay_alu instid0(VALU_DEP_3) | instskip(NEXT) | instid1(VALU_DEP_3)
	v_cndmask_b32_e64 v182, v182, 0xffffff8a, vcc_lo
	v_lshl_add_u32 v42, 0x100000, v41, -1
	s_delay_alu instid0(VALU_DEP_3) | instskip(SKIP_1) | instid1(VALU_DEP_4)
	v_lshrrev_b32_e32 v43, v41, v183
	v_lshlrev_b32_e64 v45, v41, 0x80000
	v_add_nc_u32_e32 v41, v41, v182
	s_delay_alu instid0(VALU_DEP_4) | instskip(NEXT) | instid1(VALU_DEP_4)
	v_and_b32_e32 v183, v42, v183
	v_bfe_u32 v44, v43, 20, 1
	s_delay_alu instid0(VALU_DEP_2) | instskip(NEXT) | instid1(VALU_DEP_2)
	v_cmp_eq_u32_e64 s11, v183, v45
	v_add_nc_u32_e32 v42, -1, v44
	s_delay_alu instid0(VALU_DEP_1) | instskip(SKIP_2) | instid1(VALU_DEP_2)
	v_cndmask_b32_e64 v183, 0, v42, s11
	v_lshrrev_b32_e32 v42, 23, v43
	s_mov_b32 s11, exec_lo
	v_add_nc_u32_e32 v183, v183, v43
	s_delay_alu instid0(VALU_DEP_2) | instskip(NEXT) | instid1(VALU_DEP_2)
	v_xor_b32_e32 v42, 1, v42
	v_and_b32_e32 v182, 0xfffff, v183
	s_delay_alu instid0(VALU_DEP_1) | instskip(NEXT) | instid1(VALU_DEP_3)
	v_add_nc_u32_e32 v183, v182, v43
                                        ; implicit-def: $vgpr182
	v_cmpx_ne_u32_e64 v41, v42
	s_xor_b32 s11, exec_lo, s11
; %bb.1240:                             ;   in Loop: Header=BB6_143 Depth=2
	s_delay_alu instid0(VALU_DEP_2) | instskip(SKIP_2) | instid1(VALU_DEP_2)
	v_cmp_lt_u32_e32 vcc_lo, 0xffffff, v183
	v_sub_nc_u32_e32 v182, v41, v42
	v_cndmask_b32_e64 v41, 0, 1, vcc_lo
	v_add_co_ci_u32_e32 v182, vcc_lo, 0, v182, vcc_lo
	s_delay_alu instid0(VALU_DEP_2)
	v_lshrrev_b32_e32 v183, v41, v183
; %bb.1241:                             ;   in Loop: Header=BB6_143 Depth=2
	s_and_not1_saveexec_b32 s11, s11
; %bb.1242:                             ;   in Loop: Header=BB6_143 Depth=2
	s_delay_alu instid0(VALU_DEP_1)
	v_bfe_u32 v182, v183, 23, 1
; %bb.1243:                             ;   in Loop: Header=BB6_143 Depth=2
	s_or_b32 exec_lo, exec_lo, s11
	v_lshrrev_b32_e32 v183, 20, v183
	s_delay_alu instid0(VALU_DEP_2) | instskip(SKIP_2) | instid1(VALU_DEP_2)
	v_cmp_gt_i32_e32 vcc_lo, 16, v182
	v_lshrrev_b32_e32 v40, 24, v40
	v_min_i32_e32 v41, 15, v182
	v_dual_cndmask_b32 v183, 7, v183 :: v_dual_and_b32 v40, 0x80, v40
	s_delay_alu instid0(VALU_DEP_1) | instskip(SKIP_1) | instid1(VALU_DEP_2)
	v_or_b32_e32 v182, v182, v183
	v_and_b32_e32 v42, 7, v183
	v_cmp_ne_u32_e32 vcc_lo, 0, v182
	v_lshlrev_b32_e32 v41, 3, v41
	s_delay_alu instid0(VALU_DEP_1) | instskip(NEXT) | instid1(VALU_DEP_1)
	v_or3_b32 v183, v41, v40, v42
	v_cndmask_b32_e32 v182, 0, v183, vcc_lo
.LBB6_1244:                             ;   in Loop: Header=BB6_143 Depth=2
	s_or_b32 exec_lo, exec_lo, s27
.LBB6_1245:                             ;   in Loop: Header=BB6_143 Depth=2
	s_delay_alu instid0(SALU_CYCLE_1)
	s_or_b32 exec_lo, exec_lo, s26
	v_lshrrev_b32_e32 v40, 16, v23
	v_lshrrev_b32_e32 v183, 16, v19
	s_and_not1_b32 vcc_lo, exec_lo, s25
	s_cbranch_vccnz .LBB6_1255
; %bb.1246:                             ;   in Loop: Header=BB6_143 Depth=2
	s_delay_alu instid0(VALU_DEP_2) | instskip(SKIP_2) | instid1(VALU_DEP_1)
	v_and_b32_e32 v42, 0xff, v40
	s_mov_b32 s11, 0
	s_mov_b32 s27, exec_lo
                                        ; implicit-def: $sgpr26
	v_cmpx_lt_i16_e32 0x7f, v42
	s_xor_b32 s27, exec_lo, s27
	s_cbranch_execnz .LBB6_2605
; %bb.1247:                             ;   in Loop: Header=BB6_143 Depth=2
	s_or_saveexec_b32 s27, s27
	v_mov_b32_e32 v41, s26
	s_xor_b32 exec_lo, exec_lo, s27
	s_cbranch_execnz .LBB6_2608
.LBB6_1248:                             ;   in Loop: Header=BB6_143 Depth=2
	s_or_b32 exec_lo, exec_lo, s27
	s_and_saveexec_b32 s26, s11
	s_cbranch_execz .LBB6_1250
.LBB6_1249:                             ;   in Loop: Header=BB6_143 Depth=2
	v_bfe_u32 v41, v23, 16, 3
	v_bfe_u32 v44, v23, 19, 4
	v_lshlrev_b32_e32 v45, 24, v40
	s_delay_alu instid0(VALU_DEP_3) | instskip(NEXT) | instid1(VALU_DEP_3)
	v_clz_i32_u32_e32 v42, v41
	v_cmp_eq_u32_e32 vcc_lo, 0, v44
	s_delay_alu instid0(VALU_DEP_2) | instskip(NEXT) | instid1(VALU_DEP_1)
	v_min_u32_e32 v42, 32, v42
	v_subrev_nc_u32_e32 v43, 28, v42
	v_sub_nc_u32_e32 v42, 29, v42
	s_delay_alu instid0(VALU_DEP_1) | instskip(NEXT) | instid1(VALU_DEP_1)
	v_dual_cndmask_b32 v42, v44, v42 :: v_dual_lshlrev_b32 v43, v43, v40
	v_and_b32_e32 v43, 7, v43
	s_delay_alu instid0(VALU_DEP_2) | instskip(NEXT) | instid1(VALU_DEP_2)
	v_lshl_add_u32 v42, v42, 23, 0x3b800000
	v_cndmask_b32_e32 v41, v41, v43, vcc_lo
	v_and_b32_e32 v43, 0x80000000, v45
	s_delay_alu instid0(VALU_DEP_2) | instskip(NEXT) | instid1(VALU_DEP_1)
	v_lshlrev_b32_e32 v41, 20, v41
	v_or3_b32 v41, v43, v42, v41
.LBB6_1250:                             ;   in Loop: Header=BB6_143 Depth=2
	s_or_b32 exec_lo, exec_lo, s26
	v_and_b32_e32 v43, 0xff, v183
	s_mov_b32 s11, 0
	s_mov_b32 s27, exec_lo
                                        ; implicit-def: $sgpr26
	s_delay_alu instid0(VALU_DEP_1)
	v_cmpx_lt_i16_e32 0x7f, v43
	s_xor_b32 s27, exec_lo, s27
	s_cbranch_execnz .LBB6_2609
; %bb.1251:                             ;   in Loop: Header=BB6_143 Depth=2
	s_or_saveexec_b32 s27, s27
	v_mov_b32_e32 v42, s26
	s_xor_b32 exec_lo, exec_lo, s27
	s_cbranch_execnz .LBB6_2612
.LBB6_1252:                             ;   in Loop: Header=BB6_143 Depth=2
	s_or_b32 exec_lo, exec_lo, s27
	s_and_saveexec_b32 s26, s11
	s_cbranch_execz .LBB6_1254
.LBB6_1253:                             ;   in Loop: Header=BB6_143 Depth=2
	v_bfe_u32 v42, v19, 16, 3
	v_bfe_u32 v45, v19, 19, 4
	v_lshlrev_b32_e32 v46, 24, v183
	s_delay_alu instid0(VALU_DEP_3) | instskip(NEXT) | instid1(VALU_DEP_3)
	v_clz_i32_u32_e32 v43, v42
	v_cmp_eq_u32_e32 vcc_lo, 0, v45
	s_delay_alu instid0(VALU_DEP_2) | instskip(NEXT) | instid1(VALU_DEP_1)
	v_min_u32_e32 v43, 32, v43
	v_subrev_nc_u32_e32 v44, 28, v43
	v_sub_nc_u32_e32 v43, 29, v43
	s_delay_alu instid0(VALU_DEP_2) | instskip(NEXT) | instid1(VALU_DEP_1)
	v_lshlrev_b32_e32 v44, v44, v183
	v_dual_cndmask_b32 v43, v45, v43 :: v_dual_and_b32 v44, 7, v44
	s_delay_alu instid0(VALU_DEP_1) | instskip(NEXT) | instid1(VALU_DEP_2)
	v_lshl_add_u32 v43, v43, 23, 0x3b800000
	v_cndmask_b32_e32 v42, v42, v44, vcc_lo
	v_and_b32_e32 v44, 0x80000000, v46
	s_delay_alu instid0(VALU_DEP_2) | instskip(NEXT) | instid1(VALU_DEP_1)
	v_lshlrev_b32_e32 v42, 20, v42
	v_or3_b32 v42, v44, v43, v42
.LBB6_1254:                             ;   in Loop: Header=BB6_143 Depth=2
	s_or_b32 exec_lo, exec_lo, s26
	s_delay_alu instid0(VALU_DEP_1) | instskip(SKIP_1) | instid1(VALU_DEP_1)
	v_dual_max_f32 v42, v42, v42 :: v_dual_max_f32 v41, v41, v41
	s_mov_b32 s11, 0
	v_max_f32_e32 v41, v41, v42
	s_branch .LBB6_1256
.LBB6_1255:                             ;   in Loop: Header=BB6_143 Depth=2
	s_mov_b32 s11, -1
                                        ; implicit-def: $vgpr41
.LBB6_1256:                             ;   in Loop: Header=BB6_143 Depth=2
	s_delay_alu instid0(SALU_CYCLE_1)
	s_and_b32 vcc_lo, exec_lo, s11
	s_cbranch_vccz .LBB6_1266
; %bb.1257:                             ;   in Loop: Header=BB6_143 Depth=2
	v_and_b32_e32 v42, 0xff, v40
	s_mov_b32 s11, 0
	s_mov_b32 s27, exec_lo
                                        ; implicit-def: $sgpr26
	s_delay_alu instid0(VALU_DEP_1)
	v_cmpx_lt_i16_e32 0x7f, v42
	s_xor_b32 s27, exec_lo, s27
	s_cbranch_execnz .LBB6_2613
; %bb.1258:                             ;   in Loop: Header=BB6_143 Depth=2
	s_or_saveexec_b32 s27, s27
	v_mov_b32_e32 v41, s26
	s_xor_b32 exec_lo, exec_lo, s27
	s_cbranch_execnz .LBB6_2616
.LBB6_1259:                             ;   in Loop: Header=BB6_143 Depth=2
	s_or_b32 exec_lo, exec_lo, s27
	s_and_saveexec_b32 s26, s11
	s_cbranch_execz .LBB6_1261
.LBB6_1260:                             ;   in Loop: Header=BB6_143 Depth=2
	v_bfe_u32 v41, v23, 16, 3
	v_bfe_u32 v44, v23, 19, 4
	s_delay_alu instid0(VALU_DEP_2) | instskip(NEXT) | instid1(VALU_DEP_2)
	v_clz_i32_u32_e32 v42, v41
	v_cmp_eq_u32_e32 vcc_lo, 0, v44
	s_delay_alu instid0(VALU_DEP_2) | instskip(NEXT) | instid1(VALU_DEP_1)
	v_min_u32_e32 v42, 32, v42
	v_subrev_nc_u32_e32 v43, 28, v42
	v_sub_nc_u32_e32 v42, 29, v42
	s_delay_alu instid0(VALU_DEP_1) | instskip(NEXT) | instid1(VALU_DEP_1)
	v_dual_cndmask_b32 v42, v44, v42 :: v_dual_lshlrev_b32 v43, v43, v40
	v_and_b32_e32 v43, 7, v43
	v_lshlrev_b32_e32 v40, 24, v40
	s_delay_alu instid0(VALU_DEP_3) | instskip(NEXT) | instid1(VALU_DEP_2)
	v_lshl_add_u32 v42, v42, 23, 0x3b800000
	v_dual_cndmask_b32 v41, v41, v43 :: v_dual_and_b32 v40, 0x80000000, v40
	s_delay_alu instid0(VALU_DEP_1) | instskip(NEXT) | instid1(VALU_DEP_1)
	v_lshlrev_b32_e32 v41, 20, v41
	v_or3_b32 v41, v40, v42, v41
.LBB6_1261:                             ;   in Loop: Header=BB6_143 Depth=2
	s_or_b32 exec_lo, exec_lo, s26
	v_and_b32_e32 v42, 0xff, v183
	s_mov_b32 s11, 0
	s_mov_b32 s27, exec_lo
                                        ; implicit-def: $sgpr26
	s_delay_alu instid0(VALU_DEP_1)
	v_cmpx_lt_i16_e32 0x7f, v42
	s_xor_b32 s27, exec_lo, s27
	s_cbranch_execnz .LBB6_2617
; %bb.1262:                             ;   in Loop: Header=BB6_143 Depth=2
	s_or_saveexec_b32 s27, s27
	v_mov_b32_e32 v40, s26
	s_xor_b32 exec_lo, exec_lo, s27
	s_cbranch_execnz .LBB6_2620
.LBB6_1263:                             ;   in Loop: Header=BB6_143 Depth=2
	s_or_b32 exec_lo, exec_lo, s27
	s_and_saveexec_b32 s26, s11
	s_cbranch_execz .LBB6_1265
.LBB6_1264:                             ;   in Loop: Header=BB6_143 Depth=2
	v_bfe_u32 v40, v19, 16, 3
	v_bfe_u32 v44, v19, 19, 4
	s_delay_alu instid0(VALU_DEP_2) | instskip(NEXT) | instid1(VALU_DEP_2)
	v_clz_i32_u32_e32 v42, v40
	v_cmp_eq_u32_e32 vcc_lo, 0, v44
	s_delay_alu instid0(VALU_DEP_2) | instskip(NEXT) | instid1(VALU_DEP_1)
	v_min_u32_e32 v42, 32, v42
	v_subrev_nc_u32_e32 v43, 28, v42
	v_sub_nc_u32_e32 v42, 29, v42
	s_delay_alu instid0(VALU_DEP_1) | instskip(SKIP_1) | instid1(VALU_DEP_2)
	v_dual_cndmask_b32 v42, v44, v42 :: v_dual_lshlrev_b32 v43, v43, v183
	v_lshlrev_b32_e32 v183, 24, v183
	v_and_b32_e32 v43, 7, v43
	s_delay_alu instid0(VALU_DEP_3) | instskip(NEXT) | instid1(VALU_DEP_3)
	v_lshl_add_u32 v42, v42, 23, 0x3b800000
	v_and_b32_e32 v183, 0x80000000, v183
	s_delay_alu instid0(VALU_DEP_3) | instskip(NEXT) | instid1(VALU_DEP_1)
	v_cndmask_b32_e32 v40, v40, v43, vcc_lo
	v_lshlrev_b32_e32 v40, 20, v40
	s_delay_alu instid0(VALU_DEP_1)
	v_or3_b32 v40, v183, v42, v40
.LBB6_1265:                             ;   in Loop: Header=BB6_143 Depth=2
	s_or_b32 exec_lo, exec_lo, s26
	s_delay_alu instid0(VALU_DEP_1) | instskip(NEXT) | instid1(VALU_DEP_1)
	v_dual_max_f32 v183, v40, v40 :: v_dual_max_f32 v40, v41, v41
	v_min_f32_e32 v41, v40, v183
.LBB6_1266:                             ;   in Loop: Header=BB6_143 Depth=2
	s_delay_alu instid0(VALU_DEP_1) | instskip(NEXT) | instid1(VALU_DEP_1)
	v_and_b32_e32 v183, 0x7f800000, v41
	v_cmp_ne_u32_e32 vcc_lo, 0x7f800000, v183
	v_mov_b32_e32 v183, 0x80
	s_and_saveexec_b32 s26, vcc_lo
	s_cbranch_execz .LBB6_1274
; %bb.1267:                             ;   in Loop: Header=BB6_143 Depth=2
	v_mov_b32_e32 v183, 0
	s_mov_b32 s27, exec_lo
	v_cmpx_ne_u32_e32 0, v41
	s_cbranch_execz .LBB6_1273
; %bb.1268:                             ;   in Loop: Header=BB6_143 Depth=2
	v_bfe_u32 v183, v41, 23, 8
	v_and_b32_e32 v40, 0x7fffff, v41
	s_delay_alu instid0(VALU_DEP_2) | instskip(SKIP_1) | instid1(VALU_DEP_3)
	v_sub_nc_u32_e32 v42, 0x78, v183
	v_cmp_gt_u32_e32 vcc_lo, 0x79, v183
	v_or_b32_e32 v43, 0x800000, v40
	s_delay_alu instid0(VALU_DEP_3) | instskip(SKIP_2) | instid1(VALU_DEP_3)
	v_cndmask_b32_e32 v42, 0, v42, vcc_lo
	v_cmp_eq_u32_e32 vcc_lo, 0, v183
	v_add_nc_u32_e32 v183, 0xffffff89, v183
	v_cndmask_b32_e64 v42, v42, 0x77, vcc_lo
	v_cndmask_b32_e32 v40, v43, v40, vcc_lo
	s_delay_alu instid0(VALU_DEP_3) | instskip(NEXT) | instid1(VALU_DEP_3)
	v_cndmask_b32_e64 v183, v183, 0xffffff8a, vcc_lo
	v_lshl_add_u32 v43, 0x100000, v42, -1
	s_delay_alu instid0(VALU_DEP_3) | instskip(SKIP_1) | instid1(VALU_DEP_4)
	v_lshrrev_b32_e32 v44, v42, v40
	v_lshlrev_b32_e64 v46, v42, 0x80000
	v_add_nc_u32_e32 v42, v42, v183
	s_delay_alu instid0(VALU_DEP_4) | instskip(NEXT) | instid1(VALU_DEP_4)
	v_and_b32_e32 v40, v43, v40
	v_bfe_u32 v45, v44, 20, 1
	s_delay_alu instid0(VALU_DEP_2) | instskip(NEXT) | instid1(VALU_DEP_2)
	v_cmp_eq_u32_e64 s11, v40, v46
	v_add_nc_u32_e32 v43, -1, v45
	s_delay_alu instid0(VALU_DEP_1) | instskip(SKIP_2) | instid1(VALU_DEP_2)
	v_cndmask_b32_e64 v40, 0, v43, s11
	v_lshrrev_b32_e32 v43, 23, v44
	s_mov_b32 s11, exec_lo
	v_add_nc_u32_e32 v40, v40, v44
	s_delay_alu instid0(VALU_DEP_2) | instskip(NEXT) | instid1(VALU_DEP_2)
	v_xor_b32_e32 v43, 1, v43
	v_and_b32_e32 v183, 0xfffff, v40
	s_delay_alu instid0(VALU_DEP_1) | instskip(NEXT) | instid1(VALU_DEP_3)
	v_add_nc_u32_e32 v40, v183, v44
                                        ; implicit-def: $vgpr183
	v_cmpx_ne_u32_e64 v42, v43
	s_xor_b32 s11, exec_lo, s11
; %bb.1269:                             ;   in Loop: Header=BB6_143 Depth=2
	s_delay_alu instid0(VALU_DEP_2) | instskip(SKIP_2) | instid1(VALU_DEP_2)
	v_cmp_lt_u32_e32 vcc_lo, 0xffffff, v40
	v_sub_nc_u32_e32 v183, v42, v43
	v_cndmask_b32_e64 v42, 0, 1, vcc_lo
	v_add_co_ci_u32_e32 v183, vcc_lo, 0, v183, vcc_lo
	s_delay_alu instid0(VALU_DEP_2)
	v_lshrrev_b32_e32 v40, v42, v40
; %bb.1270:                             ;   in Loop: Header=BB6_143 Depth=2
	s_and_not1_saveexec_b32 s11, s11
; %bb.1271:                             ;   in Loop: Header=BB6_143 Depth=2
	s_delay_alu instid0(VALU_DEP_1)
	v_bfe_u32 v183, v40, 23, 1
; %bb.1272:                             ;   in Loop: Header=BB6_143 Depth=2
	s_or_b32 exec_lo, exec_lo, s11
	v_lshrrev_b32_e32 v40, 20, v40
	s_delay_alu instid0(VALU_DEP_2) | instskip(SKIP_2) | instid1(VALU_DEP_2)
	v_cmp_gt_i32_e32 vcc_lo, 16, v183
	v_lshrrev_b32_e32 v41, 24, v41
	v_min_i32_e32 v42, 15, v183
	v_dual_cndmask_b32 v40, 7, v40 :: v_dual_and_b32 v41, 0x80, v41
	s_delay_alu instid0(VALU_DEP_1) | instskip(SKIP_1) | instid1(VALU_DEP_2)
	v_or_b32_e32 v183, v183, v40
	v_and_b32_e32 v43, 7, v40
	v_cmp_ne_u32_e32 vcc_lo, 0, v183
	v_lshlrev_b32_e32 v42, 3, v42
	s_delay_alu instid0(VALU_DEP_1) | instskip(NEXT) | instid1(VALU_DEP_1)
	v_and_b32_e32 v42, 0xf8, v42
	v_or3_b32 v40, v42, v41, v43
	s_delay_alu instid0(VALU_DEP_1)
	v_cndmask_b32_e32 v183, 0, v40, vcc_lo
.LBB6_1273:                             ;   in Loop: Header=BB6_143 Depth=2
	s_or_b32 exec_lo, exec_lo, s27
.LBB6_1274:                             ;   in Loop: Header=BB6_143 Depth=2
	s_delay_alu instid0(SALU_CYCLE_1)
	s_or_b32 exec_lo, exec_lo, s26
	v_lshrrev_b32_e32 v41, 24, v23
	v_lshrrev_b32_e32 v40, 24, v19
	s_and_not1_b32 vcc_lo, exec_lo, s25
	s_cbranch_vccnz .LBB6_1284
; %bb.1275:                             ;   in Loop: Header=BB6_143 Depth=2
	s_mov_b32 s11, 0
	s_mov_b32 s27, exec_lo
                                        ; implicit-def: $sgpr26
	v_cmpx_lt_i16_e32 0x7f, v41
	s_xor_b32 s27, exec_lo, s27
	s_cbranch_execnz .LBB6_2621
; %bb.1276:                             ;   in Loop: Header=BB6_143 Depth=2
	s_or_saveexec_b32 s27, s27
	v_mov_b32_e32 v42, s26
	s_xor_b32 exec_lo, exec_lo, s27
	s_cbranch_execnz .LBB6_2624
.LBB6_1277:                             ;   in Loop: Header=BB6_143 Depth=2
	s_or_b32 exec_lo, exec_lo, s27
	s_and_saveexec_b32 s26, s11
	s_cbranch_execz .LBB6_1279
.LBB6_1278:                             ;   in Loop: Header=BB6_143 Depth=2
	v_bfe_u32 v42, v23, 24, 3
	v_bfe_u32 v45, v23, 27, 4
	s_delay_alu instid0(VALU_DEP_2) | instskip(NEXT) | instid1(VALU_DEP_2)
	v_clz_i32_u32_e32 v43, v42
	v_cmp_eq_u32_e32 vcc_lo, 0, v45
	s_delay_alu instid0(VALU_DEP_2) | instskip(NEXT) | instid1(VALU_DEP_1)
	v_min_u32_e32 v43, 32, v43
	v_subrev_nc_u32_e32 v44, 28, v43
	v_sub_nc_u32_e32 v43, 29, v43
	s_delay_alu instid0(VALU_DEP_1) | instskip(NEXT) | instid1(VALU_DEP_1)
	v_dual_cndmask_b32 v43, v45, v43 :: v_dual_lshlrev_b32 v44, v44, v41
	v_and_b32_e32 v44, 7, v44
	s_delay_alu instid0(VALU_DEP_2) | instskip(NEXT) | instid1(VALU_DEP_2)
	v_lshl_add_u32 v43, v43, 23, 0x3b800000
	v_cndmask_b32_e32 v42, v42, v44, vcc_lo
	v_and_b32_e32 v44, 0x80000000, v23
	s_delay_alu instid0(VALU_DEP_2) | instskip(NEXT) | instid1(VALU_DEP_1)
	v_lshlrev_b32_e32 v42, 20, v42
	v_or3_b32 v42, v44, v43, v42
.LBB6_1279:                             ;   in Loop: Header=BB6_143 Depth=2
	s_or_b32 exec_lo, exec_lo, s26
	s_mov_b32 s11, 0
	s_mov_b32 s27, exec_lo
                                        ; implicit-def: $sgpr26
	v_cmpx_lt_i16_e32 0x7f, v40
	s_xor_b32 s27, exec_lo, s27
	s_cbranch_execnz .LBB6_2625
; %bb.1280:                             ;   in Loop: Header=BB6_143 Depth=2
	s_or_saveexec_b32 s27, s27
	v_mov_b32_e32 v43, s26
	s_xor_b32 exec_lo, exec_lo, s27
	s_cbranch_execnz .LBB6_2628
.LBB6_1281:                             ;   in Loop: Header=BB6_143 Depth=2
	s_or_b32 exec_lo, exec_lo, s27
	s_and_saveexec_b32 s26, s11
	s_cbranch_execz .LBB6_1283
.LBB6_1282:                             ;   in Loop: Header=BB6_143 Depth=2
	v_bfe_u32 v43, v19, 24, 3
	v_bfe_u32 v46, v19, 27, 4
	s_delay_alu instid0(VALU_DEP_2) | instskip(NEXT) | instid1(VALU_DEP_2)
	v_clz_i32_u32_e32 v44, v43
	v_cmp_eq_u32_e32 vcc_lo, 0, v46
	s_delay_alu instid0(VALU_DEP_2) | instskip(NEXT) | instid1(VALU_DEP_1)
	v_min_u32_e32 v44, 32, v44
	v_subrev_nc_u32_e32 v45, 28, v44
	v_sub_nc_u32_e32 v44, 29, v44
	s_delay_alu instid0(VALU_DEP_2) | instskip(NEXT) | instid1(VALU_DEP_1)
	v_lshlrev_b32_e32 v45, v45, v40
	v_dual_cndmask_b32 v44, v46, v44 :: v_dual_and_b32 v45, 7, v45
	s_delay_alu instid0(VALU_DEP_1) | instskip(NEXT) | instid1(VALU_DEP_2)
	v_lshl_add_u32 v44, v44, 23, 0x3b800000
	v_cndmask_b32_e32 v43, v43, v45, vcc_lo
	v_and_b32_e32 v45, 0x80000000, v19
	s_delay_alu instid0(VALU_DEP_2) | instskip(NEXT) | instid1(VALU_DEP_1)
	v_lshlrev_b32_e32 v43, 20, v43
	v_or3_b32 v43, v45, v44, v43
.LBB6_1283:                             ;   in Loop: Header=BB6_143 Depth=2
	s_or_b32 exec_lo, exec_lo, s26
	s_delay_alu instid0(VALU_DEP_1) | instskip(SKIP_1) | instid1(VALU_DEP_1)
	v_dual_max_f32 v43, v43, v43 :: v_dual_max_f32 v42, v42, v42
	s_mov_b32 s11, 0
	v_max_f32_e32 v42, v42, v43
	s_branch .LBB6_1285
.LBB6_1284:                             ;   in Loop: Header=BB6_143 Depth=2
	s_mov_b32 s11, -1
                                        ; implicit-def: $vgpr42
.LBB6_1285:                             ;   in Loop: Header=BB6_143 Depth=2
	s_delay_alu instid0(SALU_CYCLE_1)
	s_and_b32 vcc_lo, exec_lo, s11
	s_cbranch_vccz .LBB6_1295
; %bb.1286:                             ;   in Loop: Header=BB6_143 Depth=2
	s_mov_b32 s11, 0
	s_mov_b32 s27, exec_lo
                                        ; implicit-def: $sgpr26
	v_cmpx_lt_i16_e32 0x7f, v41
	s_xor_b32 s27, exec_lo, s27
	s_cbranch_execnz .LBB6_2629
; %bb.1287:                             ;   in Loop: Header=BB6_143 Depth=2
	s_or_saveexec_b32 s27, s27
	v_mov_b32_e32 v42, s26
	s_xor_b32 exec_lo, exec_lo, s27
	s_cbranch_execnz .LBB6_2632
.LBB6_1288:                             ;   in Loop: Header=BB6_143 Depth=2
	s_or_b32 exec_lo, exec_lo, s27
	s_and_saveexec_b32 s26, s11
	s_cbranch_execz .LBB6_1290
.LBB6_1289:                             ;   in Loop: Header=BB6_143 Depth=2
	v_bfe_u32 v42, v23, 24, 3
	s_delay_alu instid0(VALU_DEP_1) | instskip(NEXT) | instid1(VALU_DEP_1)
	v_clz_i32_u32_e32 v43, v42
	v_min_u32_e32 v43, 32, v43
	s_delay_alu instid0(VALU_DEP_1) | instskip(SKIP_1) | instid1(VALU_DEP_2)
	v_subrev_nc_u32_e32 v44, 28, v43
	v_sub_nc_u32_e32 v43, 29, v43
	v_lshlrev_b32_e32 v41, v44, v41
	v_bfe_u32 v44, v23, 27, 4
	v_and_b32_e32 v23, 0x80000000, v23
	s_delay_alu instid0(VALU_DEP_3) | instskip(NEXT) | instid1(VALU_DEP_3)
	v_and_b32_e32 v41, 7, v41
	v_cmp_eq_u32_e32 vcc_lo, 0, v44
	v_cndmask_b32_e32 v43, v44, v43, vcc_lo
	s_delay_alu instid0(VALU_DEP_3) | instskip(NEXT) | instid1(VALU_DEP_2)
	v_cndmask_b32_e32 v41, v42, v41, vcc_lo
	v_lshl_add_u32 v42, v43, 23, 0x3b800000
	s_delay_alu instid0(VALU_DEP_2) | instskip(NEXT) | instid1(VALU_DEP_1)
	v_lshlrev_b32_e32 v41, 20, v41
	v_or3_b32 v42, v23, v42, v41
.LBB6_1290:                             ;   in Loop: Header=BB6_143 Depth=2
	s_or_b32 exec_lo, exec_lo, s26
	s_mov_b32 s11, 0
	s_mov_b32 s27, exec_lo
                                        ; implicit-def: $sgpr26
	v_cmpx_lt_i16_e32 0x7f, v40
	s_xor_b32 s27, exec_lo, s27
	s_cbranch_execnz .LBB6_2633
; %bb.1291:                             ;   in Loop: Header=BB6_143 Depth=2
	s_or_saveexec_b32 s27, s27
	v_mov_b32_e32 v23, s26
	s_xor_b32 exec_lo, exec_lo, s27
	s_cbranch_execnz .LBB6_2636
.LBB6_1292:                             ;   in Loop: Header=BB6_143 Depth=2
	s_or_b32 exec_lo, exec_lo, s27
	s_and_saveexec_b32 s26, s11
	s_cbranch_execz .LBB6_1294
.LBB6_1293:                             ;   in Loop: Header=BB6_143 Depth=2
	v_bfe_u32 v23, v19, 24, 3
	s_delay_alu instid0(VALU_DEP_1) | instskip(NEXT) | instid1(VALU_DEP_1)
	v_clz_i32_u32_e32 v41, v23
	v_min_u32_e32 v41, 32, v41
	s_delay_alu instid0(VALU_DEP_1) | instskip(SKIP_1) | instid1(VALU_DEP_2)
	v_subrev_nc_u32_e32 v43, 28, v41
	v_sub_nc_u32_e32 v41, 29, v41
	v_lshlrev_b32_e32 v40, v43, v40
	v_bfe_u32 v43, v19, 27, 4
	v_and_b32_e32 v19, 0x80000000, v19
	s_delay_alu instid0(VALU_DEP_2) | instskip(NEXT) | instid1(VALU_DEP_4)
	v_cmp_eq_u32_e32 vcc_lo, 0, v43
	v_dual_cndmask_b32 v41, v43, v41 :: v_dual_and_b32 v40, 7, v40
	s_delay_alu instid0(VALU_DEP_1) | instskip(NEXT) | instid1(VALU_DEP_2)
	v_cndmask_b32_e32 v23, v23, v40, vcc_lo
	v_lshl_add_u32 v40, v41, 23, 0x3b800000
	s_delay_alu instid0(VALU_DEP_2) | instskip(NEXT) | instid1(VALU_DEP_1)
	v_lshlrev_b32_e32 v23, 20, v23
	v_or3_b32 v23, v19, v40, v23
.LBB6_1294:                             ;   in Loop: Header=BB6_143 Depth=2
	s_or_b32 exec_lo, exec_lo, s26
	s_delay_alu instid0(VALU_DEP_1) | instskip(SKIP_1) | instid1(VALU_DEP_1)
	v_max_f32_e32 v19, v23, v23
	v_max_f32_e32 v23, v42, v42
	v_min_f32_e32 v42, v23, v19
.LBB6_1295:                             ;   in Loop: Header=BB6_143 Depth=2
	s_delay_alu instid0(VALU_DEP_1) | instskip(NEXT) | instid1(VALU_DEP_1)
	v_and_b32_e32 v19, 0x7f800000, v42
	v_cmp_ne_u32_e32 vcc_lo, 0x7f800000, v19
	v_mov_b32_e32 v19, 0x8000
	s_and_saveexec_b32 s26, vcc_lo
	s_cbranch_execz .LBB6_1303
; %bb.1296:                             ;   in Loop: Header=BB6_143 Depth=2
	v_mov_b32_e32 v19, 0
	s_mov_b32 s27, exec_lo
	v_cmpx_ne_u32_e32 0, v42
	s_cbranch_execz .LBB6_1302
; %bb.1297:                             ;   in Loop: Header=BB6_143 Depth=2
	v_bfe_u32 v19, v42, 23, 8
	s_delay_alu instid0(VALU_DEP_1) | instskip(SKIP_1) | instid1(VALU_DEP_2)
	v_sub_nc_u32_e32 v40, 0x78, v19
	v_cmp_gt_u32_e32 vcc_lo, 0x79, v19
	v_dual_cndmask_b32 v40, 0, v40 :: v_dual_and_b32 v23, 0x7fffff, v42
	s_delay_alu instid0(VALU_DEP_1) | instskip(SKIP_2) | instid1(VALU_DEP_4)
	v_or_b32_e32 v41, 0x800000, v23
	v_cmp_eq_u32_e32 vcc_lo, 0, v19
	v_add_nc_u32_e32 v19, 0xffffff89, v19
	v_cndmask_b32_e64 v40, v40, 0x77, vcc_lo
	s_delay_alu instid0(VALU_DEP_4) | instskip(NEXT) | instid1(VALU_DEP_3)
	v_cndmask_b32_e32 v23, v41, v23, vcc_lo
	v_cndmask_b32_e64 v19, v19, 0xffffff8a, vcc_lo
	s_delay_alu instid0(VALU_DEP_3) | instskip(NEXT) | instid1(VALU_DEP_3)
	v_lshl_add_u32 v41, 0x100000, v40, -1
	v_lshrrev_b32_e32 v43, v40, v23
	v_lshlrev_b32_e64 v45, v40, 0x80000
	s_delay_alu instid0(VALU_DEP_4) | instskip(NEXT) | instid1(VALU_DEP_4)
	v_add_nc_u32_e32 v40, v40, v19
	v_and_b32_e32 v23, v41, v23
	s_delay_alu instid0(VALU_DEP_4) | instskip(NEXT) | instid1(VALU_DEP_2)
	v_bfe_u32 v44, v43, 20, 1
	v_cmp_eq_u32_e64 s11, v23, v45
	s_delay_alu instid0(VALU_DEP_2) | instskip(NEXT) | instid1(VALU_DEP_1)
	v_add_nc_u32_e32 v41, -1, v44
	v_cndmask_b32_e64 v23, 0, v41, s11
	v_lshrrev_b32_e32 v41, 23, v43
	s_mov_b32 s11, exec_lo
	s_delay_alu instid0(VALU_DEP_2) | instskip(NEXT) | instid1(VALU_DEP_2)
	v_add_nc_u32_e32 v23, v23, v43
	v_xor_b32_e32 v41, 1, v41
	s_delay_alu instid0(VALU_DEP_2) | instskip(NEXT) | instid1(VALU_DEP_1)
	v_and_b32_e32 v19, 0xfffff, v23
	v_add_nc_u32_e32 v23, v19, v43
                                        ; implicit-def: $vgpr19
	s_delay_alu instid0(VALU_DEP_3)
	v_cmpx_ne_u32_e64 v40, v41
	s_xor_b32 s11, exec_lo, s11
; %bb.1298:                             ;   in Loop: Header=BB6_143 Depth=2
	s_delay_alu instid0(VALU_DEP_2) | instskip(SKIP_2) | instid1(VALU_DEP_2)
	v_cmp_lt_u32_e32 vcc_lo, 0xffffff, v23
	v_sub_nc_u32_e32 v19, v40, v41
	v_cndmask_b32_e64 v40, 0, 1, vcc_lo
	v_add_co_ci_u32_e32 v19, vcc_lo, 0, v19, vcc_lo
	s_delay_alu instid0(VALU_DEP_2)
	v_lshrrev_b32_e32 v23, v40, v23
; %bb.1299:                             ;   in Loop: Header=BB6_143 Depth=2
	s_and_not1_saveexec_b32 s11, s11
; %bb.1300:                             ;   in Loop: Header=BB6_143 Depth=2
	s_delay_alu instid0(VALU_DEP_1)
	v_bfe_u32 v19, v23, 23, 1
; %bb.1301:                             ;   in Loop: Header=BB6_143 Depth=2
	s_or_b32 exec_lo, exec_lo, s11
	v_lshrrev_b32_e32 v23, 20, v23
	s_delay_alu instid0(VALU_DEP_2) | instskip(SKIP_2) | instid1(VALU_DEP_2)
	v_cmp_gt_i32_e32 vcc_lo, 16, v19
	v_min_i32_e32 v40, 15, v19
	v_lshrrev_b32_e32 v41, 24, v42
	v_dual_cndmask_b32 v23, 7, v23 :: v_dual_lshlrev_b32 v40, 3, v40
	s_delay_alu instid0(VALU_DEP_2) | instskip(NEXT) | instid1(VALU_DEP_2)
	v_and_b32_e32 v41, 0x80, v41
	v_or_b32_e32 v19, v19, v23
	v_and_b32_e32 v42, 7, v23
	s_delay_alu instid0(VALU_DEP_2) | instskip(SKIP_1) | instid1(VALU_DEP_1)
	v_cmp_ne_u32_e32 vcc_lo, 0, v19
	v_and_b32_e32 v40, 0xf8, v40
	v_or3_b32 v40, v41, v40, v42
	s_delay_alu instid0(VALU_DEP_1) | instskip(NEXT) | instid1(VALU_DEP_1)
	v_lshlrev_b32_e32 v23, 8, v40
	v_cndmask_b32_e32 v19, 0, v23, vcc_lo
.LBB6_1302:                             ;   in Loop: Header=BB6_143 Depth=2
	s_or_b32 exec_lo, exec_lo, s27
.LBB6_1303:                             ;   in Loop: Header=BB6_143 Depth=2
	s_delay_alu instid0(SALU_CYCLE_1) | instskip(NEXT) | instid1(SALU_CYCLE_1)
	s_or_b32 exec_lo, exec_lo, s26
	s_and_not1_b32 vcc_lo, exec_lo, s25
	s_cbranch_vccnz .LBB6_1313
; %bb.1304:                             ;   in Loop: Header=BB6_143 Depth=2
	v_and_b32_e32 v40, 0xff, v24
	s_mov_b32 s11, 0
	s_mov_b32 s27, exec_lo
                                        ; implicit-def: $sgpr26
	s_delay_alu instid0(VALU_DEP_1)
	v_cmpx_lt_i16_e32 0x7f, v40
	s_xor_b32 s27, exec_lo, s27
	s_cbranch_execnz .LBB6_2637
; %bb.1305:                             ;   in Loop: Header=BB6_143 Depth=2
	s_or_saveexec_b32 s27, s27
	v_mov_b32_e32 v23, s26
	s_xor_b32 exec_lo, exec_lo, s27
	s_cbranch_execnz .LBB6_2640
.LBB6_1306:                             ;   in Loop: Header=BB6_143 Depth=2
	s_or_b32 exec_lo, exec_lo, s27
	s_and_saveexec_b32 s26, s11
	s_cbranch_execz .LBB6_1308
.LBB6_1307:                             ;   in Loop: Header=BB6_143 Depth=2
	v_and_b32_e32 v23, 7, v24
	v_bfe_u32 v42, v24, 3, 4
	v_lshlrev_b32_e32 v43, 24, v24
	s_delay_alu instid0(VALU_DEP_3) | instskip(NEXT) | instid1(VALU_DEP_3)
	v_clz_i32_u32_e32 v40, v23
	v_cmp_eq_u32_e32 vcc_lo, 0, v42
	s_delay_alu instid0(VALU_DEP_2) | instskip(NEXT) | instid1(VALU_DEP_1)
	v_min_u32_e32 v40, 32, v40
	v_subrev_nc_u32_e32 v41, 28, v40
	v_sub_nc_u32_e32 v40, 29, v40
	s_delay_alu instid0(VALU_DEP_2) | instskip(NEXT) | instid1(VALU_DEP_1)
	v_lshlrev_b32_e32 v41, v41, v24
	v_dual_cndmask_b32 v40, v42, v40 :: v_dual_and_b32 v41, 7, v41
	s_delay_alu instid0(VALU_DEP_1) | instskip(NEXT) | instid1(VALU_DEP_2)
	v_lshl_add_u32 v40, v40, 23, 0x3b800000
	v_cndmask_b32_e32 v23, v23, v41, vcc_lo
	v_and_b32_e32 v41, 0x80000000, v43
	s_delay_alu instid0(VALU_DEP_2) | instskip(NEXT) | instid1(VALU_DEP_1)
	v_lshlrev_b32_e32 v23, 20, v23
	v_or3_b32 v23, v41, v40, v23
.LBB6_1308:                             ;   in Loop: Header=BB6_143 Depth=2
	s_or_b32 exec_lo, exec_lo, s26
	v_and_b32_e32 v41, 0xff, v20
	s_mov_b32 s11, 0
	s_mov_b32 s27, exec_lo
                                        ; implicit-def: $sgpr26
	s_delay_alu instid0(VALU_DEP_1)
	v_cmpx_lt_i16_e32 0x7f, v41
	s_xor_b32 s27, exec_lo, s27
	s_cbranch_execnz .LBB6_2641
; %bb.1309:                             ;   in Loop: Header=BB6_143 Depth=2
	s_or_saveexec_b32 s27, s27
	v_mov_b32_e32 v40, s26
	s_xor_b32 exec_lo, exec_lo, s27
	s_cbranch_execnz .LBB6_2644
.LBB6_1310:                             ;   in Loop: Header=BB6_143 Depth=2
	s_or_b32 exec_lo, exec_lo, s27
	s_and_saveexec_b32 s26, s11
	s_cbranch_execz .LBB6_1312
.LBB6_1311:                             ;   in Loop: Header=BB6_143 Depth=2
	v_bfe_u32 v43, v20, 3, 4
	v_lshlrev_b32_e32 v44, 24, v20
	s_delay_alu instid0(VALU_DEP_2) | instskip(SKIP_1) | instid1(VALU_DEP_1)
	v_cmp_eq_u32_e32 vcc_lo, 0, v43
	v_and_b32_e32 v40, 7, v20
	v_clz_i32_u32_e32 v41, v40
	s_delay_alu instid0(VALU_DEP_1) | instskip(NEXT) | instid1(VALU_DEP_1)
	v_min_u32_e32 v41, 32, v41
	v_subrev_nc_u32_e32 v42, 28, v41
	v_sub_nc_u32_e32 v41, 29, v41
	s_delay_alu instid0(VALU_DEP_1) | instskip(NEXT) | instid1(VALU_DEP_1)
	v_dual_cndmask_b32 v41, v43, v41 :: v_dual_lshlrev_b32 v42, v42, v20
	v_and_b32_e32 v42, 7, v42
	s_delay_alu instid0(VALU_DEP_2) | instskip(NEXT) | instid1(VALU_DEP_2)
	v_lshl_add_u32 v41, v41, 23, 0x3b800000
	v_cndmask_b32_e32 v40, v40, v42, vcc_lo
	v_and_b32_e32 v42, 0x80000000, v44
	s_delay_alu instid0(VALU_DEP_2) | instskip(NEXT) | instid1(VALU_DEP_1)
	v_lshlrev_b32_e32 v40, 20, v40
	v_or3_b32 v40, v42, v41, v40
.LBB6_1312:                             ;   in Loop: Header=BB6_143 Depth=2
	s_or_b32 exec_lo, exec_lo, s26
	s_delay_alu instid0(VALU_DEP_1) | instskip(SKIP_1) | instid1(VALU_DEP_1)
	v_dual_max_f32 v40, v40, v40 :: v_dual_max_f32 v23, v23, v23
	s_mov_b32 s11, 0
	v_max_f32_e32 v40, v23, v40
	s_branch .LBB6_1314
.LBB6_1313:                             ;   in Loop: Header=BB6_143 Depth=2
	s_mov_b32 s11, -1
                                        ; implicit-def: $vgpr40
.LBB6_1314:                             ;   in Loop: Header=BB6_143 Depth=2
	s_delay_alu instid0(SALU_CYCLE_1)
	s_and_b32 vcc_lo, exec_lo, s11
	s_cbranch_vccz .LBB6_1324
; %bb.1315:                             ;   in Loop: Header=BB6_143 Depth=2
	v_and_b32_e32 v40, 0xff, v24
	s_mov_b32 s11, 0
	s_mov_b32 s27, exec_lo
                                        ; implicit-def: $sgpr26
	s_delay_alu instid0(VALU_DEP_1)
	v_cmpx_lt_i16_e32 0x7f, v40
	s_xor_b32 s27, exec_lo, s27
	s_cbranch_execnz .LBB6_2645
; %bb.1316:                             ;   in Loop: Header=BB6_143 Depth=2
	s_or_saveexec_b32 s27, s27
	v_mov_b32_e32 v23, s26
	s_xor_b32 exec_lo, exec_lo, s27
	s_cbranch_execnz .LBB6_2648
.LBB6_1317:                             ;   in Loop: Header=BB6_143 Depth=2
	s_or_b32 exec_lo, exec_lo, s27
	s_and_saveexec_b32 s26, s11
	s_cbranch_execz .LBB6_1319
.LBB6_1318:                             ;   in Loop: Header=BB6_143 Depth=2
	v_and_b32_e32 v23, 7, v24
	v_bfe_u32 v42, v24, 3, 4
	v_lshlrev_b32_e32 v43, 24, v24
	s_delay_alu instid0(VALU_DEP_3) | instskip(NEXT) | instid1(VALU_DEP_3)
	v_clz_i32_u32_e32 v40, v23
	v_cmp_eq_u32_e32 vcc_lo, 0, v42
	s_delay_alu instid0(VALU_DEP_2) | instskip(NEXT) | instid1(VALU_DEP_1)
	v_min_u32_e32 v40, 32, v40
	v_subrev_nc_u32_e32 v41, 28, v40
	v_sub_nc_u32_e32 v40, 29, v40
	s_delay_alu instid0(VALU_DEP_2) | instskip(NEXT) | instid1(VALU_DEP_1)
	v_lshlrev_b32_e32 v41, v41, v24
	v_dual_cndmask_b32 v40, v42, v40 :: v_dual_and_b32 v41, 7, v41
	s_delay_alu instid0(VALU_DEP_1) | instskip(NEXT) | instid1(VALU_DEP_2)
	v_lshl_add_u32 v40, v40, 23, 0x3b800000
	v_cndmask_b32_e32 v23, v23, v41, vcc_lo
	v_and_b32_e32 v41, 0x80000000, v43
	s_delay_alu instid0(VALU_DEP_2) | instskip(NEXT) | instid1(VALU_DEP_1)
	v_lshlrev_b32_e32 v23, 20, v23
	v_or3_b32 v23, v41, v40, v23
.LBB6_1319:                             ;   in Loop: Header=BB6_143 Depth=2
	s_or_b32 exec_lo, exec_lo, s26
	v_and_b32_e32 v41, 0xff, v20
	s_mov_b32 s11, 0
	s_mov_b32 s27, exec_lo
                                        ; implicit-def: $sgpr26
	s_delay_alu instid0(VALU_DEP_1)
	v_cmpx_lt_i16_e32 0x7f, v41
	s_xor_b32 s27, exec_lo, s27
	s_cbranch_execnz .LBB6_2649
; %bb.1320:                             ;   in Loop: Header=BB6_143 Depth=2
	s_or_saveexec_b32 s27, s27
	v_mov_b32_e32 v40, s26
	s_xor_b32 exec_lo, exec_lo, s27
	s_cbranch_execnz .LBB6_2652
.LBB6_1321:                             ;   in Loop: Header=BB6_143 Depth=2
	s_or_b32 exec_lo, exec_lo, s27
	s_and_saveexec_b32 s26, s11
	s_cbranch_execz .LBB6_1323
.LBB6_1322:                             ;   in Loop: Header=BB6_143 Depth=2
	v_bfe_u32 v43, v20, 3, 4
	v_lshlrev_b32_e32 v44, 24, v20
	s_delay_alu instid0(VALU_DEP_2) | instskip(SKIP_1) | instid1(VALU_DEP_1)
	v_cmp_eq_u32_e32 vcc_lo, 0, v43
	v_and_b32_e32 v40, 7, v20
	v_clz_i32_u32_e32 v41, v40
	s_delay_alu instid0(VALU_DEP_1) | instskip(NEXT) | instid1(VALU_DEP_1)
	v_min_u32_e32 v41, 32, v41
	v_subrev_nc_u32_e32 v42, 28, v41
	v_sub_nc_u32_e32 v41, 29, v41
	s_delay_alu instid0(VALU_DEP_1) | instskip(NEXT) | instid1(VALU_DEP_1)
	v_dual_cndmask_b32 v41, v43, v41 :: v_dual_lshlrev_b32 v42, v42, v20
	v_and_b32_e32 v42, 7, v42
	s_delay_alu instid0(VALU_DEP_2) | instskip(NEXT) | instid1(VALU_DEP_2)
	v_lshl_add_u32 v41, v41, 23, 0x3b800000
	v_cndmask_b32_e32 v40, v40, v42, vcc_lo
	v_and_b32_e32 v42, 0x80000000, v44
	s_delay_alu instid0(VALU_DEP_2) | instskip(NEXT) | instid1(VALU_DEP_1)
	v_lshlrev_b32_e32 v40, 20, v40
	v_or3_b32 v40, v42, v41, v40
.LBB6_1323:                             ;   in Loop: Header=BB6_143 Depth=2
	s_or_b32 exec_lo, exec_lo, s26
	s_delay_alu instid0(VALU_DEP_1) | instskip(NEXT) | instid1(VALU_DEP_1)
	v_dual_max_f32 v40, v40, v40 :: v_dual_max_f32 v23, v23, v23
	v_min_f32_e32 v40, v23, v40
.LBB6_1324:                             ;   in Loop: Header=BB6_143 Depth=2
	s_delay_alu instid0(VALU_DEP_1) | instskip(NEXT) | instid1(VALU_DEP_1)
	v_and_b32_e32 v23, 0x7f800000, v40
	v_cmp_ne_u32_e32 vcc_lo, 0x7f800000, v23
	v_mov_b32_e32 v23, 0x80
	s_and_saveexec_b32 s26, vcc_lo
	s_cbranch_execz .LBB6_1332
; %bb.1325:                             ;   in Loop: Header=BB6_143 Depth=2
	v_mov_b32_e32 v23, 0
	s_mov_b32 s27, exec_lo
	v_cmpx_ne_u32_e32 0, v40
	s_cbranch_execz .LBB6_1331
; %bb.1326:                             ;   in Loop: Header=BB6_143 Depth=2
	v_bfe_u32 v23, v40, 23, 8
	s_delay_alu instid0(VALU_DEP_1) | instskip(SKIP_1) | instid1(VALU_DEP_2)
	v_sub_nc_u32_e32 v42, 0x78, v23
	v_cmp_gt_u32_e32 vcc_lo, 0x79, v23
	v_dual_cndmask_b32 v42, 0, v42 :: v_dual_and_b32 v41, 0x7fffff, v40
	s_delay_alu instid0(VALU_DEP_1) | instskip(SKIP_2) | instid1(VALU_DEP_4)
	v_or_b32_e32 v43, 0x800000, v41
	v_cmp_eq_u32_e32 vcc_lo, 0, v23
	v_add_nc_u32_e32 v23, 0xffffff89, v23
	v_cndmask_b32_e64 v42, v42, 0x77, vcc_lo
	s_delay_alu instid0(VALU_DEP_2) | instskip(SKIP_1) | instid1(VALU_DEP_3)
	v_cndmask_b32_e64 v23, v23, 0xffffff8a, vcc_lo
	v_cndmask_b32_e32 v41, v43, v41, vcc_lo
	v_lshl_add_u32 v43, 0x100000, v42, -1
	v_lshlrev_b32_e64 v46, v42, 0x80000
	s_delay_alu instid0(VALU_DEP_3) | instskip(SKIP_1) | instid1(VALU_DEP_4)
	v_lshrrev_b32_e32 v44, v42, v41
	v_add_nc_u32_e32 v42, v42, v23
	v_and_b32_e32 v41, v43, v41
	s_delay_alu instid0(VALU_DEP_3) | instskip(NEXT) | instid1(VALU_DEP_2)
	v_bfe_u32 v45, v44, 20, 1
	v_cmp_eq_u32_e64 s11, v41, v46
	s_delay_alu instid0(VALU_DEP_2) | instskip(NEXT) | instid1(VALU_DEP_1)
	v_add_nc_u32_e32 v43, -1, v45
	v_cndmask_b32_e64 v41, 0, v43, s11
	v_lshrrev_b32_e32 v43, 23, v44
	s_mov_b32 s11, exec_lo
	s_delay_alu instid0(VALU_DEP_2) | instskip(NEXT) | instid1(VALU_DEP_2)
	v_add_nc_u32_e32 v41, v41, v44
	v_xor_b32_e32 v43, 1, v43
	s_delay_alu instid0(VALU_DEP_2) | instskip(NEXT) | instid1(VALU_DEP_1)
	v_and_b32_e32 v23, 0xfffff, v41
	v_add_nc_u32_e32 v41, v23, v44
                                        ; implicit-def: $vgpr23
	s_delay_alu instid0(VALU_DEP_3)
	v_cmpx_ne_u32_e64 v42, v43
	s_xor_b32 s11, exec_lo, s11
; %bb.1327:                             ;   in Loop: Header=BB6_143 Depth=2
	s_delay_alu instid0(VALU_DEP_2) | instskip(SKIP_2) | instid1(VALU_DEP_2)
	v_cmp_lt_u32_e32 vcc_lo, 0xffffff, v41
	v_sub_nc_u32_e32 v23, v42, v43
	v_cndmask_b32_e64 v42, 0, 1, vcc_lo
	v_add_co_ci_u32_e32 v23, vcc_lo, 0, v23, vcc_lo
	s_delay_alu instid0(VALU_DEP_2)
	v_lshrrev_b32_e32 v41, v42, v41
; %bb.1328:                             ;   in Loop: Header=BB6_143 Depth=2
	s_and_not1_saveexec_b32 s11, s11
; %bb.1329:                             ;   in Loop: Header=BB6_143 Depth=2
	s_delay_alu instid0(VALU_DEP_1)
	v_bfe_u32 v23, v41, 23, 1
; %bb.1330:                             ;   in Loop: Header=BB6_143 Depth=2
	s_or_b32 exec_lo, exec_lo, s11
	v_lshrrev_b32_e32 v41, 20, v41
	s_delay_alu instid0(VALU_DEP_2) | instskip(SKIP_2) | instid1(VALU_DEP_2)
	v_cmp_gt_i32_e32 vcc_lo, 16, v23
	v_lshrrev_b32_e32 v40, 24, v40
	v_min_i32_e32 v42, 15, v23
	v_dual_cndmask_b32 v41, 7, v41 :: v_dual_and_b32 v40, 0x80, v40
	s_delay_alu instid0(VALU_DEP_1) | instskip(SKIP_1) | instid1(VALU_DEP_2)
	v_or_b32_e32 v23, v23, v41
	v_and_b32_e32 v43, 7, v41
	v_cmp_ne_u32_e32 vcc_lo, 0, v23
	v_lshlrev_b32_e32 v42, 3, v42
	s_delay_alu instid0(VALU_DEP_1) | instskip(NEXT) | instid1(VALU_DEP_1)
	v_or3_b32 v40, v42, v40, v43
	v_cndmask_b32_e32 v23, 0, v40, vcc_lo
.LBB6_1331:                             ;   in Loop: Header=BB6_143 Depth=2
	s_or_b32 exec_lo, exec_lo, s27
.LBB6_1332:                             ;   in Loop: Header=BB6_143 Depth=2
	s_delay_alu instid0(SALU_CYCLE_1)
	s_or_b32 exec_lo, exec_lo, s26
	v_lshrrev_b16 v41, 8, v24
	v_lshrrev_b16 v40, 8, v20
	s_and_not1_b32 vcc_lo, exec_lo, s25
	s_cbranch_vccnz .LBB6_1342
; %bb.1333:                             ;   in Loop: Header=BB6_143 Depth=2
	s_mov_b32 s11, 0
	s_mov_b32 s27, exec_lo
                                        ; implicit-def: $sgpr26
	v_cmpx_lt_i16_e32 0x7f, v41
	s_xor_b32 s27, exec_lo, s27
	s_cbranch_execnz .LBB6_2653
; %bb.1334:                             ;   in Loop: Header=BB6_143 Depth=2
	s_or_saveexec_b32 s27, s27
	v_mov_b32_e32 v42, s26
	s_xor_b32 exec_lo, exec_lo, s27
	s_cbranch_execnz .LBB6_2656
.LBB6_1335:                             ;   in Loop: Header=BB6_143 Depth=2
	s_or_b32 exec_lo, exec_lo, s27
	s_and_saveexec_b32 s26, s11
	s_cbranch_execz .LBB6_1337
.LBB6_1336:                             ;   in Loop: Header=BB6_143 Depth=2
	v_and_b32_e32 v42, 0xffff, v41
	s_delay_alu instid0(VALU_DEP_1) | instskip(NEXT) | instid1(VALU_DEP_1)
	v_and_b32_e32 v43, 7, v42
	v_clz_i32_u32_e32 v44, v43
	s_delay_alu instid0(VALU_DEP_1) | instskip(NEXT) | instid1(VALU_DEP_1)
	v_min_u32_e32 v44, 32, v44
	v_subrev_nc_u32_e32 v45, 28, v44
	v_sub_nc_u32_e32 v44, 29, v44
	s_delay_alu instid0(VALU_DEP_2) | instskip(SKIP_1) | instid1(VALU_DEP_2)
	v_lshlrev_b32_e32 v45, v45, v42
	v_bfe_u32 v42, v42, 3, 4
	v_and_b32_e32 v45, 7, v45
	s_delay_alu instid0(VALU_DEP_2) | instskip(SKIP_1) | instid1(VALU_DEP_3)
	v_cmp_eq_u32_e32 vcc_lo, 0, v42
	v_cndmask_b32_e32 v42, v42, v44, vcc_lo
	v_dual_cndmask_b32 v43, v43, v45 :: v_dual_lshlrev_b32 v46, 16, v24
	s_delay_alu instid0(VALU_DEP_2) | instskip(NEXT) | instid1(VALU_DEP_2)
	v_lshl_add_u32 v42, v42, 23, 0x3b800000
	v_and_b32_e32 v44, 0x80000000, v46
	s_delay_alu instid0(VALU_DEP_3) | instskip(NEXT) | instid1(VALU_DEP_1)
	v_lshlrev_b32_e32 v43, 20, v43
	v_or3_b32 v42, v44, v42, v43
.LBB6_1337:                             ;   in Loop: Header=BB6_143 Depth=2
	s_or_b32 exec_lo, exec_lo, s26
	s_mov_b32 s11, 0
	s_mov_b32 s27, exec_lo
                                        ; implicit-def: $sgpr26
	v_cmpx_lt_i16_e32 0x7f, v40
	s_xor_b32 s27, exec_lo, s27
	s_cbranch_execnz .LBB6_2657
; %bb.1338:                             ;   in Loop: Header=BB6_143 Depth=2
	s_or_saveexec_b32 s27, s27
	v_mov_b32_e32 v43, s26
	s_xor_b32 exec_lo, exec_lo, s27
	s_cbranch_execnz .LBB6_2660
.LBB6_1339:                             ;   in Loop: Header=BB6_143 Depth=2
	s_or_b32 exec_lo, exec_lo, s27
	s_and_saveexec_b32 s26, s11
	s_cbranch_execz .LBB6_1341
.LBB6_1340:                             ;   in Loop: Header=BB6_143 Depth=2
	v_and_b32_e32 v43, 0xffff, v40
	v_lshlrev_b32_e32 v47, 16, v20
	s_delay_alu instid0(VALU_DEP_2) | instskip(NEXT) | instid1(VALU_DEP_1)
	v_and_b32_e32 v44, 7, v43
	v_clz_i32_u32_e32 v45, v44
	s_delay_alu instid0(VALU_DEP_1) | instskip(NEXT) | instid1(VALU_DEP_1)
	v_min_u32_e32 v45, 32, v45
	v_subrev_nc_u32_e32 v46, 28, v45
	v_sub_nc_u32_e32 v45, 29, v45
	s_delay_alu instid0(VALU_DEP_2) | instskip(SKIP_1) | instid1(VALU_DEP_2)
	v_lshlrev_b32_e32 v46, v46, v43
	v_bfe_u32 v43, v43, 3, 4
	v_and_b32_e32 v46, 7, v46
	s_delay_alu instid0(VALU_DEP_2) | instskip(NEXT) | instid1(VALU_DEP_2)
	v_cmp_eq_u32_e32 vcc_lo, 0, v43
	v_dual_cndmask_b32 v43, v43, v45 :: v_dual_cndmask_b32 v44, v44, v46
	v_and_b32_e32 v45, 0x80000000, v47
	s_delay_alu instid0(VALU_DEP_2) | instskip(NEXT) | instid1(VALU_DEP_3)
	v_lshl_add_u32 v43, v43, 23, 0x3b800000
	v_lshlrev_b32_e32 v44, 20, v44
	s_delay_alu instid0(VALU_DEP_1)
	v_or3_b32 v43, v45, v43, v44
.LBB6_1341:                             ;   in Loop: Header=BB6_143 Depth=2
	s_or_b32 exec_lo, exec_lo, s26
	s_delay_alu instid0(VALU_DEP_1) | instskip(SKIP_1) | instid1(VALU_DEP_1)
	v_dual_max_f32 v43, v43, v43 :: v_dual_max_f32 v42, v42, v42
	s_mov_b32 s11, 0
	v_max_f32_e32 v42, v42, v43
	s_branch .LBB6_1343
.LBB6_1342:                             ;   in Loop: Header=BB6_143 Depth=2
	s_mov_b32 s11, -1
                                        ; implicit-def: $vgpr42
.LBB6_1343:                             ;   in Loop: Header=BB6_143 Depth=2
	s_delay_alu instid0(SALU_CYCLE_1)
	s_and_b32 vcc_lo, exec_lo, s11
	s_cbranch_vccz .LBB6_1353
; %bb.1344:                             ;   in Loop: Header=BB6_143 Depth=2
	s_mov_b32 s11, 0
	s_mov_b32 s27, exec_lo
                                        ; implicit-def: $sgpr26
	v_cmpx_lt_i16_e32 0x7f, v41
	s_xor_b32 s27, exec_lo, s27
	s_cbranch_execnz .LBB6_2661
; %bb.1345:                             ;   in Loop: Header=BB6_143 Depth=2
	s_or_saveexec_b32 s27, s27
	v_mov_b32_e32 v42, s26
	s_xor_b32 exec_lo, exec_lo, s27
	s_cbranch_execnz .LBB6_2664
.LBB6_1346:                             ;   in Loop: Header=BB6_143 Depth=2
	s_or_b32 exec_lo, exec_lo, s27
	s_and_saveexec_b32 s26, s11
	s_cbranch_execz .LBB6_1348
.LBB6_1347:                             ;   in Loop: Header=BB6_143 Depth=2
	v_and_b32_e32 v41, 0xffff, v41
	v_lshlrev_b32_e32 v45, 16, v24
	s_delay_alu instid0(VALU_DEP_2) | instskip(NEXT) | instid1(VALU_DEP_1)
	v_and_b32_e32 v42, 7, v41
	v_clz_i32_u32_e32 v43, v42
	s_delay_alu instid0(VALU_DEP_1) | instskip(NEXT) | instid1(VALU_DEP_1)
	v_min_u32_e32 v43, 32, v43
	v_subrev_nc_u32_e32 v44, 28, v43
	v_sub_nc_u32_e32 v43, 29, v43
	s_delay_alu instid0(VALU_DEP_2) | instskip(SKIP_1) | instid1(VALU_DEP_2)
	v_lshlrev_b32_e32 v44, v44, v41
	v_bfe_u32 v41, v41, 3, 4
	v_and_b32_e32 v44, 7, v44
	s_delay_alu instid0(VALU_DEP_2) | instskip(NEXT) | instid1(VALU_DEP_2)
	v_cmp_eq_u32_e32 vcc_lo, 0, v41
	v_dual_cndmask_b32 v41, v41, v43 :: v_dual_cndmask_b32 v42, v42, v44
	v_and_b32_e32 v43, 0x80000000, v45
	s_delay_alu instid0(VALU_DEP_2) | instskip(NEXT) | instid1(VALU_DEP_3)
	v_lshl_add_u32 v41, v41, 23, 0x3b800000
	v_lshlrev_b32_e32 v42, 20, v42
	s_delay_alu instid0(VALU_DEP_1)
	v_or3_b32 v42, v43, v41, v42
.LBB6_1348:                             ;   in Loop: Header=BB6_143 Depth=2
	s_or_b32 exec_lo, exec_lo, s26
	s_mov_b32 s11, 0
	s_mov_b32 s27, exec_lo
                                        ; implicit-def: $sgpr26
	v_cmpx_lt_i16_e32 0x7f, v40
	s_xor_b32 s27, exec_lo, s27
	s_cbranch_execnz .LBB6_2665
; %bb.1349:                             ;   in Loop: Header=BB6_143 Depth=2
	s_or_saveexec_b32 s27, s27
	v_mov_b32_e32 v41, s26
	s_xor_b32 exec_lo, exec_lo, s27
	s_cbranch_execnz .LBB6_2668
.LBB6_1350:                             ;   in Loop: Header=BB6_143 Depth=2
	s_or_b32 exec_lo, exec_lo, s27
	s_and_saveexec_b32 s26, s11
	s_cbranch_execz .LBB6_1352
.LBB6_1351:                             ;   in Loop: Header=BB6_143 Depth=2
	v_and_b32_e32 v40, 0xffff, v40
	v_lshlrev_b32_e32 v45, 16, v20
	s_delay_alu instid0(VALU_DEP_2) | instskip(NEXT) | instid1(VALU_DEP_1)
	v_and_b32_e32 v41, 7, v40
	v_clz_i32_u32_e32 v43, v41
	s_delay_alu instid0(VALU_DEP_1) | instskip(NEXT) | instid1(VALU_DEP_1)
	v_min_u32_e32 v43, 32, v43
	v_subrev_nc_u32_e32 v44, 28, v43
	v_sub_nc_u32_e32 v43, 29, v43
	s_delay_alu instid0(VALU_DEP_2) | instskip(SKIP_1) | instid1(VALU_DEP_2)
	v_lshlrev_b32_e32 v44, v44, v40
	v_bfe_u32 v40, v40, 3, 4
	v_and_b32_e32 v44, 7, v44
	s_delay_alu instid0(VALU_DEP_2) | instskip(NEXT) | instid1(VALU_DEP_2)
	v_cmp_eq_u32_e32 vcc_lo, 0, v40
	v_dual_cndmask_b32 v40, v40, v43 :: v_dual_cndmask_b32 v41, v41, v44
	v_and_b32_e32 v43, 0x80000000, v45
	s_delay_alu instid0(VALU_DEP_2) | instskip(NEXT) | instid1(VALU_DEP_3)
	v_lshl_add_u32 v40, v40, 23, 0x3b800000
	v_lshlrev_b32_e32 v41, 20, v41
	s_delay_alu instid0(VALU_DEP_1)
	v_or3_b32 v41, v43, v40, v41
.LBB6_1352:                             ;   in Loop: Header=BB6_143 Depth=2
	s_or_b32 exec_lo, exec_lo, s26
	s_delay_alu instid0(VALU_DEP_1) | instskip(NEXT) | instid1(VALU_DEP_1)
	v_dual_max_f32 v40, v41, v41 :: v_dual_max_f32 v41, v42, v42
	v_min_f32_e32 v42, v41, v40
.LBB6_1353:                             ;   in Loop: Header=BB6_143 Depth=2
	s_delay_alu instid0(VALU_DEP_1) | instskip(NEXT) | instid1(VALU_DEP_1)
	v_and_b32_e32 v40, 0x7f800000, v42
	v_cmp_ne_u32_e32 vcc_lo, 0x7f800000, v40
	v_mov_b32_e32 v40, 0x80
	s_and_saveexec_b32 s26, vcc_lo
	s_cbranch_execz .LBB6_1361
; %bb.1354:                             ;   in Loop: Header=BB6_143 Depth=2
	v_mov_b32_e32 v40, 0
	s_mov_b32 s27, exec_lo
	v_cmpx_ne_u32_e32 0, v42
	s_cbranch_execz .LBB6_1360
; %bb.1355:                             ;   in Loop: Header=BB6_143 Depth=2
	v_bfe_u32 v40, v42, 23, 8
	v_and_b32_e32 v41, 0x7fffff, v42
	s_delay_alu instid0(VALU_DEP_2) | instskip(SKIP_1) | instid1(VALU_DEP_3)
	v_sub_nc_u32_e32 v43, 0x78, v40
	v_cmp_gt_u32_e32 vcc_lo, 0x79, v40
	v_or_b32_e32 v44, 0x800000, v41
	s_delay_alu instid0(VALU_DEP_3) | instskip(SKIP_2) | instid1(VALU_DEP_3)
	v_cndmask_b32_e32 v43, 0, v43, vcc_lo
	v_cmp_eq_u32_e32 vcc_lo, 0, v40
	v_add_nc_u32_e32 v40, 0xffffff89, v40
	v_cndmask_b32_e64 v43, v43, 0x77, vcc_lo
	v_cndmask_b32_e32 v41, v44, v41, vcc_lo
	s_delay_alu instid0(VALU_DEP_3) | instskip(NEXT) | instid1(VALU_DEP_3)
	v_cndmask_b32_e64 v40, v40, 0xffffff8a, vcc_lo
	v_lshl_add_u32 v44, 0x100000, v43, -1
	s_delay_alu instid0(VALU_DEP_3) | instskip(SKIP_1) | instid1(VALU_DEP_4)
	v_lshrrev_b32_e32 v45, v43, v41
	v_lshlrev_b32_e64 v47, v43, 0x80000
	v_add_nc_u32_e32 v43, v43, v40
	s_delay_alu instid0(VALU_DEP_4) | instskip(NEXT) | instid1(VALU_DEP_4)
	v_and_b32_e32 v41, v44, v41
	v_bfe_u32 v46, v45, 20, 1
	s_delay_alu instid0(VALU_DEP_2) | instskip(NEXT) | instid1(VALU_DEP_2)
	v_cmp_eq_u32_e64 s11, v41, v47
	v_add_nc_u32_e32 v44, -1, v46
	s_delay_alu instid0(VALU_DEP_1) | instskip(SKIP_2) | instid1(VALU_DEP_2)
	v_cndmask_b32_e64 v41, 0, v44, s11
	v_lshrrev_b32_e32 v44, 23, v45
	s_mov_b32 s11, exec_lo
	v_add_nc_u32_e32 v41, v41, v45
	s_delay_alu instid0(VALU_DEP_2) | instskip(NEXT) | instid1(VALU_DEP_2)
	v_xor_b32_e32 v44, 1, v44
	v_and_b32_e32 v40, 0xfffff, v41
	s_delay_alu instid0(VALU_DEP_1) | instskip(NEXT) | instid1(VALU_DEP_3)
	v_add_nc_u32_e32 v41, v40, v45
                                        ; implicit-def: $vgpr40
	v_cmpx_ne_u32_e64 v43, v44
	s_xor_b32 s11, exec_lo, s11
; %bb.1356:                             ;   in Loop: Header=BB6_143 Depth=2
	s_delay_alu instid0(VALU_DEP_2) | instskip(SKIP_2) | instid1(VALU_DEP_2)
	v_cmp_lt_u32_e32 vcc_lo, 0xffffff, v41
	v_sub_nc_u32_e32 v40, v43, v44
	v_cndmask_b32_e64 v43, 0, 1, vcc_lo
	v_add_co_ci_u32_e32 v40, vcc_lo, 0, v40, vcc_lo
	s_delay_alu instid0(VALU_DEP_2)
	v_lshrrev_b32_e32 v41, v43, v41
; %bb.1357:                             ;   in Loop: Header=BB6_143 Depth=2
	s_and_not1_saveexec_b32 s11, s11
; %bb.1358:                             ;   in Loop: Header=BB6_143 Depth=2
	s_delay_alu instid0(VALU_DEP_1)
	v_bfe_u32 v40, v41, 23, 1
; %bb.1359:                             ;   in Loop: Header=BB6_143 Depth=2
	s_or_b32 exec_lo, exec_lo, s11
	v_lshrrev_b32_e32 v41, 20, v41
	s_delay_alu instid0(VALU_DEP_2) | instskip(SKIP_2) | instid1(VALU_DEP_2)
	v_cmp_gt_i32_e32 vcc_lo, 16, v40
	v_lshrrev_b32_e32 v42, 24, v42
	v_min_i32_e32 v43, 15, v40
	v_dual_cndmask_b32 v41, 7, v41 :: v_dual_and_b32 v42, 0x80, v42
	s_delay_alu instid0(VALU_DEP_1) | instskip(SKIP_1) | instid1(VALU_DEP_2)
	v_or_b32_e32 v40, v40, v41
	v_and_b32_e32 v44, 7, v41
	v_cmp_ne_u32_e32 vcc_lo, 0, v40
	v_lshlrev_b32_e32 v43, 3, v43
	s_delay_alu instid0(VALU_DEP_1) | instskip(NEXT) | instid1(VALU_DEP_1)
	v_or3_b32 v41, v43, v42, v44
	v_cndmask_b32_e32 v40, 0, v41, vcc_lo
.LBB6_1360:                             ;   in Loop: Header=BB6_143 Depth=2
	s_or_b32 exec_lo, exec_lo, s27
.LBB6_1361:                             ;   in Loop: Header=BB6_143 Depth=2
	s_delay_alu instid0(SALU_CYCLE_1)
	s_or_b32 exec_lo, exec_lo, s26
	v_lshrrev_b32_e32 v42, 16, v24
	v_lshrrev_b32_e32 v41, 16, v20
	s_and_not1_b32 vcc_lo, exec_lo, s25
	s_cbranch_vccnz .LBB6_1371
; %bb.1362:                             ;   in Loop: Header=BB6_143 Depth=2
	s_delay_alu instid0(VALU_DEP_2) | instskip(SKIP_2) | instid1(VALU_DEP_1)
	v_and_b32_e32 v44, 0xff, v42
	s_mov_b32 s11, 0
	s_mov_b32 s27, exec_lo
                                        ; implicit-def: $sgpr26
	v_cmpx_lt_i16_e32 0x7f, v44
	s_xor_b32 s27, exec_lo, s27
	s_cbranch_execnz .LBB6_2669
; %bb.1363:                             ;   in Loop: Header=BB6_143 Depth=2
	s_or_saveexec_b32 s27, s27
	v_mov_b32_e32 v43, s26
	s_xor_b32 exec_lo, exec_lo, s27
	s_cbranch_execnz .LBB6_2672
.LBB6_1364:                             ;   in Loop: Header=BB6_143 Depth=2
	s_or_b32 exec_lo, exec_lo, s27
	s_and_saveexec_b32 s26, s11
	s_cbranch_execz .LBB6_1366
.LBB6_1365:                             ;   in Loop: Header=BB6_143 Depth=2
	v_bfe_u32 v43, v24, 16, 3
	v_bfe_u32 v46, v24, 19, 4
	v_lshlrev_b32_e32 v47, 24, v42
	s_delay_alu instid0(VALU_DEP_3) | instskip(NEXT) | instid1(VALU_DEP_3)
	v_clz_i32_u32_e32 v44, v43
	v_cmp_eq_u32_e32 vcc_lo, 0, v46
	s_delay_alu instid0(VALU_DEP_2) | instskip(NEXT) | instid1(VALU_DEP_1)
	v_min_u32_e32 v44, 32, v44
	v_subrev_nc_u32_e32 v45, 28, v44
	v_sub_nc_u32_e32 v44, 29, v44
	s_delay_alu instid0(VALU_DEP_1) | instskip(NEXT) | instid1(VALU_DEP_1)
	v_dual_cndmask_b32 v44, v46, v44 :: v_dual_lshlrev_b32 v45, v45, v42
	v_and_b32_e32 v45, 7, v45
	s_delay_alu instid0(VALU_DEP_2) | instskip(NEXT) | instid1(VALU_DEP_2)
	v_lshl_add_u32 v44, v44, 23, 0x3b800000
	v_cndmask_b32_e32 v43, v43, v45, vcc_lo
	v_and_b32_e32 v45, 0x80000000, v47
	s_delay_alu instid0(VALU_DEP_2) | instskip(NEXT) | instid1(VALU_DEP_1)
	v_lshlrev_b32_e32 v43, 20, v43
	v_or3_b32 v43, v45, v44, v43
.LBB6_1366:                             ;   in Loop: Header=BB6_143 Depth=2
	s_or_b32 exec_lo, exec_lo, s26
	v_and_b32_e32 v45, 0xff, v41
	s_mov_b32 s11, 0
	s_mov_b32 s27, exec_lo
                                        ; implicit-def: $sgpr26
	s_delay_alu instid0(VALU_DEP_1)
	v_cmpx_lt_i16_e32 0x7f, v45
	s_xor_b32 s27, exec_lo, s27
	s_cbranch_execnz .LBB6_2673
; %bb.1367:                             ;   in Loop: Header=BB6_143 Depth=2
	s_or_saveexec_b32 s27, s27
	v_mov_b32_e32 v44, s26
	s_xor_b32 exec_lo, exec_lo, s27
	s_cbranch_execnz .LBB6_2676
.LBB6_1368:                             ;   in Loop: Header=BB6_143 Depth=2
	s_or_b32 exec_lo, exec_lo, s27
	s_and_saveexec_b32 s26, s11
	s_cbranch_execz .LBB6_1370
.LBB6_1369:                             ;   in Loop: Header=BB6_143 Depth=2
	v_bfe_u32 v44, v20, 16, 3
	v_bfe_u32 v47, v20, 19, 4
	v_lshlrev_b32_e32 v56, 24, v41
	s_delay_alu instid0(VALU_DEP_3) | instskip(NEXT) | instid1(VALU_DEP_3)
	v_clz_i32_u32_e32 v45, v44
	v_cmp_eq_u32_e32 vcc_lo, 0, v47
	s_delay_alu instid0(VALU_DEP_2) | instskip(NEXT) | instid1(VALU_DEP_1)
	v_min_u32_e32 v45, 32, v45
	v_subrev_nc_u32_e32 v46, 28, v45
	v_sub_nc_u32_e32 v45, 29, v45
	s_delay_alu instid0(VALU_DEP_2) | instskip(NEXT) | instid1(VALU_DEP_1)
	v_lshlrev_b32_e32 v46, v46, v41
	v_dual_cndmask_b32 v45, v47, v45 :: v_dual_and_b32 v46, 7, v46
	s_delay_alu instid0(VALU_DEP_1) | instskip(NEXT) | instid1(VALU_DEP_2)
	v_lshl_add_u32 v45, v45, 23, 0x3b800000
	v_cndmask_b32_e32 v44, v44, v46, vcc_lo
	v_and_b32_e32 v46, 0x80000000, v56
	s_delay_alu instid0(VALU_DEP_2) | instskip(NEXT) | instid1(VALU_DEP_1)
	v_lshlrev_b32_e32 v44, 20, v44
	v_or3_b32 v44, v46, v45, v44
.LBB6_1370:                             ;   in Loop: Header=BB6_143 Depth=2
	s_or_b32 exec_lo, exec_lo, s26
	s_delay_alu instid0(VALU_DEP_1) | instskip(SKIP_1) | instid1(VALU_DEP_1)
	v_dual_max_f32 v44, v44, v44 :: v_dual_max_f32 v43, v43, v43
	s_mov_b32 s11, 0
	v_max_f32_e32 v43, v43, v44
	s_branch .LBB6_1372
.LBB6_1371:                             ;   in Loop: Header=BB6_143 Depth=2
	s_mov_b32 s11, -1
                                        ; implicit-def: $vgpr43
.LBB6_1372:                             ;   in Loop: Header=BB6_143 Depth=2
	s_delay_alu instid0(SALU_CYCLE_1)
	s_and_b32 vcc_lo, exec_lo, s11
	s_cbranch_vccz .LBB6_1382
; %bb.1373:                             ;   in Loop: Header=BB6_143 Depth=2
	v_and_b32_e32 v44, 0xff, v42
	s_mov_b32 s11, 0
	s_mov_b32 s27, exec_lo
                                        ; implicit-def: $sgpr26
	s_delay_alu instid0(VALU_DEP_1)
	v_cmpx_lt_i16_e32 0x7f, v44
	s_xor_b32 s27, exec_lo, s27
	s_cbranch_execnz .LBB6_2677
; %bb.1374:                             ;   in Loop: Header=BB6_143 Depth=2
	s_or_saveexec_b32 s27, s27
	v_mov_b32_e32 v43, s26
	s_xor_b32 exec_lo, exec_lo, s27
	s_cbranch_execnz .LBB6_2680
.LBB6_1375:                             ;   in Loop: Header=BB6_143 Depth=2
	s_or_b32 exec_lo, exec_lo, s27
	s_and_saveexec_b32 s26, s11
	s_cbranch_execz .LBB6_1377
.LBB6_1376:                             ;   in Loop: Header=BB6_143 Depth=2
	v_bfe_u32 v43, v24, 16, 3
	v_bfe_u32 v46, v24, 19, 4
	s_delay_alu instid0(VALU_DEP_2) | instskip(NEXT) | instid1(VALU_DEP_2)
	v_clz_i32_u32_e32 v44, v43
	v_cmp_eq_u32_e32 vcc_lo, 0, v46
	s_delay_alu instid0(VALU_DEP_2) | instskip(NEXT) | instid1(VALU_DEP_1)
	v_min_u32_e32 v44, 32, v44
	v_subrev_nc_u32_e32 v45, 28, v44
	v_sub_nc_u32_e32 v44, 29, v44
	s_delay_alu instid0(VALU_DEP_1) | instskip(NEXT) | instid1(VALU_DEP_1)
	v_dual_cndmask_b32 v44, v46, v44 :: v_dual_lshlrev_b32 v45, v45, v42
	v_and_b32_e32 v45, 7, v45
	v_lshlrev_b32_e32 v42, 24, v42
	s_delay_alu instid0(VALU_DEP_3) | instskip(NEXT) | instid1(VALU_DEP_2)
	v_lshl_add_u32 v44, v44, 23, 0x3b800000
	v_dual_cndmask_b32 v43, v43, v45 :: v_dual_and_b32 v42, 0x80000000, v42
	s_delay_alu instid0(VALU_DEP_1) | instskip(NEXT) | instid1(VALU_DEP_1)
	v_lshlrev_b32_e32 v43, 20, v43
	v_or3_b32 v43, v42, v44, v43
.LBB6_1377:                             ;   in Loop: Header=BB6_143 Depth=2
	s_or_b32 exec_lo, exec_lo, s26
	v_and_b32_e32 v44, 0xff, v41
	s_mov_b32 s11, 0
	s_mov_b32 s27, exec_lo
                                        ; implicit-def: $sgpr26
	s_delay_alu instid0(VALU_DEP_1)
	v_cmpx_lt_i16_e32 0x7f, v44
	s_xor_b32 s27, exec_lo, s27
	s_cbranch_execnz .LBB6_2681
; %bb.1378:                             ;   in Loop: Header=BB6_143 Depth=2
	s_or_saveexec_b32 s27, s27
	v_mov_b32_e32 v42, s26
	s_xor_b32 exec_lo, exec_lo, s27
	s_cbranch_execnz .LBB6_2684
.LBB6_1379:                             ;   in Loop: Header=BB6_143 Depth=2
	s_or_b32 exec_lo, exec_lo, s27
	s_and_saveexec_b32 s26, s11
	s_cbranch_execz .LBB6_1381
.LBB6_1380:                             ;   in Loop: Header=BB6_143 Depth=2
	v_bfe_u32 v42, v20, 16, 3
	v_bfe_u32 v46, v20, 19, 4
	s_delay_alu instid0(VALU_DEP_2) | instskip(NEXT) | instid1(VALU_DEP_2)
	v_clz_i32_u32_e32 v44, v42
	v_cmp_eq_u32_e32 vcc_lo, 0, v46
	s_delay_alu instid0(VALU_DEP_2) | instskip(NEXT) | instid1(VALU_DEP_1)
	v_min_u32_e32 v44, 32, v44
	v_subrev_nc_u32_e32 v45, 28, v44
	v_sub_nc_u32_e32 v44, 29, v44
	s_delay_alu instid0(VALU_DEP_1) | instskip(SKIP_1) | instid1(VALU_DEP_2)
	v_dual_cndmask_b32 v44, v46, v44 :: v_dual_lshlrev_b32 v45, v45, v41
	v_lshlrev_b32_e32 v41, 24, v41
	v_and_b32_e32 v45, 7, v45
	s_delay_alu instid0(VALU_DEP_3) | instskip(NEXT) | instid1(VALU_DEP_3)
	v_lshl_add_u32 v44, v44, 23, 0x3b800000
	v_and_b32_e32 v41, 0x80000000, v41
	s_delay_alu instid0(VALU_DEP_3) | instskip(NEXT) | instid1(VALU_DEP_1)
	v_cndmask_b32_e32 v42, v42, v45, vcc_lo
	v_lshlrev_b32_e32 v42, 20, v42
	s_delay_alu instid0(VALU_DEP_1)
	v_or3_b32 v42, v41, v44, v42
.LBB6_1381:                             ;   in Loop: Header=BB6_143 Depth=2
	s_or_b32 exec_lo, exec_lo, s26
	s_delay_alu instid0(VALU_DEP_1) | instskip(NEXT) | instid1(VALU_DEP_1)
	v_dual_max_f32 v41, v42, v42 :: v_dual_max_f32 v42, v43, v43
	v_min_f32_e32 v43, v42, v41
.LBB6_1382:                             ;   in Loop: Header=BB6_143 Depth=2
	s_delay_alu instid0(VALU_DEP_1) | instskip(NEXT) | instid1(VALU_DEP_1)
	v_and_b32_e32 v41, 0x7f800000, v43
	v_cmp_ne_u32_e32 vcc_lo, 0x7f800000, v41
	v_mov_b32_e32 v41, 0x80
	s_and_saveexec_b32 s26, vcc_lo
	s_cbranch_execz .LBB6_1390
; %bb.1383:                             ;   in Loop: Header=BB6_143 Depth=2
	v_mov_b32_e32 v41, 0
	s_mov_b32 s27, exec_lo
	v_cmpx_ne_u32_e32 0, v43
	s_cbranch_execz .LBB6_1389
; %bb.1384:                             ;   in Loop: Header=BB6_143 Depth=2
	v_bfe_u32 v41, v43, 23, 8
	v_and_b32_e32 v42, 0x7fffff, v43
	s_delay_alu instid0(VALU_DEP_2) | instskip(SKIP_1) | instid1(VALU_DEP_3)
	v_sub_nc_u32_e32 v44, 0x78, v41
	v_cmp_gt_u32_e32 vcc_lo, 0x79, v41
	v_or_b32_e32 v45, 0x800000, v42
	s_delay_alu instid0(VALU_DEP_3) | instskip(SKIP_2) | instid1(VALU_DEP_3)
	v_cndmask_b32_e32 v44, 0, v44, vcc_lo
	v_cmp_eq_u32_e32 vcc_lo, 0, v41
	v_add_nc_u32_e32 v41, 0xffffff89, v41
	v_cndmask_b32_e64 v44, v44, 0x77, vcc_lo
	v_cndmask_b32_e32 v42, v45, v42, vcc_lo
	s_delay_alu instid0(VALU_DEP_3) | instskip(NEXT) | instid1(VALU_DEP_3)
	v_cndmask_b32_e64 v41, v41, 0xffffff8a, vcc_lo
	v_lshl_add_u32 v45, 0x100000, v44, -1
	s_delay_alu instid0(VALU_DEP_3) | instskip(SKIP_1) | instid1(VALU_DEP_4)
	v_lshrrev_b32_e32 v46, v44, v42
	v_lshlrev_b32_e64 v56, v44, 0x80000
	v_add_nc_u32_e32 v44, v44, v41
	s_delay_alu instid0(VALU_DEP_4) | instskip(NEXT) | instid1(VALU_DEP_4)
	v_and_b32_e32 v42, v45, v42
	v_bfe_u32 v47, v46, 20, 1
	s_delay_alu instid0(VALU_DEP_2) | instskip(NEXT) | instid1(VALU_DEP_2)
	v_cmp_eq_u32_e64 s11, v42, v56
	v_add_nc_u32_e32 v45, -1, v47
	s_delay_alu instid0(VALU_DEP_1) | instskip(SKIP_2) | instid1(VALU_DEP_2)
	v_cndmask_b32_e64 v42, 0, v45, s11
	v_lshrrev_b32_e32 v45, 23, v46
	s_mov_b32 s11, exec_lo
	v_add_nc_u32_e32 v42, v42, v46
	s_delay_alu instid0(VALU_DEP_2) | instskip(NEXT) | instid1(VALU_DEP_2)
	v_xor_b32_e32 v45, 1, v45
	v_and_b32_e32 v41, 0xfffff, v42
	s_delay_alu instid0(VALU_DEP_1) | instskip(NEXT) | instid1(VALU_DEP_3)
	v_add_nc_u32_e32 v42, v41, v46
                                        ; implicit-def: $vgpr41
	v_cmpx_ne_u32_e64 v44, v45
	s_xor_b32 s11, exec_lo, s11
; %bb.1385:                             ;   in Loop: Header=BB6_143 Depth=2
	s_delay_alu instid0(VALU_DEP_2) | instskip(SKIP_2) | instid1(VALU_DEP_2)
	v_cmp_lt_u32_e32 vcc_lo, 0xffffff, v42
	v_sub_nc_u32_e32 v41, v44, v45
	v_cndmask_b32_e64 v44, 0, 1, vcc_lo
	v_add_co_ci_u32_e32 v41, vcc_lo, 0, v41, vcc_lo
	s_delay_alu instid0(VALU_DEP_2)
	v_lshrrev_b32_e32 v42, v44, v42
; %bb.1386:                             ;   in Loop: Header=BB6_143 Depth=2
	s_and_not1_saveexec_b32 s11, s11
; %bb.1387:                             ;   in Loop: Header=BB6_143 Depth=2
	s_delay_alu instid0(VALU_DEP_1)
	v_bfe_u32 v41, v42, 23, 1
; %bb.1388:                             ;   in Loop: Header=BB6_143 Depth=2
	s_or_b32 exec_lo, exec_lo, s11
	v_lshrrev_b32_e32 v42, 20, v42
	s_delay_alu instid0(VALU_DEP_2) | instskip(SKIP_2) | instid1(VALU_DEP_2)
	v_cmp_gt_i32_e32 vcc_lo, 16, v41
	v_lshrrev_b32_e32 v43, 24, v43
	v_min_i32_e32 v44, 15, v41
	v_dual_cndmask_b32 v42, 7, v42 :: v_dual_and_b32 v43, 0x80, v43
	s_delay_alu instid0(VALU_DEP_1) | instskip(SKIP_1) | instid1(VALU_DEP_2)
	v_or_b32_e32 v41, v41, v42
	v_and_b32_e32 v45, 7, v42
	v_cmp_ne_u32_e32 vcc_lo, 0, v41
	v_lshlrev_b32_e32 v44, 3, v44
	s_delay_alu instid0(VALU_DEP_1) | instskip(NEXT) | instid1(VALU_DEP_1)
	v_or3_b32 v42, v44, v43, v45
	v_cndmask_b32_e32 v41, 0, v42, vcc_lo
.LBB6_1389:                             ;   in Loop: Header=BB6_143 Depth=2
	s_or_b32 exec_lo, exec_lo, s27
.LBB6_1390:                             ;   in Loop: Header=BB6_143 Depth=2
	s_delay_alu instid0(SALU_CYCLE_1)
	s_or_b32 exec_lo, exec_lo, s26
	v_lshrrev_b32_e32 v43, 24, v24
	v_lshrrev_b32_e32 v42, 24, v20
	s_and_not1_b32 vcc_lo, exec_lo, s25
	s_cbranch_vccnz .LBB6_1400
; %bb.1391:                             ;   in Loop: Header=BB6_143 Depth=2
	s_mov_b32 s11, 0
	s_mov_b32 s27, exec_lo
                                        ; implicit-def: $sgpr26
	v_cmpx_lt_i16_e32 0x7f, v43
	s_xor_b32 s27, exec_lo, s27
	s_cbranch_execnz .LBB6_2685
; %bb.1392:                             ;   in Loop: Header=BB6_143 Depth=2
	s_or_saveexec_b32 s27, s27
	v_mov_b32_e32 v44, s26
	s_xor_b32 exec_lo, exec_lo, s27
	s_cbranch_execnz .LBB6_2688
.LBB6_1393:                             ;   in Loop: Header=BB6_143 Depth=2
	s_or_b32 exec_lo, exec_lo, s27
	s_and_saveexec_b32 s26, s11
	s_cbranch_execz .LBB6_1395
.LBB6_1394:                             ;   in Loop: Header=BB6_143 Depth=2
	v_bfe_u32 v44, v24, 24, 3
	v_bfe_u32 v47, v24, 27, 4
	s_delay_alu instid0(VALU_DEP_2) | instskip(NEXT) | instid1(VALU_DEP_2)
	v_clz_i32_u32_e32 v45, v44
	v_cmp_eq_u32_e32 vcc_lo, 0, v47
	s_delay_alu instid0(VALU_DEP_2) | instskip(NEXT) | instid1(VALU_DEP_1)
	v_min_u32_e32 v45, 32, v45
	v_subrev_nc_u32_e32 v46, 28, v45
	v_sub_nc_u32_e32 v45, 29, v45
	s_delay_alu instid0(VALU_DEP_1) | instskip(NEXT) | instid1(VALU_DEP_1)
	v_dual_cndmask_b32 v45, v47, v45 :: v_dual_lshlrev_b32 v46, v46, v43
	v_and_b32_e32 v46, 7, v46
	s_delay_alu instid0(VALU_DEP_2) | instskip(NEXT) | instid1(VALU_DEP_2)
	v_lshl_add_u32 v45, v45, 23, 0x3b800000
	v_cndmask_b32_e32 v44, v44, v46, vcc_lo
	v_and_b32_e32 v46, 0x80000000, v24
	s_delay_alu instid0(VALU_DEP_2) | instskip(NEXT) | instid1(VALU_DEP_1)
	v_lshlrev_b32_e32 v44, 20, v44
	v_or3_b32 v44, v46, v45, v44
.LBB6_1395:                             ;   in Loop: Header=BB6_143 Depth=2
	s_or_b32 exec_lo, exec_lo, s26
	s_mov_b32 s11, 0
	s_mov_b32 s27, exec_lo
                                        ; implicit-def: $sgpr26
	v_cmpx_lt_i16_e32 0x7f, v42
	s_xor_b32 s27, exec_lo, s27
	s_cbranch_execnz .LBB6_2689
; %bb.1396:                             ;   in Loop: Header=BB6_143 Depth=2
	s_or_saveexec_b32 s27, s27
	v_mov_b32_e32 v45, s26
	s_xor_b32 exec_lo, exec_lo, s27
	s_cbranch_execnz .LBB6_2692
.LBB6_1397:                             ;   in Loop: Header=BB6_143 Depth=2
	s_or_b32 exec_lo, exec_lo, s27
	s_and_saveexec_b32 s26, s11
	s_cbranch_execz .LBB6_1399
.LBB6_1398:                             ;   in Loop: Header=BB6_143 Depth=2
	v_bfe_u32 v45, v20, 24, 3
	v_bfe_u32 v56, v20, 27, 4
	s_delay_alu instid0(VALU_DEP_2) | instskip(NEXT) | instid1(VALU_DEP_2)
	v_clz_i32_u32_e32 v46, v45
	v_cmp_eq_u32_e32 vcc_lo, 0, v56
	s_delay_alu instid0(VALU_DEP_2) | instskip(NEXT) | instid1(VALU_DEP_1)
	v_min_u32_e32 v46, 32, v46
	v_subrev_nc_u32_e32 v47, 28, v46
	v_sub_nc_u32_e32 v46, 29, v46
	s_delay_alu instid0(VALU_DEP_2) | instskip(NEXT) | instid1(VALU_DEP_1)
	v_lshlrev_b32_e32 v47, v47, v42
	v_dual_cndmask_b32 v46, v56, v46 :: v_dual_and_b32 v47, 7, v47
	s_delay_alu instid0(VALU_DEP_1) | instskip(NEXT) | instid1(VALU_DEP_2)
	v_lshl_add_u32 v46, v46, 23, 0x3b800000
	v_cndmask_b32_e32 v45, v45, v47, vcc_lo
	v_and_b32_e32 v47, 0x80000000, v20
	s_delay_alu instid0(VALU_DEP_2) | instskip(NEXT) | instid1(VALU_DEP_1)
	v_lshlrev_b32_e32 v45, 20, v45
	v_or3_b32 v45, v47, v46, v45
.LBB6_1399:                             ;   in Loop: Header=BB6_143 Depth=2
	s_or_b32 exec_lo, exec_lo, s26
	s_delay_alu instid0(VALU_DEP_1) | instskip(SKIP_1) | instid1(VALU_DEP_1)
	v_dual_max_f32 v45, v45, v45 :: v_dual_max_f32 v44, v44, v44
	s_mov_b32 s11, 0
	v_max_f32_e32 v44, v44, v45
	s_branch .LBB6_1401
.LBB6_1400:                             ;   in Loop: Header=BB6_143 Depth=2
	s_mov_b32 s11, -1
                                        ; implicit-def: $vgpr44
.LBB6_1401:                             ;   in Loop: Header=BB6_143 Depth=2
	s_delay_alu instid0(SALU_CYCLE_1)
	s_and_b32 vcc_lo, exec_lo, s11
	s_cbranch_vccz .LBB6_1411
; %bb.1402:                             ;   in Loop: Header=BB6_143 Depth=2
	s_mov_b32 s11, 0
	s_mov_b32 s27, exec_lo
                                        ; implicit-def: $sgpr26
	v_cmpx_lt_i16_e32 0x7f, v43
	s_xor_b32 s27, exec_lo, s27
	s_cbranch_execnz .LBB6_2693
; %bb.1403:                             ;   in Loop: Header=BB6_143 Depth=2
	s_or_saveexec_b32 s27, s27
	v_mov_b32_e32 v44, s26
	s_xor_b32 exec_lo, exec_lo, s27
	s_cbranch_execnz .LBB6_2696
.LBB6_1404:                             ;   in Loop: Header=BB6_143 Depth=2
	s_or_b32 exec_lo, exec_lo, s27
	s_and_saveexec_b32 s26, s11
	s_cbranch_execz .LBB6_1406
.LBB6_1405:                             ;   in Loop: Header=BB6_143 Depth=2
	v_bfe_u32 v44, v24, 24, 3
	s_delay_alu instid0(VALU_DEP_1) | instskip(NEXT) | instid1(VALU_DEP_1)
	v_clz_i32_u32_e32 v45, v44
	v_min_u32_e32 v45, 32, v45
	s_delay_alu instid0(VALU_DEP_1) | instskip(SKIP_1) | instid1(VALU_DEP_2)
	v_subrev_nc_u32_e32 v46, 28, v45
	v_sub_nc_u32_e32 v45, 29, v45
	v_lshlrev_b32_e32 v43, v46, v43
	v_bfe_u32 v46, v24, 27, 4
	v_and_b32_e32 v24, 0x80000000, v24
	s_delay_alu instid0(VALU_DEP_3) | instskip(NEXT) | instid1(VALU_DEP_3)
	v_and_b32_e32 v43, 7, v43
	v_cmp_eq_u32_e32 vcc_lo, 0, v46
	v_cndmask_b32_e32 v45, v46, v45, vcc_lo
	s_delay_alu instid0(VALU_DEP_3) | instskip(NEXT) | instid1(VALU_DEP_2)
	v_cndmask_b32_e32 v43, v44, v43, vcc_lo
	v_lshl_add_u32 v44, v45, 23, 0x3b800000
	s_delay_alu instid0(VALU_DEP_2) | instskip(NEXT) | instid1(VALU_DEP_1)
	v_lshlrev_b32_e32 v43, 20, v43
	v_or3_b32 v44, v24, v44, v43
.LBB6_1406:                             ;   in Loop: Header=BB6_143 Depth=2
	s_or_b32 exec_lo, exec_lo, s26
	s_mov_b32 s11, 0
	s_mov_b32 s27, exec_lo
                                        ; implicit-def: $sgpr26
	v_cmpx_lt_i16_e32 0x7f, v42
	s_xor_b32 s27, exec_lo, s27
	s_cbranch_execnz .LBB6_2697
; %bb.1407:                             ;   in Loop: Header=BB6_143 Depth=2
	s_or_saveexec_b32 s27, s27
	v_mov_b32_e32 v24, s26
	s_xor_b32 exec_lo, exec_lo, s27
	s_cbranch_execnz .LBB6_2700
.LBB6_1408:                             ;   in Loop: Header=BB6_143 Depth=2
	s_or_b32 exec_lo, exec_lo, s27
	s_and_saveexec_b32 s26, s11
	s_cbranch_execz .LBB6_1410
.LBB6_1409:                             ;   in Loop: Header=BB6_143 Depth=2
	v_bfe_u32 v24, v20, 24, 3
	s_delay_alu instid0(VALU_DEP_1) | instskip(NEXT) | instid1(VALU_DEP_1)
	v_clz_i32_u32_e32 v43, v24
	v_min_u32_e32 v43, 32, v43
	s_delay_alu instid0(VALU_DEP_1) | instskip(SKIP_1) | instid1(VALU_DEP_2)
	v_subrev_nc_u32_e32 v45, 28, v43
	v_sub_nc_u32_e32 v43, 29, v43
	v_lshlrev_b32_e32 v42, v45, v42
	v_bfe_u32 v45, v20, 27, 4
	v_and_b32_e32 v20, 0x80000000, v20
	s_delay_alu instid0(VALU_DEP_2) | instskip(NEXT) | instid1(VALU_DEP_4)
	v_cmp_eq_u32_e32 vcc_lo, 0, v45
	v_dual_cndmask_b32 v43, v45, v43 :: v_dual_and_b32 v42, 7, v42
	s_delay_alu instid0(VALU_DEP_1) | instskip(NEXT) | instid1(VALU_DEP_2)
	v_cndmask_b32_e32 v24, v24, v42, vcc_lo
	v_lshl_add_u32 v42, v43, 23, 0x3b800000
	s_delay_alu instid0(VALU_DEP_2) | instskip(NEXT) | instid1(VALU_DEP_1)
	v_lshlrev_b32_e32 v24, 20, v24
	v_or3_b32 v24, v20, v42, v24
.LBB6_1410:                             ;   in Loop: Header=BB6_143 Depth=2
	s_or_b32 exec_lo, exec_lo, s26
	s_delay_alu instid0(VALU_DEP_1) | instskip(SKIP_1) | instid1(VALU_DEP_1)
	v_max_f32_e32 v20, v24, v24
	v_max_f32_e32 v24, v44, v44
	v_min_f32_e32 v44, v24, v20
.LBB6_1411:                             ;   in Loop: Header=BB6_143 Depth=2
	s_delay_alu instid0(VALU_DEP_1) | instskip(NEXT) | instid1(VALU_DEP_1)
	v_and_b32_e32 v20, 0x7f800000, v44
	v_cmp_ne_u32_e32 vcc_lo, 0x7f800000, v20
	v_mov_b32_e32 v20, 0x80
	s_and_saveexec_b32 s26, vcc_lo
	s_cbranch_execz .LBB6_1419
; %bb.1412:                             ;   in Loop: Header=BB6_143 Depth=2
	v_mov_b32_e32 v20, 0
	s_mov_b32 s27, exec_lo
	v_cmpx_ne_u32_e32 0, v44
	s_cbranch_execz .LBB6_1418
; %bb.1413:                             ;   in Loop: Header=BB6_143 Depth=2
	v_bfe_u32 v20, v44, 23, 8
	v_and_b32_e32 v24, 0x7fffff, v44
	s_delay_alu instid0(VALU_DEP_2) | instskip(SKIP_1) | instid1(VALU_DEP_3)
	v_sub_nc_u32_e32 v42, 0x78, v20
	v_cmp_gt_u32_e32 vcc_lo, 0x79, v20
	v_or_b32_e32 v43, 0x800000, v24
	s_delay_alu instid0(VALU_DEP_3) | instskip(SKIP_2) | instid1(VALU_DEP_3)
	v_cndmask_b32_e32 v42, 0, v42, vcc_lo
	v_cmp_eq_u32_e32 vcc_lo, 0, v20
	v_add_nc_u32_e32 v20, 0xffffff89, v20
	v_cndmask_b32_e64 v42, v42, 0x77, vcc_lo
	v_cndmask_b32_e32 v24, v43, v24, vcc_lo
	s_delay_alu instid0(VALU_DEP_3) | instskip(NEXT) | instid1(VALU_DEP_3)
	v_cndmask_b32_e64 v20, v20, 0xffffff8a, vcc_lo
	v_lshl_add_u32 v43, 0x100000, v42, -1
	s_delay_alu instid0(VALU_DEP_3) | instskip(SKIP_1) | instid1(VALU_DEP_4)
	v_lshrrev_b32_e32 v45, v42, v24
	v_lshlrev_b32_e64 v47, v42, 0x80000
	v_add_nc_u32_e32 v42, v42, v20
	s_delay_alu instid0(VALU_DEP_4) | instskip(NEXT) | instid1(VALU_DEP_4)
	v_and_b32_e32 v24, v43, v24
	v_bfe_u32 v46, v45, 20, 1
	s_delay_alu instid0(VALU_DEP_2) | instskip(NEXT) | instid1(VALU_DEP_2)
	v_cmp_eq_u32_e64 s11, v24, v47
	v_add_nc_u32_e32 v43, -1, v46
	s_delay_alu instid0(VALU_DEP_1) | instskip(SKIP_2) | instid1(VALU_DEP_2)
	v_cndmask_b32_e64 v24, 0, v43, s11
	v_lshrrev_b32_e32 v43, 23, v45
	s_mov_b32 s11, exec_lo
	v_add_nc_u32_e32 v24, v24, v45
	s_delay_alu instid0(VALU_DEP_2) | instskip(NEXT) | instid1(VALU_DEP_2)
	v_xor_b32_e32 v43, 1, v43
	v_and_b32_e32 v20, 0xfffff, v24
	s_delay_alu instid0(VALU_DEP_1) | instskip(NEXT) | instid1(VALU_DEP_3)
	v_add_nc_u32_e32 v24, v20, v45
                                        ; implicit-def: $vgpr20
	v_cmpx_ne_u32_e64 v42, v43
	s_xor_b32 s11, exec_lo, s11
; %bb.1414:                             ;   in Loop: Header=BB6_143 Depth=2
	s_delay_alu instid0(VALU_DEP_2) | instskip(SKIP_2) | instid1(VALU_DEP_2)
	v_cmp_lt_u32_e32 vcc_lo, 0xffffff, v24
	v_sub_nc_u32_e32 v20, v42, v43
	v_cndmask_b32_e64 v42, 0, 1, vcc_lo
	v_add_co_ci_u32_e32 v20, vcc_lo, 0, v20, vcc_lo
	s_delay_alu instid0(VALU_DEP_2)
	v_lshrrev_b32_e32 v24, v42, v24
; %bb.1415:                             ;   in Loop: Header=BB6_143 Depth=2
	s_and_not1_saveexec_b32 s11, s11
; %bb.1416:                             ;   in Loop: Header=BB6_143 Depth=2
	s_delay_alu instid0(VALU_DEP_1)
	v_bfe_u32 v20, v24, 23, 1
; %bb.1417:                             ;   in Loop: Header=BB6_143 Depth=2
	s_or_b32 exec_lo, exec_lo, s11
	v_lshrrev_b32_e32 v24, 20, v24
	s_delay_alu instid0(VALU_DEP_2) | instskip(SKIP_2) | instid1(VALU_DEP_4)
	v_cmp_gt_i32_e32 vcc_lo, 16, v20
	v_lshrrev_b32_e32 v42, 24, v44
	v_min_i32_e32 v43, 15, v20
	v_cndmask_b32_e32 v24, 7, v24, vcc_lo
	s_delay_alu instid0(VALU_DEP_3) | instskip(NEXT) | instid1(VALU_DEP_3)
	v_and_b32_e32 v42, 0x80, v42
	v_lshlrev_b32_e32 v43, 3, v43
	s_delay_alu instid0(VALU_DEP_3) | instskip(SKIP_1) | instid1(VALU_DEP_2)
	v_and_b32_e32 v44, 7, v24
	v_or_b32_e32 v20, v20, v24
	v_or3_b32 v24, v43, v42, v44
	s_delay_alu instid0(VALU_DEP_2) | instskip(NEXT) | instid1(VALU_DEP_2)
	v_cmp_ne_u32_e32 vcc_lo, 0, v20
	v_cndmask_b32_e32 v20, 0, v24, vcc_lo
.LBB6_1418:                             ;   in Loop: Header=BB6_143 Depth=2
	s_or_b32 exec_lo, exec_lo, s27
.LBB6_1419:                             ;   in Loop: Header=BB6_143 Depth=2
	s_delay_alu instid0(SALU_CYCLE_1) | instskip(NEXT) | instid1(SALU_CYCLE_1)
	s_or_b32 exec_lo, exec_lo, s26
	s_and_not1_b32 vcc_lo, exec_lo, s25
	s_cbranch_vccnz .LBB6_1429
; %bb.1420:                             ;   in Loop: Header=BB6_143 Depth=2
	v_and_b32_e32 v42, 0xff, v25
	s_mov_b32 s11, 0
	s_mov_b32 s27, exec_lo
                                        ; implicit-def: $sgpr26
	s_delay_alu instid0(VALU_DEP_1)
	v_cmpx_lt_i16_e32 0x7f, v42
	s_xor_b32 s27, exec_lo, s27
	s_cbranch_execnz .LBB6_2701
; %bb.1421:                             ;   in Loop: Header=BB6_143 Depth=2
	s_or_saveexec_b32 s27, s27
	v_mov_b32_e32 v24, s26
	s_xor_b32 exec_lo, exec_lo, s27
	s_cbranch_execnz .LBB6_2704
.LBB6_1422:                             ;   in Loop: Header=BB6_143 Depth=2
	s_or_b32 exec_lo, exec_lo, s27
	s_and_saveexec_b32 s26, s11
	s_cbranch_execz .LBB6_1424
.LBB6_1423:                             ;   in Loop: Header=BB6_143 Depth=2
	v_and_b32_e32 v24, 7, v25
	v_bfe_u32 v44, v25, 3, 4
	s_delay_alu instid0(VALU_DEP_2) | instskip(NEXT) | instid1(VALU_DEP_2)
	v_clz_i32_u32_e32 v42, v24
	v_cmp_eq_u32_e32 vcc_lo, 0, v44
	s_delay_alu instid0(VALU_DEP_2) | instskip(NEXT) | instid1(VALU_DEP_1)
	v_min_u32_e32 v42, 32, v42
	v_subrev_nc_u32_e32 v43, 28, v42
	v_sub_nc_u32_e32 v42, 29, v42
	s_delay_alu instid0(VALU_DEP_1) | instskip(NEXT) | instid1(VALU_DEP_1)
	v_dual_cndmask_b32 v42, v44, v42 :: v_dual_lshlrev_b32 v43, v43, v25
	v_and_b32_e32 v43, 7, v43
	v_lshlrev_b32_e32 v45, 24, v25
	s_delay_alu instid0(VALU_DEP_3) | instskip(NEXT) | instid1(VALU_DEP_2)
	v_lshl_add_u32 v42, v42, 23, 0x3b800000
	v_dual_cndmask_b32 v24, v24, v43 :: v_dual_and_b32 v43, 0x80000000, v45
	s_delay_alu instid0(VALU_DEP_1) | instskip(NEXT) | instid1(VALU_DEP_1)
	v_lshlrev_b32_e32 v24, 20, v24
	v_or3_b32 v24, v43, v42, v24
.LBB6_1424:                             ;   in Loop: Header=BB6_143 Depth=2
	s_or_b32 exec_lo, exec_lo, s26
	v_and_b32_e32 v43, 0xff, v21
	s_mov_b32 s11, 0
	s_mov_b32 s27, exec_lo
                                        ; implicit-def: $sgpr26
	s_delay_alu instid0(VALU_DEP_1)
	v_cmpx_lt_i16_e32 0x7f, v43
	s_xor_b32 s27, exec_lo, s27
	s_cbranch_execnz .LBB6_2705
; %bb.1425:                             ;   in Loop: Header=BB6_143 Depth=2
	s_or_saveexec_b32 s27, s27
	v_mov_b32_e32 v42, s26
	s_xor_b32 exec_lo, exec_lo, s27
	s_cbranch_execnz .LBB6_2708
.LBB6_1426:                             ;   in Loop: Header=BB6_143 Depth=2
	s_or_b32 exec_lo, exec_lo, s27
	s_and_saveexec_b32 s26, s11
	s_cbranch_execz .LBB6_1428
.LBB6_1427:                             ;   in Loop: Header=BB6_143 Depth=2
	v_bfe_u32 v45, v21, 3, 4
	v_lshlrev_b32_e32 v46, 24, v21
	s_delay_alu instid0(VALU_DEP_2) | instskip(SKIP_1) | instid1(VALU_DEP_1)
	v_cmp_eq_u32_e32 vcc_lo, 0, v45
	v_and_b32_e32 v42, 7, v21
	v_clz_i32_u32_e32 v43, v42
	s_delay_alu instid0(VALU_DEP_1) | instskip(NEXT) | instid1(VALU_DEP_1)
	v_min_u32_e32 v43, 32, v43
	v_subrev_nc_u32_e32 v44, 28, v43
	v_sub_nc_u32_e32 v43, 29, v43
	s_delay_alu instid0(VALU_DEP_1) | instskip(NEXT) | instid1(VALU_DEP_1)
	v_dual_cndmask_b32 v43, v45, v43 :: v_dual_lshlrev_b32 v44, v44, v21
	v_and_b32_e32 v44, 7, v44
	s_delay_alu instid0(VALU_DEP_2) | instskip(NEXT) | instid1(VALU_DEP_2)
	v_lshl_add_u32 v43, v43, 23, 0x3b800000
	v_cndmask_b32_e32 v42, v42, v44, vcc_lo
	v_and_b32_e32 v44, 0x80000000, v46
	s_delay_alu instid0(VALU_DEP_2) | instskip(NEXT) | instid1(VALU_DEP_1)
	v_lshlrev_b32_e32 v42, 20, v42
	v_or3_b32 v42, v44, v43, v42
.LBB6_1428:                             ;   in Loop: Header=BB6_143 Depth=2
	s_or_b32 exec_lo, exec_lo, s26
	s_delay_alu instid0(VALU_DEP_1) | instskip(SKIP_2) | instid1(VALU_DEP_1)
	v_max_f32_e32 v42, v42, v42
	v_max_f32_e32 v24, v24, v24
	s_mov_b32 s11, 0
	v_max_f32_e32 v42, v24, v42
	s_branch .LBB6_1430
.LBB6_1429:                             ;   in Loop: Header=BB6_143 Depth=2
	s_mov_b32 s11, -1
                                        ; implicit-def: $vgpr42
.LBB6_1430:                             ;   in Loop: Header=BB6_143 Depth=2
	s_delay_alu instid0(SALU_CYCLE_1)
	s_and_b32 vcc_lo, exec_lo, s11
	s_cbranch_vccz .LBB6_1440
; %bb.1431:                             ;   in Loop: Header=BB6_143 Depth=2
	v_and_b32_e32 v42, 0xff, v25
	s_mov_b32 s11, 0
	s_mov_b32 s27, exec_lo
                                        ; implicit-def: $sgpr26
	s_delay_alu instid0(VALU_DEP_1)
	v_cmpx_lt_i16_e32 0x7f, v42
	s_xor_b32 s27, exec_lo, s27
	s_cbranch_execnz .LBB6_2709
; %bb.1432:                             ;   in Loop: Header=BB6_143 Depth=2
	s_or_saveexec_b32 s27, s27
	v_mov_b32_e32 v24, s26
	s_xor_b32 exec_lo, exec_lo, s27
	s_cbranch_execnz .LBB6_2712
.LBB6_1433:                             ;   in Loop: Header=BB6_143 Depth=2
	s_or_b32 exec_lo, exec_lo, s27
	s_and_saveexec_b32 s26, s11
	s_cbranch_execz .LBB6_1435
.LBB6_1434:                             ;   in Loop: Header=BB6_143 Depth=2
	v_and_b32_e32 v24, 7, v25
	v_bfe_u32 v44, v25, 3, 4
	s_delay_alu instid0(VALU_DEP_2) | instskip(NEXT) | instid1(VALU_DEP_2)
	v_clz_i32_u32_e32 v42, v24
	v_cmp_eq_u32_e32 vcc_lo, 0, v44
	s_delay_alu instid0(VALU_DEP_2) | instskip(NEXT) | instid1(VALU_DEP_1)
	v_min_u32_e32 v42, 32, v42
	v_subrev_nc_u32_e32 v43, 28, v42
	v_sub_nc_u32_e32 v42, 29, v42
	s_delay_alu instid0(VALU_DEP_1) | instskip(NEXT) | instid1(VALU_DEP_1)
	v_dual_cndmask_b32 v42, v44, v42 :: v_dual_lshlrev_b32 v43, v43, v25
	v_and_b32_e32 v43, 7, v43
	v_lshlrev_b32_e32 v45, 24, v25
	s_delay_alu instid0(VALU_DEP_3) | instskip(NEXT) | instid1(VALU_DEP_2)
	v_lshl_add_u32 v42, v42, 23, 0x3b800000
	v_dual_cndmask_b32 v24, v24, v43 :: v_dual_and_b32 v43, 0x80000000, v45
	s_delay_alu instid0(VALU_DEP_1) | instskip(NEXT) | instid1(VALU_DEP_1)
	v_lshlrev_b32_e32 v24, 20, v24
	v_or3_b32 v24, v43, v42, v24
.LBB6_1435:                             ;   in Loop: Header=BB6_143 Depth=2
	s_or_b32 exec_lo, exec_lo, s26
	v_and_b32_e32 v43, 0xff, v21
	s_mov_b32 s11, 0
	s_mov_b32 s27, exec_lo
                                        ; implicit-def: $sgpr26
	s_delay_alu instid0(VALU_DEP_1)
	v_cmpx_lt_i16_e32 0x7f, v43
	s_xor_b32 s27, exec_lo, s27
	s_cbranch_execnz .LBB6_2713
; %bb.1436:                             ;   in Loop: Header=BB6_143 Depth=2
	s_or_saveexec_b32 s27, s27
	v_mov_b32_e32 v42, s26
	s_xor_b32 exec_lo, exec_lo, s27
	s_cbranch_execnz .LBB6_2716
.LBB6_1437:                             ;   in Loop: Header=BB6_143 Depth=2
	s_or_b32 exec_lo, exec_lo, s27
	s_and_saveexec_b32 s26, s11
	s_cbranch_execz .LBB6_1439
.LBB6_1438:                             ;   in Loop: Header=BB6_143 Depth=2
	v_bfe_u32 v45, v21, 3, 4
	v_lshlrev_b32_e32 v46, 24, v21
	s_delay_alu instid0(VALU_DEP_2) | instskip(SKIP_1) | instid1(VALU_DEP_1)
	v_cmp_eq_u32_e32 vcc_lo, 0, v45
	v_and_b32_e32 v42, 7, v21
	v_clz_i32_u32_e32 v43, v42
	s_delay_alu instid0(VALU_DEP_1) | instskip(NEXT) | instid1(VALU_DEP_1)
	v_min_u32_e32 v43, 32, v43
	v_subrev_nc_u32_e32 v44, 28, v43
	v_sub_nc_u32_e32 v43, 29, v43
	s_delay_alu instid0(VALU_DEP_1) | instskip(NEXT) | instid1(VALU_DEP_1)
	v_dual_cndmask_b32 v43, v45, v43 :: v_dual_lshlrev_b32 v44, v44, v21
	v_and_b32_e32 v44, 7, v44
	s_delay_alu instid0(VALU_DEP_2) | instskip(NEXT) | instid1(VALU_DEP_2)
	v_lshl_add_u32 v43, v43, 23, 0x3b800000
	v_cndmask_b32_e32 v42, v42, v44, vcc_lo
	v_and_b32_e32 v44, 0x80000000, v46
	s_delay_alu instid0(VALU_DEP_2) | instskip(NEXT) | instid1(VALU_DEP_1)
	v_lshlrev_b32_e32 v42, 20, v42
	v_or3_b32 v42, v44, v43, v42
.LBB6_1439:                             ;   in Loop: Header=BB6_143 Depth=2
	s_or_b32 exec_lo, exec_lo, s26
	s_delay_alu instid0(VALU_DEP_1) | instskip(SKIP_1) | instid1(VALU_DEP_1)
	v_max_f32_e32 v42, v42, v42
	v_max_f32_e32 v24, v24, v24
	v_min_f32_e32 v42, v24, v42
.LBB6_1440:                             ;   in Loop: Header=BB6_143 Depth=2
	s_delay_alu instid0(VALU_DEP_1) | instskip(NEXT) | instid1(VALU_DEP_1)
	v_and_b32_e32 v24, 0x7f800000, v42
	v_cmp_ne_u32_e32 vcc_lo, 0x7f800000, v24
	v_mov_b32_e32 v24, 0x80
	s_and_saveexec_b32 s26, vcc_lo
	s_cbranch_execz .LBB6_1448
; %bb.1441:                             ;   in Loop: Header=BB6_143 Depth=2
	v_mov_b32_e32 v24, 0
	s_mov_b32 s27, exec_lo
	v_cmpx_ne_u32_e32 0, v42
	s_cbranch_execz .LBB6_1447
; %bb.1442:                             ;   in Loop: Header=BB6_143 Depth=2
	v_bfe_u32 v24, v42, 23, 8
	s_delay_alu instid0(VALU_DEP_1) | instskip(SKIP_1) | instid1(VALU_DEP_2)
	v_sub_nc_u32_e32 v44, 0x78, v24
	v_cmp_gt_u32_e32 vcc_lo, 0x79, v24
	v_dual_cndmask_b32 v44, 0, v44 :: v_dual_and_b32 v43, 0x7fffff, v42
	s_delay_alu instid0(VALU_DEP_1) | instskip(SKIP_2) | instid1(VALU_DEP_4)
	v_or_b32_e32 v45, 0x800000, v43
	v_cmp_eq_u32_e32 vcc_lo, 0, v24
	v_add_nc_u32_e32 v24, 0xffffff89, v24
	v_cndmask_b32_e64 v44, v44, 0x77, vcc_lo
	s_delay_alu instid0(VALU_DEP_4) | instskip(NEXT) | instid1(VALU_DEP_3)
	v_cndmask_b32_e32 v43, v45, v43, vcc_lo
	v_cndmask_b32_e64 v24, v24, 0xffffff8a, vcc_lo
	s_delay_alu instid0(VALU_DEP_3) | instskip(NEXT) | instid1(VALU_DEP_3)
	v_lshl_add_u32 v45, 0x100000, v44, -1
	v_lshrrev_b32_e32 v46, v44, v43
	v_lshlrev_b32_e64 v56, v44, 0x80000
	s_delay_alu instid0(VALU_DEP_4) | instskip(NEXT) | instid1(VALU_DEP_4)
	v_add_nc_u32_e32 v44, v44, v24
	v_and_b32_e32 v43, v45, v43
	s_delay_alu instid0(VALU_DEP_4) | instskip(NEXT) | instid1(VALU_DEP_2)
	v_bfe_u32 v47, v46, 20, 1
	v_cmp_eq_u32_e64 s11, v43, v56
	s_delay_alu instid0(VALU_DEP_2) | instskip(NEXT) | instid1(VALU_DEP_1)
	v_add_nc_u32_e32 v45, -1, v47
	v_cndmask_b32_e64 v43, 0, v45, s11
	v_lshrrev_b32_e32 v45, 23, v46
	s_mov_b32 s11, exec_lo
	s_delay_alu instid0(VALU_DEP_2) | instskip(NEXT) | instid1(VALU_DEP_2)
	v_add_nc_u32_e32 v43, v43, v46
	v_xor_b32_e32 v45, 1, v45
	s_delay_alu instid0(VALU_DEP_2) | instskip(NEXT) | instid1(VALU_DEP_1)
	v_and_b32_e32 v24, 0xfffff, v43
	v_add_nc_u32_e32 v43, v24, v46
                                        ; implicit-def: $vgpr24
	s_delay_alu instid0(VALU_DEP_3)
	v_cmpx_ne_u32_e64 v44, v45
	s_xor_b32 s11, exec_lo, s11
; %bb.1443:                             ;   in Loop: Header=BB6_143 Depth=2
	s_delay_alu instid0(VALU_DEP_2) | instskip(SKIP_2) | instid1(VALU_DEP_2)
	v_cmp_lt_u32_e32 vcc_lo, 0xffffff, v43
	v_sub_nc_u32_e32 v24, v44, v45
	v_cndmask_b32_e64 v44, 0, 1, vcc_lo
	v_add_co_ci_u32_e32 v24, vcc_lo, 0, v24, vcc_lo
	s_delay_alu instid0(VALU_DEP_2)
	v_lshrrev_b32_e32 v43, v44, v43
; %bb.1444:                             ;   in Loop: Header=BB6_143 Depth=2
	s_and_not1_saveexec_b32 s11, s11
; %bb.1445:                             ;   in Loop: Header=BB6_143 Depth=2
	s_delay_alu instid0(VALU_DEP_1)
	v_bfe_u32 v24, v43, 23, 1
; %bb.1446:                             ;   in Loop: Header=BB6_143 Depth=2
	s_or_b32 exec_lo, exec_lo, s11
	v_lshrrev_b32_e32 v43, 20, v43
	s_delay_alu instid0(VALU_DEP_2) | instskip(SKIP_2) | instid1(VALU_DEP_2)
	v_cmp_gt_i32_e32 vcc_lo, 16, v24
	v_lshrrev_b32_e32 v42, 24, v42
	v_min_i32_e32 v44, 15, v24
	v_dual_cndmask_b32 v43, 7, v43 :: v_dual_and_b32 v42, 0x80, v42
	s_delay_alu instid0(VALU_DEP_2) | instskip(NEXT) | instid1(VALU_DEP_2)
	v_lshlrev_b32_e32 v44, 3, v44
	v_or_b32_e32 v24, v24, v43
	s_delay_alu instid0(VALU_DEP_1) | instskip(SKIP_1) | instid1(VALU_DEP_1)
	v_cmp_ne_u32_e32 vcc_lo, 0, v24
	v_and_b32_e32 v45, 7, v43
	v_or3_b32 v42, v44, v42, v45
	s_delay_alu instid0(VALU_DEP_1)
	v_cndmask_b32_e32 v24, 0, v42, vcc_lo
.LBB6_1447:                             ;   in Loop: Header=BB6_143 Depth=2
	s_or_b32 exec_lo, exec_lo, s27
.LBB6_1448:                             ;   in Loop: Header=BB6_143 Depth=2
	s_delay_alu instid0(SALU_CYCLE_1)
	s_or_b32 exec_lo, exec_lo, s26
	v_lshrrev_b16 v43, 8, v25
	v_lshrrev_b16 v42, 8, v21
	s_and_not1_b32 vcc_lo, exec_lo, s25
	s_cbranch_vccnz .LBB6_1458
; %bb.1449:                             ;   in Loop: Header=BB6_143 Depth=2
	s_mov_b32 s11, 0
	s_mov_b32 s27, exec_lo
                                        ; implicit-def: $sgpr26
	v_cmpx_lt_i16_e32 0x7f, v43
	s_xor_b32 s27, exec_lo, s27
	s_cbranch_execnz .LBB6_2717
; %bb.1450:                             ;   in Loop: Header=BB6_143 Depth=2
	s_or_saveexec_b32 s27, s27
	v_mov_b32_e32 v44, s26
	s_xor_b32 exec_lo, exec_lo, s27
	s_cbranch_execnz .LBB6_2720
.LBB6_1451:                             ;   in Loop: Header=BB6_143 Depth=2
	s_or_b32 exec_lo, exec_lo, s27
	s_and_saveexec_b32 s26, s11
	s_cbranch_execz .LBB6_1453
.LBB6_1452:                             ;   in Loop: Header=BB6_143 Depth=2
	v_and_b32_e32 v44, 0xffff, v43
	s_delay_alu instid0(VALU_DEP_1) | instskip(NEXT) | instid1(VALU_DEP_1)
	v_and_b32_e32 v45, 7, v44
	v_clz_i32_u32_e32 v46, v45
	s_delay_alu instid0(VALU_DEP_1) | instskip(NEXT) | instid1(VALU_DEP_1)
	v_min_u32_e32 v46, 32, v46
	v_subrev_nc_u32_e32 v47, 28, v46
	v_sub_nc_u32_e32 v46, 29, v46
	s_delay_alu instid0(VALU_DEP_2) | instskip(SKIP_1) | instid1(VALU_DEP_2)
	v_lshlrev_b32_e32 v47, v47, v44
	v_bfe_u32 v44, v44, 3, 4
	v_and_b32_e32 v47, 7, v47
	s_delay_alu instid0(VALU_DEP_2) | instskip(SKIP_1) | instid1(VALU_DEP_3)
	v_cmp_eq_u32_e32 vcc_lo, 0, v44
	v_cndmask_b32_e32 v44, v44, v46, vcc_lo
	v_dual_cndmask_b32 v45, v45, v47 :: v_dual_lshlrev_b32 v56, 16, v25
	s_delay_alu instid0(VALU_DEP_2) | instskip(NEXT) | instid1(VALU_DEP_2)
	v_lshl_add_u32 v44, v44, 23, 0x3b800000
	v_and_b32_e32 v46, 0x80000000, v56
	s_delay_alu instid0(VALU_DEP_3) | instskip(NEXT) | instid1(VALU_DEP_1)
	v_lshlrev_b32_e32 v45, 20, v45
	v_or3_b32 v44, v46, v44, v45
.LBB6_1453:                             ;   in Loop: Header=BB6_143 Depth=2
	s_or_b32 exec_lo, exec_lo, s26
	s_mov_b32 s11, 0
	s_mov_b32 s27, exec_lo
                                        ; implicit-def: $sgpr26
	v_cmpx_lt_i16_e32 0x7f, v42
	s_xor_b32 s27, exec_lo, s27
	s_cbranch_execnz .LBB6_2721
; %bb.1454:                             ;   in Loop: Header=BB6_143 Depth=2
	s_or_saveexec_b32 s27, s27
	v_mov_b32_e32 v45, s26
	s_xor_b32 exec_lo, exec_lo, s27
	s_cbranch_execnz .LBB6_2724
.LBB6_1455:                             ;   in Loop: Header=BB6_143 Depth=2
	s_or_b32 exec_lo, exec_lo, s27
	s_and_saveexec_b32 s26, s11
	s_cbranch_execz .LBB6_1457
.LBB6_1456:                             ;   in Loop: Header=BB6_143 Depth=2
	v_and_b32_e32 v45, 0xffff, v42
	v_lshlrev_b32_e32 v57, 16, v21
	s_delay_alu instid0(VALU_DEP_2) | instskip(NEXT) | instid1(VALU_DEP_1)
	v_and_b32_e32 v46, 7, v45
	v_clz_i32_u32_e32 v47, v46
	s_delay_alu instid0(VALU_DEP_1) | instskip(NEXT) | instid1(VALU_DEP_1)
	v_min_u32_e32 v47, 32, v47
	v_subrev_nc_u32_e32 v56, 28, v47
	v_sub_nc_u32_e32 v47, 29, v47
	s_delay_alu instid0(VALU_DEP_2) | instskip(SKIP_1) | instid1(VALU_DEP_2)
	v_lshlrev_b32_e32 v56, v56, v45
	v_bfe_u32 v45, v45, 3, 4
	v_and_b32_e32 v56, 7, v56
	s_delay_alu instid0(VALU_DEP_2) | instskip(NEXT) | instid1(VALU_DEP_2)
	v_cmp_eq_u32_e32 vcc_lo, 0, v45
	v_dual_cndmask_b32 v45, v45, v47 :: v_dual_cndmask_b32 v46, v46, v56
	v_and_b32_e32 v47, 0x80000000, v57
	s_delay_alu instid0(VALU_DEP_2) | instskip(NEXT) | instid1(VALU_DEP_3)
	v_lshl_add_u32 v45, v45, 23, 0x3b800000
	v_lshlrev_b32_e32 v46, 20, v46
	s_delay_alu instid0(VALU_DEP_1)
	v_or3_b32 v45, v47, v45, v46
.LBB6_1457:                             ;   in Loop: Header=BB6_143 Depth=2
	s_or_b32 exec_lo, exec_lo, s26
	s_delay_alu instid0(VALU_DEP_1) | instskip(SKIP_1) | instid1(VALU_DEP_1)
	v_dual_max_f32 v45, v45, v45 :: v_dual_max_f32 v44, v44, v44
	s_mov_b32 s11, 0
	v_max_f32_e32 v44, v44, v45
	s_branch .LBB6_1459
.LBB6_1458:                             ;   in Loop: Header=BB6_143 Depth=2
	s_mov_b32 s11, -1
                                        ; implicit-def: $vgpr44
.LBB6_1459:                             ;   in Loop: Header=BB6_143 Depth=2
	s_delay_alu instid0(SALU_CYCLE_1)
	s_and_b32 vcc_lo, exec_lo, s11
	s_cbranch_vccz .LBB6_1469
; %bb.1460:                             ;   in Loop: Header=BB6_143 Depth=2
	s_mov_b32 s11, 0
	s_mov_b32 s27, exec_lo
                                        ; implicit-def: $sgpr26
	v_cmpx_lt_i16_e32 0x7f, v43
	s_xor_b32 s27, exec_lo, s27
	s_cbranch_execnz .LBB6_2725
; %bb.1461:                             ;   in Loop: Header=BB6_143 Depth=2
	s_or_saveexec_b32 s27, s27
	v_mov_b32_e32 v44, s26
	s_xor_b32 exec_lo, exec_lo, s27
	s_cbranch_execnz .LBB6_2728
.LBB6_1462:                             ;   in Loop: Header=BB6_143 Depth=2
	s_or_b32 exec_lo, exec_lo, s27
	s_and_saveexec_b32 s26, s11
	s_cbranch_execz .LBB6_1464
.LBB6_1463:                             ;   in Loop: Header=BB6_143 Depth=2
	v_and_b32_e32 v43, 0xffff, v43
	v_lshlrev_b32_e32 v47, 16, v25
	s_delay_alu instid0(VALU_DEP_2) | instskip(NEXT) | instid1(VALU_DEP_1)
	v_and_b32_e32 v44, 7, v43
	v_clz_i32_u32_e32 v45, v44
	s_delay_alu instid0(VALU_DEP_1) | instskip(NEXT) | instid1(VALU_DEP_1)
	v_min_u32_e32 v45, 32, v45
	v_subrev_nc_u32_e32 v46, 28, v45
	v_sub_nc_u32_e32 v45, 29, v45
	s_delay_alu instid0(VALU_DEP_2) | instskip(SKIP_1) | instid1(VALU_DEP_2)
	v_lshlrev_b32_e32 v46, v46, v43
	v_bfe_u32 v43, v43, 3, 4
	v_and_b32_e32 v46, 7, v46
	s_delay_alu instid0(VALU_DEP_2) | instskip(NEXT) | instid1(VALU_DEP_2)
	v_cmp_eq_u32_e32 vcc_lo, 0, v43
	v_dual_cndmask_b32 v43, v43, v45 :: v_dual_cndmask_b32 v44, v44, v46
	v_and_b32_e32 v45, 0x80000000, v47
	s_delay_alu instid0(VALU_DEP_2) | instskip(NEXT) | instid1(VALU_DEP_3)
	v_lshl_add_u32 v43, v43, 23, 0x3b800000
	v_lshlrev_b32_e32 v44, 20, v44
	s_delay_alu instid0(VALU_DEP_1)
	v_or3_b32 v44, v45, v43, v44
.LBB6_1464:                             ;   in Loop: Header=BB6_143 Depth=2
	s_or_b32 exec_lo, exec_lo, s26
	s_mov_b32 s11, 0
	s_mov_b32 s27, exec_lo
                                        ; implicit-def: $sgpr26
	v_cmpx_lt_i16_e32 0x7f, v42
	s_xor_b32 s27, exec_lo, s27
	s_cbranch_execnz .LBB6_2729
; %bb.1465:                             ;   in Loop: Header=BB6_143 Depth=2
	s_or_saveexec_b32 s27, s27
	v_mov_b32_e32 v43, s26
	s_xor_b32 exec_lo, exec_lo, s27
	s_cbranch_execnz .LBB6_2732
.LBB6_1466:                             ;   in Loop: Header=BB6_143 Depth=2
	s_or_b32 exec_lo, exec_lo, s27
	s_and_saveexec_b32 s26, s11
	s_cbranch_execz .LBB6_1468
.LBB6_1467:                             ;   in Loop: Header=BB6_143 Depth=2
	v_and_b32_e32 v42, 0xffff, v42
	v_lshlrev_b32_e32 v47, 16, v21
	s_delay_alu instid0(VALU_DEP_2) | instskip(NEXT) | instid1(VALU_DEP_1)
	v_and_b32_e32 v43, 7, v42
	v_clz_i32_u32_e32 v45, v43
	s_delay_alu instid0(VALU_DEP_1) | instskip(NEXT) | instid1(VALU_DEP_1)
	v_min_u32_e32 v45, 32, v45
	v_subrev_nc_u32_e32 v46, 28, v45
	v_sub_nc_u32_e32 v45, 29, v45
	s_delay_alu instid0(VALU_DEP_2) | instskip(SKIP_1) | instid1(VALU_DEP_2)
	v_lshlrev_b32_e32 v46, v46, v42
	v_bfe_u32 v42, v42, 3, 4
	v_and_b32_e32 v46, 7, v46
	s_delay_alu instid0(VALU_DEP_2) | instskip(NEXT) | instid1(VALU_DEP_2)
	v_cmp_eq_u32_e32 vcc_lo, 0, v42
	v_dual_cndmask_b32 v42, v42, v45 :: v_dual_cndmask_b32 v43, v43, v46
	v_and_b32_e32 v45, 0x80000000, v47
	s_delay_alu instid0(VALU_DEP_2) | instskip(NEXT) | instid1(VALU_DEP_3)
	v_lshl_add_u32 v42, v42, 23, 0x3b800000
	v_lshlrev_b32_e32 v43, 20, v43
	s_delay_alu instid0(VALU_DEP_1)
	v_or3_b32 v43, v45, v42, v43
.LBB6_1468:                             ;   in Loop: Header=BB6_143 Depth=2
	s_or_b32 exec_lo, exec_lo, s26
	s_delay_alu instid0(VALU_DEP_1) | instskip(NEXT) | instid1(VALU_DEP_1)
	v_dual_max_f32 v42, v43, v43 :: v_dual_max_f32 v43, v44, v44
	v_min_f32_e32 v44, v43, v42
.LBB6_1469:                             ;   in Loop: Header=BB6_143 Depth=2
	s_delay_alu instid0(VALU_DEP_1) | instskip(NEXT) | instid1(VALU_DEP_1)
	v_and_b32_e32 v42, 0x7f800000, v44
	v_cmp_ne_u32_e32 vcc_lo, 0x7f800000, v42
	v_mov_b32_e32 v42, 0x80
	s_and_saveexec_b32 s26, vcc_lo
	s_cbranch_execz .LBB6_1477
; %bb.1470:                             ;   in Loop: Header=BB6_143 Depth=2
	v_mov_b32_e32 v42, 0
	s_mov_b32 s27, exec_lo
	v_cmpx_ne_u32_e32 0, v44
	s_cbranch_execz .LBB6_1476
; %bb.1471:                             ;   in Loop: Header=BB6_143 Depth=2
	v_bfe_u32 v42, v44, 23, 8
	v_and_b32_e32 v43, 0x7fffff, v44
	s_delay_alu instid0(VALU_DEP_2) | instskip(SKIP_1) | instid1(VALU_DEP_3)
	v_sub_nc_u32_e32 v45, 0x78, v42
	v_cmp_gt_u32_e32 vcc_lo, 0x79, v42
	v_or_b32_e32 v46, 0x800000, v43
	s_delay_alu instid0(VALU_DEP_3) | instskip(SKIP_2) | instid1(VALU_DEP_3)
	v_cndmask_b32_e32 v45, 0, v45, vcc_lo
	v_cmp_eq_u32_e32 vcc_lo, 0, v42
	v_add_nc_u32_e32 v42, 0xffffff89, v42
	v_cndmask_b32_e64 v45, v45, 0x77, vcc_lo
	v_cndmask_b32_e32 v43, v46, v43, vcc_lo
	s_delay_alu instid0(VALU_DEP_3) | instskip(NEXT) | instid1(VALU_DEP_3)
	v_cndmask_b32_e64 v42, v42, 0xffffff8a, vcc_lo
	v_lshl_add_u32 v46, 0x100000, v45, -1
	s_delay_alu instid0(VALU_DEP_3) | instskip(SKIP_1) | instid1(VALU_DEP_4)
	v_lshrrev_b32_e32 v47, v45, v43
	v_lshlrev_b32_e64 v57, v45, 0x80000
	v_add_nc_u32_e32 v45, v45, v42
	s_delay_alu instid0(VALU_DEP_4) | instskip(NEXT) | instid1(VALU_DEP_4)
	v_and_b32_e32 v43, v46, v43
	v_bfe_u32 v56, v47, 20, 1
	s_delay_alu instid0(VALU_DEP_2) | instskip(NEXT) | instid1(VALU_DEP_2)
	v_cmp_eq_u32_e64 s11, v43, v57
	v_add_nc_u32_e32 v46, -1, v56
	s_delay_alu instid0(VALU_DEP_1) | instskip(SKIP_2) | instid1(VALU_DEP_2)
	v_cndmask_b32_e64 v43, 0, v46, s11
	v_lshrrev_b32_e32 v46, 23, v47
	s_mov_b32 s11, exec_lo
	v_add_nc_u32_e32 v43, v43, v47
	s_delay_alu instid0(VALU_DEP_2) | instskip(NEXT) | instid1(VALU_DEP_2)
	v_xor_b32_e32 v46, 1, v46
	v_and_b32_e32 v42, 0xfffff, v43
	s_delay_alu instid0(VALU_DEP_1) | instskip(NEXT) | instid1(VALU_DEP_3)
	v_add_nc_u32_e32 v43, v42, v47
                                        ; implicit-def: $vgpr42
	v_cmpx_ne_u32_e64 v45, v46
	s_xor_b32 s11, exec_lo, s11
; %bb.1472:                             ;   in Loop: Header=BB6_143 Depth=2
	s_delay_alu instid0(VALU_DEP_2) | instskip(SKIP_2) | instid1(VALU_DEP_2)
	v_cmp_lt_u32_e32 vcc_lo, 0xffffff, v43
	v_sub_nc_u32_e32 v42, v45, v46
	v_cndmask_b32_e64 v45, 0, 1, vcc_lo
	v_add_co_ci_u32_e32 v42, vcc_lo, 0, v42, vcc_lo
	s_delay_alu instid0(VALU_DEP_2)
	v_lshrrev_b32_e32 v43, v45, v43
; %bb.1473:                             ;   in Loop: Header=BB6_143 Depth=2
	s_and_not1_saveexec_b32 s11, s11
; %bb.1474:                             ;   in Loop: Header=BB6_143 Depth=2
	s_delay_alu instid0(VALU_DEP_1)
	v_bfe_u32 v42, v43, 23, 1
; %bb.1475:                             ;   in Loop: Header=BB6_143 Depth=2
	s_or_b32 exec_lo, exec_lo, s11
	v_lshrrev_b32_e32 v43, 20, v43
	s_delay_alu instid0(VALU_DEP_2) | instskip(SKIP_2) | instid1(VALU_DEP_2)
	v_cmp_gt_i32_e32 vcc_lo, 16, v42
	v_lshrrev_b32_e32 v44, 24, v44
	v_min_i32_e32 v45, 15, v42
	v_dual_cndmask_b32 v43, 7, v43 :: v_dual_and_b32 v44, 0x80, v44
	s_delay_alu instid0(VALU_DEP_1) | instskip(SKIP_1) | instid1(VALU_DEP_2)
	v_or_b32_e32 v42, v42, v43
	v_and_b32_e32 v46, 7, v43
	v_cmp_ne_u32_e32 vcc_lo, 0, v42
	v_lshlrev_b32_e32 v45, 3, v45
	s_delay_alu instid0(VALU_DEP_1) | instskip(NEXT) | instid1(VALU_DEP_1)
	v_or3_b32 v43, v45, v44, v46
	v_cndmask_b32_e32 v42, 0, v43, vcc_lo
.LBB6_1476:                             ;   in Loop: Header=BB6_143 Depth=2
	s_or_b32 exec_lo, exec_lo, s27
.LBB6_1477:                             ;   in Loop: Header=BB6_143 Depth=2
	s_delay_alu instid0(SALU_CYCLE_1)
	s_or_b32 exec_lo, exec_lo, s26
	v_lshrrev_b32_e32 v44, 16, v25
	v_lshrrev_b32_e32 v43, 16, v21
	s_and_not1_b32 vcc_lo, exec_lo, s25
	s_cbranch_vccnz .LBB6_1487
; %bb.1478:                             ;   in Loop: Header=BB6_143 Depth=2
	s_delay_alu instid0(VALU_DEP_2) | instskip(SKIP_2) | instid1(VALU_DEP_1)
	v_and_b32_e32 v46, 0xff, v44
	s_mov_b32 s11, 0
	s_mov_b32 s27, exec_lo
                                        ; implicit-def: $sgpr26
	v_cmpx_lt_i16_e32 0x7f, v46
	s_xor_b32 s27, exec_lo, s27
	s_cbranch_execnz .LBB6_2733
; %bb.1479:                             ;   in Loop: Header=BB6_143 Depth=2
	s_or_saveexec_b32 s27, s27
	v_mov_b32_e32 v45, s26
	s_xor_b32 exec_lo, exec_lo, s27
	s_cbranch_execnz .LBB6_2736
.LBB6_1480:                             ;   in Loop: Header=BB6_143 Depth=2
	s_or_b32 exec_lo, exec_lo, s27
	s_and_saveexec_b32 s26, s11
	s_cbranch_execz .LBB6_1482
.LBB6_1481:                             ;   in Loop: Header=BB6_143 Depth=2
	v_bfe_u32 v45, v25, 16, 3
	v_bfe_u32 v56, v25, 19, 4
	v_lshlrev_b32_e32 v57, 24, v44
	s_delay_alu instid0(VALU_DEP_3) | instskip(NEXT) | instid1(VALU_DEP_3)
	v_clz_i32_u32_e32 v46, v45
	v_cmp_eq_u32_e32 vcc_lo, 0, v56
	s_delay_alu instid0(VALU_DEP_2) | instskip(NEXT) | instid1(VALU_DEP_1)
	v_min_u32_e32 v46, 32, v46
	v_subrev_nc_u32_e32 v47, 28, v46
	v_sub_nc_u32_e32 v46, 29, v46
	s_delay_alu instid0(VALU_DEP_1) | instskip(NEXT) | instid1(VALU_DEP_1)
	v_dual_cndmask_b32 v46, v56, v46 :: v_dual_lshlrev_b32 v47, v47, v44
	v_and_b32_e32 v47, 7, v47
	s_delay_alu instid0(VALU_DEP_2) | instskip(NEXT) | instid1(VALU_DEP_2)
	v_lshl_add_u32 v46, v46, 23, 0x3b800000
	v_cndmask_b32_e32 v45, v45, v47, vcc_lo
	v_and_b32_e32 v47, 0x80000000, v57
	s_delay_alu instid0(VALU_DEP_2) | instskip(NEXT) | instid1(VALU_DEP_1)
	v_lshlrev_b32_e32 v45, 20, v45
	v_or3_b32 v45, v47, v46, v45
.LBB6_1482:                             ;   in Loop: Header=BB6_143 Depth=2
	s_or_b32 exec_lo, exec_lo, s26
	v_and_b32_e32 v47, 0xff, v43
	s_mov_b32 s11, 0
	s_mov_b32 s27, exec_lo
                                        ; implicit-def: $sgpr26
	s_delay_alu instid0(VALU_DEP_1)
	v_cmpx_lt_i16_e32 0x7f, v47
	s_xor_b32 s27, exec_lo, s27
	s_cbranch_execnz .LBB6_2737
; %bb.1483:                             ;   in Loop: Header=BB6_143 Depth=2
	s_or_saveexec_b32 s27, s27
	v_mov_b32_e32 v46, s26
	s_xor_b32 exec_lo, exec_lo, s27
	s_cbranch_execnz .LBB6_2740
.LBB6_1484:                             ;   in Loop: Header=BB6_143 Depth=2
	s_or_b32 exec_lo, exec_lo, s27
	s_and_saveexec_b32 s26, s11
	s_cbranch_execz .LBB6_1486
.LBB6_1485:                             ;   in Loop: Header=BB6_143 Depth=2
	v_bfe_u32 v46, v21, 16, 3
	v_bfe_u32 v57, v21, 19, 4
	v_lshlrev_b32_e32 v58, 24, v43
	s_delay_alu instid0(VALU_DEP_3) | instskip(NEXT) | instid1(VALU_DEP_3)
	v_clz_i32_u32_e32 v47, v46
	v_cmp_eq_u32_e32 vcc_lo, 0, v57
	s_delay_alu instid0(VALU_DEP_2) | instskip(NEXT) | instid1(VALU_DEP_1)
	v_min_u32_e32 v47, 32, v47
	v_subrev_nc_u32_e32 v56, 28, v47
	v_sub_nc_u32_e32 v47, 29, v47
	s_delay_alu instid0(VALU_DEP_2) | instskip(NEXT) | instid1(VALU_DEP_1)
	v_lshlrev_b32_e32 v56, v56, v43
	v_dual_cndmask_b32 v47, v57, v47 :: v_dual_and_b32 v56, 7, v56
	s_delay_alu instid0(VALU_DEP_1) | instskip(NEXT) | instid1(VALU_DEP_2)
	v_lshl_add_u32 v47, v47, 23, 0x3b800000
	v_cndmask_b32_e32 v46, v46, v56, vcc_lo
	v_and_b32_e32 v56, 0x80000000, v58
	s_delay_alu instid0(VALU_DEP_2) | instskip(NEXT) | instid1(VALU_DEP_1)
	v_lshlrev_b32_e32 v46, 20, v46
	v_or3_b32 v46, v56, v47, v46
.LBB6_1486:                             ;   in Loop: Header=BB6_143 Depth=2
	s_or_b32 exec_lo, exec_lo, s26
	s_delay_alu instid0(VALU_DEP_1) | instskip(SKIP_1) | instid1(VALU_DEP_1)
	v_dual_max_f32 v46, v46, v46 :: v_dual_max_f32 v45, v45, v45
	s_mov_b32 s11, 0
	v_max_f32_e32 v45, v45, v46
	s_branch .LBB6_1488
.LBB6_1487:                             ;   in Loop: Header=BB6_143 Depth=2
	s_mov_b32 s11, -1
                                        ; implicit-def: $vgpr45
.LBB6_1488:                             ;   in Loop: Header=BB6_143 Depth=2
	s_delay_alu instid0(SALU_CYCLE_1)
	s_and_b32 vcc_lo, exec_lo, s11
	s_cbranch_vccz .LBB6_1498
; %bb.1489:                             ;   in Loop: Header=BB6_143 Depth=2
	v_and_b32_e32 v46, 0xff, v44
	s_mov_b32 s11, 0
	s_mov_b32 s27, exec_lo
                                        ; implicit-def: $sgpr26
	s_delay_alu instid0(VALU_DEP_1)
	v_cmpx_lt_i16_e32 0x7f, v46
	s_xor_b32 s27, exec_lo, s27
	s_cbranch_execnz .LBB6_2741
; %bb.1490:                             ;   in Loop: Header=BB6_143 Depth=2
	s_or_saveexec_b32 s27, s27
	v_mov_b32_e32 v45, s26
	s_xor_b32 exec_lo, exec_lo, s27
	s_cbranch_execnz .LBB6_2744
.LBB6_1491:                             ;   in Loop: Header=BB6_143 Depth=2
	s_or_b32 exec_lo, exec_lo, s27
	s_and_saveexec_b32 s26, s11
	s_cbranch_execz .LBB6_1493
.LBB6_1492:                             ;   in Loop: Header=BB6_143 Depth=2
	v_bfe_u32 v45, v25, 16, 3
	v_bfe_u32 v56, v25, 19, 4
	s_delay_alu instid0(VALU_DEP_2) | instskip(NEXT) | instid1(VALU_DEP_2)
	v_clz_i32_u32_e32 v46, v45
	v_cmp_eq_u32_e32 vcc_lo, 0, v56
	s_delay_alu instid0(VALU_DEP_2) | instskip(NEXT) | instid1(VALU_DEP_1)
	v_min_u32_e32 v46, 32, v46
	v_subrev_nc_u32_e32 v47, 28, v46
	v_sub_nc_u32_e32 v46, 29, v46
	s_delay_alu instid0(VALU_DEP_1) | instskip(NEXT) | instid1(VALU_DEP_1)
	v_dual_cndmask_b32 v46, v56, v46 :: v_dual_lshlrev_b32 v47, v47, v44
	v_and_b32_e32 v47, 7, v47
	v_lshlrev_b32_e32 v44, 24, v44
	s_delay_alu instid0(VALU_DEP_3) | instskip(NEXT) | instid1(VALU_DEP_2)
	v_lshl_add_u32 v46, v46, 23, 0x3b800000
	v_dual_cndmask_b32 v45, v45, v47 :: v_dual_and_b32 v44, 0x80000000, v44
	s_delay_alu instid0(VALU_DEP_1) | instskip(NEXT) | instid1(VALU_DEP_1)
	v_lshlrev_b32_e32 v45, 20, v45
	v_or3_b32 v45, v44, v46, v45
.LBB6_1493:                             ;   in Loop: Header=BB6_143 Depth=2
	s_or_b32 exec_lo, exec_lo, s26
	v_and_b32_e32 v46, 0xff, v43
	s_mov_b32 s11, 0
	s_mov_b32 s27, exec_lo
                                        ; implicit-def: $sgpr26
	s_delay_alu instid0(VALU_DEP_1)
	v_cmpx_lt_i16_e32 0x7f, v46
	s_xor_b32 s27, exec_lo, s27
	s_cbranch_execnz .LBB6_2745
; %bb.1494:                             ;   in Loop: Header=BB6_143 Depth=2
	s_or_saveexec_b32 s27, s27
	v_mov_b32_e32 v44, s26
	s_xor_b32 exec_lo, exec_lo, s27
	s_cbranch_execnz .LBB6_2748
.LBB6_1495:                             ;   in Loop: Header=BB6_143 Depth=2
	s_or_b32 exec_lo, exec_lo, s27
	s_and_saveexec_b32 s26, s11
	s_cbranch_execz .LBB6_1497
.LBB6_1496:                             ;   in Loop: Header=BB6_143 Depth=2
	v_bfe_u32 v44, v21, 16, 3
	v_bfe_u32 v56, v21, 19, 4
	s_delay_alu instid0(VALU_DEP_2) | instskip(NEXT) | instid1(VALU_DEP_2)
	v_clz_i32_u32_e32 v46, v44
	v_cmp_eq_u32_e32 vcc_lo, 0, v56
	s_delay_alu instid0(VALU_DEP_2) | instskip(NEXT) | instid1(VALU_DEP_1)
	v_min_u32_e32 v46, 32, v46
	v_subrev_nc_u32_e32 v47, 28, v46
	v_sub_nc_u32_e32 v46, 29, v46
	s_delay_alu instid0(VALU_DEP_1) | instskip(SKIP_1) | instid1(VALU_DEP_2)
	v_dual_cndmask_b32 v46, v56, v46 :: v_dual_lshlrev_b32 v47, v47, v43
	v_lshlrev_b32_e32 v43, 24, v43
	v_and_b32_e32 v47, 7, v47
	s_delay_alu instid0(VALU_DEP_3) | instskip(NEXT) | instid1(VALU_DEP_3)
	v_lshl_add_u32 v46, v46, 23, 0x3b800000
	v_and_b32_e32 v43, 0x80000000, v43
	s_delay_alu instid0(VALU_DEP_3) | instskip(NEXT) | instid1(VALU_DEP_1)
	v_cndmask_b32_e32 v44, v44, v47, vcc_lo
	v_lshlrev_b32_e32 v44, 20, v44
	s_delay_alu instid0(VALU_DEP_1)
	v_or3_b32 v44, v43, v46, v44
.LBB6_1497:                             ;   in Loop: Header=BB6_143 Depth=2
	s_or_b32 exec_lo, exec_lo, s26
	s_delay_alu instid0(VALU_DEP_1) | instskip(NEXT) | instid1(VALU_DEP_1)
	v_dual_max_f32 v43, v44, v44 :: v_dual_max_f32 v44, v45, v45
	v_min_f32_e32 v45, v44, v43
.LBB6_1498:                             ;   in Loop: Header=BB6_143 Depth=2
	s_delay_alu instid0(VALU_DEP_1) | instskip(NEXT) | instid1(VALU_DEP_1)
	v_and_b32_e32 v43, 0x7f800000, v45
	v_cmp_ne_u32_e32 vcc_lo, 0x7f800000, v43
	v_mov_b32_e32 v43, 0x80
	s_and_saveexec_b32 s26, vcc_lo
	s_cbranch_execz .LBB6_1506
; %bb.1499:                             ;   in Loop: Header=BB6_143 Depth=2
	v_mov_b32_e32 v43, 0
	s_mov_b32 s27, exec_lo
	v_cmpx_ne_u32_e32 0, v45
	s_cbranch_execz .LBB6_1505
; %bb.1500:                             ;   in Loop: Header=BB6_143 Depth=2
	v_bfe_u32 v43, v45, 23, 8
	v_and_b32_e32 v44, 0x7fffff, v45
	s_delay_alu instid0(VALU_DEP_2) | instskip(SKIP_1) | instid1(VALU_DEP_3)
	v_sub_nc_u32_e32 v46, 0x78, v43
	v_cmp_gt_u32_e32 vcc_lo, 0x79, v43
	v_or_b32_e32 v47, 0x800000, v44
	s_delay_alu instid0(VALU_DEP_3) | instskip(SKIP_2) | instid1(VALU_DEP_3)
	v_cndmask_b32_e32 v46, 0, v46, vcc_lo
	v_cmp_eq_u32_e32 vcc_lo, 0, v43
	v_add_nc_u32_e32 v43, 0xffffff89, v43
	v_cndmask_b32_e64 v46, v46, 0x77, vcc_lo
	v_cndmask_b32_e32 v44, v47, v44, vcc_lo
	s_delay_alu instid0(VALU_DEP_3) | instskip(NEXT) | instid1(VALU_DEP_3)
	v_cndmask_b32_e64 v43, v43, 0xffffff8a, vcc_lo
	v_lshl_add_u32 v47, 0x100000, v46, -1
	s_delay_alu instid0(VALU_DEP_3) | instskip(SKIP_1) | instid1(VALU_DEP_4)
	v_lshrrev_b32_e32 v56, v46, v44
	v_lshlrev_b32_e64 v58, v46, 0x80000
	v_add_nc_u32_e32 v46, v46, v43
	s_delay_alu instid0(VALU_DEP_4) | instskip(NEXT) | instid1(VALU_DEP_4)
	v_and_b32_e32 v44, v47, v44
	v_bfe_u32 v57, v56, 20, 1
	s_delay_alu instid0(VALU_DEP_2) | instskip(NEXT) | instid1(VALU_DEP_2)
	v_cmp_eq_u32_e64 s11, v44, v58
	v_add_nc_u32_e32 v47, -1, v57
	s_delay_alu instid0(VALU_DEP_1) | instskip(SKIP_2) | instid1(VALU_DEP_2)
	v_cndmask_b32_e64 v44, 0, v47, s11
	v_lshrrev_b32_e32 v47, 23, v56
	s_mov_b32 s11, exec_lo
	v_add_nc_u32_e32 v44, v44, v56
	s_delay_alu instid0(VALU_DEP_2) | instskip(NEXT) | instid1(VALU_DEP_2)
	v_xor_b32_e32 v47, 1, v47
	v_and_b32_e32 v43, 0xfffff, v44
	s_delay_alu instid0(VALU_DEP_1) | instskip(NEXT) | instid1(VALU_DEP_3)
	v_add_nc_u32_e32 v44, v43, v56
                                        ; implicit-def: $vgpr43
	v_cmpx_ne_u32_e64 v46, v47
	s_xor_b32 s11, exec_lo, s11
; %bb.1501:                             ;   in Loop: Header=BB6_143 Depth=2
	s_delay_alu instid0(VALU_DEP_2) | instskip(SKIP_2) | instid1(VALU_DEP_2)
	v_cmp_lt_u32_e32 vcc_lo, 0xffffff, v44
	v_sub_nc_u32_e32 v43, v46, v47
	v_cndmask_b32_e64 v46, 0, 1, vcc_lo
	v_add_co_ci_u32_e32 v43, vcc_lo, 0, v43, vcc_lo
	s_delay_alu instid0(VALU_DEP_2)
	v_lshrrev_b32_e32 v44, v46, v44
; %bb.1502:                             ;   in Loop: Header=BB6_143 Depth=2
	s_and_not1_saveexec_b32 s11, s11
; %bb.1503:                             ;   in Loop: Header=BB6_143 Depth=2
	s_delay_alu instid0(VALU_DEP_1)
	v_bfe_u32 v43, v44, 23, 1
; %bb.1504:                             ;   in Loop: Header=BB6_143 Depth=2
	s_or_b32 exec_lo, exec_lo, s11
	v_lshrrev_b32_e32 v44, 20, v44
	s_delay_alu instid0(VALU_DEP_2) | instskip(SKIP_2) | instid1(VALU_DEP_2)
	v_cmp_gt_i32_e32 vcc_lo, 16, v43
	v_lshrrev_b32_e32 v45, 24, v45
	v_min_i32_e32 v46, 15, v43
	v_dual_cndmask_b32 v44, 7, v44 :: v_dual_and_b32 v45, 0x80, v45
	s_delay_alu instid0(VALU_DEP_1) | instskip(SKIP_1) | instid1(VALU_DEP_2)
	v_or_b32_e32 v43, v43, v44
	v_and_b32_e32 v47, 7, v44
	v_cmp_ne_u32_e32 vcc_lo, 0, v43
	v_lshlrev_b32_e32 v46, 3, v46
	s_delay_alu instid0(VALU_DEP_1) | instskip(NEXT) | instid1(VALU_DEP_1)
	v_and_b32_e32 v46, 0xf8, v46
	v_or3_b32 v44, v46, v45, v47
	s_delay_alu instid0(VALU_DEP_1)
	v_cndmask_b32_e32 v43, 0, v44, vcc_lo
.LBB6_1505:                             ;   in Loop: Header=BB6_143 Depth=2
	s_or_b32 exec_lo, exec_lo, s27
.LBB6_1506:                             ;   in Loop: Header=BB6_143 Depth=2
	s_delay_alu instid0(SALU_CYCLE_1)
	s_or_b32 exec_lo, exec_lo, s26
	v_lshrrev_b32_e32 v45, 24, v25
	v_lshrrev_b32_e32 v44, 24, v21
	s_and_not1_b32 vcc_lo, exec_lo, s25
	s_cbranch_vccnz .LBB6_1516
; %bb.1507:                             ;   in Loop: Header=BB6_143 Depth=2
	s_mov_b32 s11, 0
	s_mov_b32 s27, exec_lo
                                        ; implicit-def: $sgpr26
	v_cmpx_lt_i16_e32 0x7f, v45
	s_xor_b32 s27, exec_lo, s27
	s_cbranch_execnz .LBB6_2749
; %bb.1508:                             ;   in Loop: Header=BB6_143 Depth=2
	s_or_saveexec_b32 s27, s27
	v_mov_b32_e32 v46, s26
	s_xor_b32 exec_lo, exec_lo, s27
	s_cbranch_execnz .LBB6_2752
.LBB6_1509:                             ;   in Loop: Header=BB6_143 Depth=2
	s_or_b32 exec_lo, exec_lo, s27
	s_and_saveexec_b32 s26, s11
	s_cbranch_execz .LBB6_1511
.LBB6_1510:                             ;   in Loop: Header=BB6_143 Depth=2
	v_bfe_u32 v46, v25, 24, 3
	v_bfe_u32 v57, v25, 27, 4
	s_delay_alu instid0(VALU_DEP_2) | instskip(NEXT) | instid1(VALU_DEP_2)
	v_clz_i32_u32_e32 v47, v46
	v_cmp_eq_u32_e32 vcc_lo, 0, v57
	s_delay_alu instid0(VALU_DEP_2) | instskip(NEXT) | instid1(VALU_DEP_1)
	v_min_u32_e32 v47, 32, v47
	v_subrev_nc_u32_e32 v56, 28, v47
	v_sub_nc_u32_e32 v47, 29, v47
	s_delay_alu instid0(VALU_DEP_1) | instskip(NEXT) | instid1(VALU_DEP_1)
	v_dual_cndmask_b32 v47, v57, v47 :: v_dual_lshlrev_b32 v56, v56, v45
	v_and_b32_e32 v56, 7, v56
	s_delay_alu instid0(VALU_DEP_2) | instskip(NEXT) | instid1(VALU_DEP_2)
	v_lshl_add_u32 v47, v47, 23, 0x3b800000
	v_cndmask_b32_e32 v46, v46, v56, vcc_lo
	v_and_b32_e32 v56, 0x80000000, v25
	s_delay_alu instid0(VALU_DEP_2) | instskip(NEXT) | instid1(VALU_DEP_1)
	v_lshlrev_b32_e32 v46, 20, v46
	v_or3_b32 v46, v56, v47, v46
.LBB6_1511:                             ;   in Loop: Header=BB6_143 Depth=2
	s_or_b32 exec_lo, exec_lo, s26
	s_mov_b32 s11, 0
	s_mov_b32 s27, exec_lo
                                        ; implicit-def: $sgpr26
	v_cmpx_lt_i16_e32 0x7f, v44
	s_xor_b32 s27, exec_lo, s27
	s_cbranch_execnz .LBB6_2753
; %bb.1512:                             ;   in Loop: Header=BB6_143 Depth=2
	s_or_saveexec_b32 s27, s27
	v_mov_b32_e32 v47, s26
	s_xor_b32 exec_lo, exec_lo, s27
	s_cbranch_execnz .LBB6_2756
.LBB6_1513:                             ;   in Loop: Header=BB6_143 Depth=2
	s_or_b32 exec_lo, exec_lo, s27
	s_and_saveexec_b32 s26, s11
	s_cbranch_execz .LBB6_1515
.LBB6_1514:                             ;   in Loop: Header=BB6_143 Depth=2
	v_bfe_u32 v47, v21, 24, 3
	v_bfe_u32 v58, v21, 27, 4
	s_delay_alu instid0(VALU_DEP_2) | instskip(NEXT) | instid1(VALU_DEP_2)
	v_clz_i32_u32_e32 v56, v47
	v_cmp_eq_u32_e32 vcc_lo, 0, v58
	s_delay_alu instid0(VALU_DEP_2) | instskip(NEXT) | instid1(VALU_DEP_1)
	v_min_u32_e32 v56, 32, v56
	v_subrev_nc_u32_e32 v57, 28, v56
	v_sub_nc_u32_e32 v56, 29, v56
	s_delay_alu instid0(VALU_DEP_2) | instskip(NEXT) | instid1(VALU_DEP_1)
	v_lshlrev_b32_e32 v57, v57, v44
	v_dual_cndmask_b32 v56, v58, v56 :: v_dual_and_b32 v57, 7, v57
	s_delay_alu instid0(VALU_DEP_1) | instskip(NEXT) | instid1(VALU_DEP_2)
	v_lshl_add_u32 v56, v56, 23, 0x3b800000
	v_cndmask_b32_e32 v47, v47, v57, vcc_lo
	v_and_b32_e32 v57, 0x80000000, v21
	s_delay_alu instid0(VALU_DEP_2) | instskip(NEXT) | instid1(VALU_DEP_1)
	v_lshlrev_b32_e32 v47, 20, v47
	v_or3_b32 v47, v57, v56, v47
.LBB6_1515:                             ;   in Loop: Header=BB6_143 Depth=2
	s_or_b32 exec_lo, exec_lo, s26
	s_delay_alu instid0(VALU_DEP_1) | instskip(SKIP_1) | instid1(VALU_DEP_1)
	v_dual_max_f32 v47, v47, v47 :: v_dual_max_f32 v46, v46, v46
	s_mov_b32 s11, 0
	v_max_f32_e32 v46, v46, v47
	s_branch .LBB6_1517
.LBB6_1516:                             ;   in Loop: Header=BB6_143 Depth=2
	s_mov_b32 s11, -1
                                        ; implicit-def: $vgpr46
.LBB6_1517:                             ;   in Loop: Header=BB6_143 Depth=2
	s_delay_alu instid0(SALU_CYCLE_1)
	s_and_b32 vcc_lo, exec_lo, s11
	s_cbranch_vccz .LBB6_1527
; %bb.1518:                             ;   in Loop: Header=BB6_143 Depth=2
	s_mov_b32 s11, 0
	s_mov_b32 s27, exec_lo
                                        ; implicit-def: $sgpr26
	v_cmpx_lt_i16_e32 0x7f, v45
	s_xor_b32 s27, exec_lo, s27
	s_cbranch_execnz .LBB6_2757
; %bb.1519:                             ;   in Loop: Header=BB6_143 Depth=2
	s_or_saveexec_b32 s27, s27
	v_mov_b32_e32 v46, s26
	s_xor_b32 exec_lo, exec_lo, s27
	s_cbranch_execnz .LBB6_2760
.LBB6_1520:                             ;   in Loop: Header=BB6_143 Depth=2
	s_or_b32 exec_lo, exec_lo, s27
	s_and_saveexec_b32 s26, s11
	s_cbranch_execz .LBB6_1522
.LBB6_1521:                             ;   in Loop: Header=BB6_143 Depth=2
	v_bfe_u32 v46, v25, 24, 3
	s_delay_alu instid0(VALU_DEP_1) | instskip(NEXT) | instid1(VALU_DEP_1)
	v_clz_i32_u32_e32 v47, v46
	v_min_u32_e32 v47, 32, v47
	s_delay_alu instid0(VALU_DEP_1) | instskip(SKIP_1) | instid1(VALU_DEP_2)
	v_subrev_nc_u32_e32 v56, 28, v47
	v_sub_nc_u32_e32 v47, 29, v47
	v_lshlrev_b32_e32 v45, v56, v45
	v_bfe_u32 v56, v25, 27, 4
	v_and_b32_e32 v25, 0x80000000, v25
	s_delay_alu instid0(VALU_DEP_3) | instskip(NEXT) | instid1(VALU_DEP_3)
	v_and_b32_e32 v45, 7, v45
	v_cmp_eq_u32_e32 vcc_lo, 0, v56
	v_cndmask_b32_e32 v47, v56, v47, vcc_lo
	s_delay_alu instid0(VALU_DEP_3) | instskip(NEXT) | instid1(VALU_DEP_2)
	v_cndmask_b32_e32 v45, v46, v45, vcc_lo
	v_lshl_add_u32 v46, v47, 23, 0x3b800000
	s_delay_alu instid0(VALU_DEP_2) | instskip(NEXT) | instid1(VALU_DEP_1)
	v_lshlrev_b32_e32 v45, 20, v45
	v_or3_b32 v46, v25, v46, v45
.LBB6_1522:                             ;   in Loop: Header=BB6_143 Depth=2
	s_or_b32 exec_lo, exec_lo, s26
	s_mov_b32 s11, 0
	s_mov_b32 s27, exec_lo
                                        ; implicit-def: $sgpr26
	v_cmpx_lt_i16_e32 0x7f, v44
	s_xor_b32 s27, exec_lo, s27
	s_cbranch_execnz .LBB6_2761
; %bb.1523:                             ;   in Loop: Header=BB6_143 Depth=2
	s_or_saveexec_b32 s27, s27
	v_mov_b32_e32 v25, s26
	s_xor_b32 exec_lo, exec_lo, s27
	s_cbranch_execnz .LBB6_2764
.LBB6_1524:                             ;   in Loop: Header=BB6_143 Depth=2
	s_or_b32 exec_lo, exec_lo, s27
	s_and_saveexec_b32 s26, s11
	s_cbranch_execz .LBB6_1526
.LBB6_1525:                             ;   in Loop: Header=BB6_143 Depth=2
	v_bfe_u32 v25, v21, 24, 3
	s_delay_alu instid0(VALU_DEP_1) | instskip(NEXT) | instid1(VALU_DEP_1)
	v_clz_i32_u32_e32 v45, v25
	v_min_u32_e32 v45, 32, v45
	s_delay_alu instid0(VALU_DEP_1) | instskip(SKIP_1) | instid1(VALU_DEP_2)
	v_subrev_nc_u32_e32 v47, 28, v45
	v_sub_nc_u32_e32 v45, 29, v45
	v_lshlrev_b32_e32 v44, v47, v44
	v_bfe_u32 v47, v21, 27, 4
	v_and_b32_e32 v21, 0x80000000, v21
	s_delay_alu instid0(VALU_DEP_2) | instskip(NEXT) | instid1(VALU_DEP_4)
	v_cmp_eq_u32_e32 vcc_lo, 0, v47
	v_dual_cndmask_b32 v45, v47, v45 :: v_dual_and_b32 v44, 7, v44
	s_delay_alu instid0(VALU_DEP_1) | instskip(NEXT) | instid1(VALU_DEP_2)
	v_cndmask_b32_e32 v25, v25, v44, vcc_lo
	v_lshl_add_u32 v44, v45, 23, 0x3b800000
	s_delay_alu instid0(VALU_DEP_2) | instskip(NEXT) | instid1(VALU_DEP_1)
	v_lshlrev_b32_e32 v25, 20, v25
	v_or3_b32 v25, v21, v44, v25
.LBB6_1526:                             ;   in Loop: Header=BB6_143 Depth=2
	s_or_b32 exec_lo, exec_lo, s26
	s_delay_alu instid0(VALU_DEP_1) | instskip(SKIP_1) | instid1(VALU_DEP_1)
	v_max_f32_e32 v21, v25, v25
	v_max_f32_e32 v25, v46, v46
	v_min_f32_e32 v46, v25, v21
.LBB6_1527:                             ;   in Loop: Header=BB6_143 Depth=2
	s_delay_alu instid0(VALU_DEP_1) | instskip(NEXT) | instid1(VALU_DEP_1)
	v_and_b32_e32 v21, 0x7f800000, v46
	v_cmp_ne_u32_e32 vcc_lo, 0x7f800000, v21
	v_mov_b32_e32 v21, 0x8000
	s_and_saveexec_b32 s26, vcc_lo
	s_cbranch_execz .LBB6_1535
; %bb.1528:                             ;   in Loop: Header=BB6_143 Depth=2
	v_mov_b32_e32 v21, 0
	s_mov_b32 s27, exec_lo
	v_cmpx_ne_u32_e32 0, v46
	s_cbranch_execz .LBB6_1534
; %bb.1529:                             ;   in Loop: Header=BB6_143 Depth=2
	v_bfe_u32 v21, v46, 23, 8
	s_delay_alu instid0(VALU_DEP_1) | instskip(SKIP_1) | instid1(VALU_DEP_2)
	v_sub_nc_u32_e32 v44, 0x78, v21
	v_cmp_gt_u32_e32 vcc_lo, 0x79, v21
	v_dual_cndmask_b32 v44, 0, v44 :: v_dual_and_b32 v25, 0x7fffff, v46
	s_delay_alu instid0(VALU_DEP_1) | instskip(SKIP_2) | instid1(VALU_DEP_4)
	v_or_b32_e32 v45, 0x800000, v25
	v_cmp_eq_u32_e32 vcc_lo, 0, v21
	v_add_nc_u32_e32 v21, 0xffffff89, v21
	v_cndmask_b32_e64 v44, v44, 0x77, vcc_lo
	s_delay_alu instid0(VALU_DEP_4) | instskip(NEXT) | instid1(VALU_DEP_3)
	v_cndmask_b32_e32 v25, v45, v25, vcc_lo
	v_cndmask_b32_e64 v21, v21, 0xffffff8a, vcc_lo
	s_delay_alu instid0(VALU_DEP_3) | instskip(NEXT) | instid1(VALU_DEP_3)
	v_lshl_add_u32 v45, 0x100000, v44, -1
	v_lshrrev_b32_e32 v47, v44, v25
	v_lshlrev_b32_e64 v57, v44, 0x80000
	s_delay_alu instid0(VALU_DEP_4) | instskip(NEXT) | instid1(VALU_DEP_4)
	v_add_nc_u32_e32 v44, v44, v21
	v_and_b32_e32 v25, v45, v25
	s_delay_alu instid0(VALU_DEP_4) | instskip(NEXT) | instid1(VALU_DEP_2)
	v_bfe_u32 v56, v47, 20, 1
	v_cmp_eq_u32_e64 s11, v25, v57
	s_delay_alu instid0(VALU_DEP_2) | instskip(NEXT) | instid1(VALU_DEP_1)
	v_add_nc_u32_e32 v45, -1, v56
	v_cndmask_b32_e64 v25, 0, v45, s11
	v_lshrrev_b32_e32 v45, 23, v47
	s_mov_b32 s11, exec_lo
	s_delay_alu instid0(VALU_DEP_2) | instskip(NEXT) | instid1(VALU_DEP_2)
	v_add_nc_u32_e32 v25, v25, v47
	v_xor_b32_e32 v45, 1, v45
	s_delay_alu instid0(VALU_DEP_2) | instskip(NEXT) | instid1(VALU_DEP_1)
	v_and_b32_e32 v21, 0xfffff, v25
	v_add_nc_u32_e32 v25, v21, v47
                                        ; implicit-def: $vgpr21
	s_delay_alu instid0(VALU_DEP_3)
	v_cmpx_ne_u32_e64 v44, v45
	s_xor_b32 s11, exec_lo, s11
; %bb.1530:                             ;   in Loop: Header=BB6_143 Depth=2
	s_delay_alu instid0(VALU_DEP_2) | instskip(SKIP_2) | instid1(VALU_DEP_2)
	v_cmp_lt_u32_e32 vcc_lo, 0xffffff, v25
	v_sub_nc_u32_e32 v21, v44, v45
	v_cndmask_b32_e64 v44, 0, 1, vcc_lo
	v_add_co_ci_u32_e32 v21, vcc_lo, 0, v21, vcc_lo
	s_delay_alu instid0(VALU_DEP_2)
	v_lshrrev_b32_e32 v25, v44, v25
; %bb.1531:                             ;   in Loop: Header=BB6_143 Depth=2
	s_and_not1_saveexec_b32 s11, s11
; %bb.1532:                             ;   in Loop: Header=BB6_143 Depth=2
	s_delay_alu instid0(VALU_DEP_1)
	v_bfe_u32 v21, v25, 23, 1
; %bb.1533:                             ;   in Loop: Header=BB6_143 Depth=2
	s_or_b32 exec_lo, exec_lo, s11
	v_lshrrev_b32_e32 v25, 20, v25
	s_delay_alu instid0(VALU_DEP_2) | instskip(SKIP_2) | instid1(VALU_DEP_2)
	v_cmp_gt_i32_e32 vcc_lo, 16, v21
	v_min_i32_e32 v44, 15, v21
	v_lshrrev_b32_e32 v45, 24, v46
	v_dual_cndmask_b32 v25, 7, v25 :: v_dual_lshlrev_b32 v44, 3, v44
	s_delay_alu instid0(VALU_DEP_2) | instskip(NEXT) | instid1(VALU_DEP_2)
	v_and_b32_e32 v45, 0x80, v45
	v_or_b32_e32 v21, v21, v25
	v_and_b32_e32 v46, 7, v25
	s_delay_alu instid0(VALU_DEP_2) | instskip(SKIP_1) | instid1(VALU_DEP_1)
	v_cmp_ne_u32_e32 vcc_lo, 0, v21
	v_and_b32_e32 v44, 0xf8, v44
	v_or3_b32 v44, v45, v44, v46
	s_delay_alu instid0(VALU_DEP_1) | instskip(NEXT) | instid1(VALU_DEP_1)
	v_lshlrev_b32_e32 v25, 8, v44
	v_cndmask_b32_e32 v21, 0, v25, vcc_lo
.LBB6_1534:                             ;   in Loop: Header=BB6_143 Depth=2
	s_or_b32 exec_lo, exec_lo, s27
.LBB6_1535:                             ;   in Loop: Header=BB6_143 Depth=2
	s_delay_alu instid0(SALU_CYCLE_1) | instskip(NEXT) | instid1(SALU_CYCLE_1)
	s_or_b32 exec_lo, exec_lo, s26
	s_and_not1_b32 vcc_lo, exec_lo, s25
	s_cbranch_vccnz .LBB6_1545
; %bb.1536:                             ;   in Loop: Header=BB6_143 Depth=2
	v_and_b32_e32 v44, 0xff, v14
	s_mov_b32 s11, 0
	s_mov_b32 s27, exec_lo
                                        ; implicit-def: $sgpr26
	s_delay_alu instid0(VALU_DEP_1)
	v_cmpx_lt_i16_e32 0x7f, v44
	s_xor_b32 s27, exec_lo, s27
	s_cbranch_execnz .LBB6_2765
; %bb.1537:                             ;   in Loop: Header=BB6_143 Depth=2
	s_or_saveexec_b32 s27, s27
	v_mov_b32_e32 v25, s26
	s_xor_b32 exec_lo, exec_lo, s27
	s_cbranch_execnz .LBB6_2768
.LBB6_1538:                             ;   in Loop: Header=BB6_143 Depth=2
	s_or_b32 exec_lo, exec_lo, s27
	s_and_saveexec_b32 s26, s11
	s_cbranch_execz .LBB6_1540
.LBB6_1539:                             ;   in Loop: Header=BB6_143 Depth=2
	v_bfe_u32 v46, v14, 3, 4
	v_lshlrev_b32_e32 v47, 24, v14
	s_delay_alu instid0(VALU_DEP_2) | instskip(SKIP_1) | instid1(VALU_DEP_1)
	v_cmp_eq_u32_e32 vcc_lo, 0, v46
	v_and_b32_e32 v25, 7, v14
	v_clz_i32_u32_e32 v44, v25
	s_delay_alu instid0(VALU_DEP_1) | instskip(NEXT) | instid1(VALU_DEP_1)
	v_min_u32_e32 v44, 32, v44
	v_subrev_nc_u32_e32 v45, 28, v44
	v_sub_nc_u32_e32 v44, 29, v44
	s_delay_alu instid0(VALU_DEP_1) | instskip(NEXT) | instid1(VALU_DEP_1)
	v_dual_cndmask_b32 v44, v46, v44 :: v_dual_lshlrev_b32 v45, v45, v14
	v_and_b32_e32 v45, 7, v45
	s_delay_alu instid0(VALU_DEP_2) | instskip(NEXT) | instid1(VALU_DEP_2)
	v_lshl_add_u32 v44, v44, 23, 0x3b800000
	v_cndmask_b32_e32 v25, v25, v45, vcc_lo
	v_and_b32_e32 v45, 0x80000000, v47
	s_delay_alu instid0(VALU_DEP_2) | instskip(NEXT) | instid1(VALU_DEP_1)
	v_lshlrev_b32_e32 v25, 20, v25
	v_or3_b32 v25, v45, v44, v25
.LBB6_1540:                             ;   in Loop: Header=BB6_143 Depth=2
	s_or_b32 exec_lo, exec_lo, s26
	s_waitcnt vmcnt(0)
	v_and_b32_e32 v45, 0xff, v10
	s_mov_b32 s11, 0
	s_mov_b32 s27, exec_lo
                                        ; implicit-def: $sgpr26
	s_delay_alu instid0(VALU_DEP_1)
	v_cmpx_lt_i16_e32 0x7f, v45
	s_xor_b32 s27, exec_lo, s27
	s_cbranch_execnz .LBB6_2769
; %bb.1541:                             ;   in Loop: Header=BB6_143 Depth=2
	s_or_saveexec_b32 s27, s27
	v_mov_b32_e32 v44, s26
	s_xor_b32 exec_lo, exec_lo, s27
	s_cbranch_execnz .LBB6_2772
.LBB6_1542:                             ;   in Loop: Header=BB6_143 Depth=2
	s_or_b32 exec_lo, exec_lo, s27
	s_and_saveexec_b32 s26, s11
	s_cbranch_execz .LBB6_1544
.LBB6_1543:                             ;   in Loop: Header=BB6_143 Depth=2
	v_bfe_u32 v47, v10, 3, 4
	v_lshlrev_b32_e32 v56, 24, v10
	s_delay_alu instid0(VALU_DEP_2) | instskip(SKIP_1) | instid1(VALU_DEP_1)
	v_cmp_eq_u32_e32 vcc_lo, 0, v47
	v_and_b32_e32 v44, 7, v10
	v_clz_i32_u32_e32 v45, v44
	s_delay_alu instid0(VALU_DEP_1) | instskip(NEXT) | instid1(VALU_DEP_1)
	v_min_u32_e32 v45, 32, v45
	v_subrev_nc_u32_e32 v46, 28, v45
	v_sub_nc_u32_e32 v45, 29, v45
	s_delay_alu instid0(VALU_DEP_1) | instskip(NEXT) | instid1(VALU_DEP_1)
	v_dual_cndmask_b32 v45, v47, v45 :: v_dual_lshlrev_b32 v46, v46, v10
	v_and_b32_e32 v46, 7, v46
	s_delay_alu instid0(VALU_DEP_2) | instskip(NEXT) | instid1(VALU_DEP_2)
	v_lshl_add_u32 v45, v45, 23, 0x3b800000
	v_cndmask_b32_e32 v44, v44, v46, vcc_lo
	v_and_b32_e32 v46, 0x80000000, v56
	s_delay_alu instid0(VALU_DEP_2) | instskip(NEXT) | instid1(VALU_DEP_1)
	v_lshlrev_b32_e32 v44, 20, v44
	v_or3_b32 v44, v46, v45, v44
.LBB6_1544:                             ;   in Loop: Header=BB6_143 Depth=2
	s_or_b32 exec_lo, exec_lo, s26
	s_delay_alu instid0(VALU_DEP_1) | instskip(SKIP_1) | instid1(VALU_DEP_1)
	v_dual_max_f32 v44, v44, v44 :: v_dual_max_f32 v25, v25, v25
	s_mov_b32 s11, 0
	v_max_f32_e32 v44, v25, v44
	s_branch .LBB6_1546
.LBB6_1545:                             ;   in Loop: Header=BB6_143 Depth=2
	s_mov_b32 s11, -1
                                        ; implicit-def: $vgpr44
.LBB6_1546:                             ;   in Loop: Header=BB6_143 Depth=2
	s_delay_alu instid0(SALU_CYCLE_1)
	s_and_b32 vcc_lo, exec_lo, s11
	s_cbranch_vccz .LBB6_1556
; %bb.1547:                             ;   in Loop: Header=BB6_143 Depth=2
	v_and_b32_e32 v44, 0xff, v14
	s_mov_b32 s11, 0
	s_mov_b32 s27, exec_lo
                                        ; implicit-def: $sgpr26
	s_delay_alu instid0(VALU_DEP_1)
	v_cmpx_lt_i16_e32 0x7f, v44
	s_xor_b32 s27, exec_lo, s27
	s_cbranch_execnz .LBB6_2773
; %bb.1548:                             ;   in Loop: Header=BB6_143 Depth=2
	s_or_saveexec_b32 s27, s27
	v_mov_b32_e32 v25, s26
	s_xor_b32 exec_lo, exec_lo, s27
	s_cbranch_execnz .LBB6_2776
.LBB6_1549:                             ;   in Loop: Header=BB6_143 Depth=2
	s_or_b32 exec_lo, exec_lo, s27
	s_and_saveexec_b32 s26, s11
	s_cbranch_execz .LBB6_1551
.LBB6_1550:                             ;   in Loop: Header=BB6_143 Depth=2
	v_bfe_u32 v46, v14, 3, 4
	v_lshlrev_b32_e32 v47, 24, v14
	s_delay_alu instid0(VALU_DEP_2) | instskip(SKIP_1) | instid1(VALU_DEP_1)
	v_cmp_eq_u32_e32 vcc_lo, 0, v46
	v_and_b32_e32 v25, 7, v14
	v_clz_i32_u32_e32 v44, v25
	s_delay_alu instid0(VALU_DEP_1) | instskip(NEXT) | instid1(VALU_DEP_1)
	v_min_u32_e32 v44, 32, v44
	v_subrev_nc_u32_e32 v45, 28, v44
	v_sub_nc_u32_e32 v44, 29, v44
	s_delay_alu instid0(VALU_DEP_1) | instskip(NEXT) | instid1(VALU_DEP_1)
	v_dual_cndmask_b32 v44, v46, v44 :: v_dual_lshlrev_b32 v45, v45, v14
	v_and_b32_e32 v45, 7, v45
	s_delay_alu instid0(VALU_DEP_2) | instskip(NEXT) | instid1(VALU_DEP_2)
	v_lshl_add_u32 v44, v44, 23, 0x3b800000
	v_cndmask_b32_e32 v25, v25, v45, vcc_lo
	v_and_b32_e32 v45, 0x80000000, v47
	s_delay_alu instid0(VALU_DEP_2) | instskip(NEXT) | instid1(VALU_DEP_1)
	v_lshlrev_b32_e32 v25, 20, v25
	v_or3_b32 v25, v45, v44, v25
.LBB6_1551:                             ;   in Loop: Header=BB6_143 Depth=2
	s_or_b32 exec_lo, exec_lo, s26
	s_waitcnt vmcnt(0)
	v_and_b32_e32 v45, 0xff, v10
	s_mov_b32 s11, 0
	s_mov_b32 s27, exec_lo
                                        ; implicit-def: $sgpr26
	s_delay_alu instid0(VALU_DEP_1)
	v_cmpx_lt_i16_e32 0x7f, v45
	s_xor_b32 s27, exec_lo, s27
	s_cbranch_execnz .LBB6_2777
; %bb.1552:                             ;   in Loop: Header=BB6_143 Depth=2
	s_or_saveexec_b32 s27, s27
	v_mov_b32_e32 v44, s26
	s_xor_b32 exec_lo, exec_lo, s27
	s_cbranch_execnz .LBB6_2780
.LBB6_1553:                             ;   in Loop: Header=BB6_143 Depth=2
	s_or_b32 exec_lo, exec_lo, s27
	s_and_saveexec_b32 s26, s11
	s_cbranch_execz .LBB6_1555
.LBB6_1554:                             ;   in Loop: Header=BB6_143 Depth=2
	v_bfe_u32 v47, v10, 3, 4
	v_lshlrev_b32_e32 v56, 24, v10
	s_delay_alu instid0(VALU_DEP_2) | instskip(SKIP_1) | instid1(VALU_DEP_1)
	v_cmp_eq_u32_e32 vcc_lo, 0, v47
	v_and_b32_e32 v44, 7, v10
	v_clz_i32_u32_e32 v45, v44
	s_delay_alu instid0(VALU_DEP_1) | instskip(NEXT) | instid1(VALU_DEP_1)
	v_min_u32_e32 v45, 32, v45
	v_subrev_nc_u32_e32 v46, 28, v45
	v_sub_nc_u32_e32 v45, 29, v45
	s_delay_alu instid0(VALU_DEP_1) | instskip(NEXT) | instid1(VALU_DEP_1)
	v_dual_cndmask_b32 v45, v47, v45 :: v_dual_lshlrev_b32 v46, v46, v10
	v_and_b32_e32 v46, 7, v46
	s_delay_alu instid0(VALU_DEP_2) | instskip(NEXT) | instid1(VALU_DEP_2)
	v_lshl_add_u32 v45, v45, 23, 0x3b800000
	v_cndmask_b32_e32 v44, v44, v46, vcc_lo
	v_and_b32_e32 v46, 0x80000000, v56
	s_delay_alu instid0(VALU_DEP_2) | instskip(NEXT) | instid1(VALU_DEP_1)
	v_lshlrev_b32_e32 v44, 20, v44
	v_or3_b32 v44, v46, v45, v44
.LBB6_1555:                             ;   in Loop: Header=BB6_143 Depth=2
	s_or_b32 exec_lo, exec_lo, s26
	s_delay_alu instid0(VALU_DEP_1) | instskip(NEXT) | instid1(VALU_DEP_1)
	v_dual_max_f32 v44, v44, v44 :: v_dual_max_f32 v25, v25, v25
	v_min_f32_e32 v44, v25, v44
.LBB6_1556:                             ;   in Loop: Header=BB6_143 Depth=2
	s_delay_alu instid0(VALU_DEP_1) | instskip(NEXT) | instid1(VALU_DEP_1)
	v_and_b32_e32 v25, 0x7f800000, v44
	v_cmp_ne_u32_e32 vcc_lo, 0x7f800000, v25
	v_mov_b32_e32 v25, 0x80
	s_and_saveexec_b32 s26, vcc_lo
	s_cbranch_execz .LBB6_1564
; %bb.1557:                             ;   in Loop: Header=BB6_143 Depth=2
	v_mov_b32_e32 v25, 0
	s_mov_b32 s27, exec_lo
	v_cmpx_ne_u32_e32 0, v44
	s_cbranch_execz .LBB6_1563
; %bb.1558:                             ;   in Loop: Header=BB6_143 Depth=2
	v_bfe_u32 v25, v44, 23, 8
	s_delay_alu instid0(VALU_DEP_1) | instskip(SKIP_1) | instid1(VALU_DEP_2)
	v_sub_nc_u32_e32 v46, 0x78, v25
	v_cmp_gt_u32_e32 vcc_lo, 0x79, v25
	v_dual_cndmask_b32 v46, 0, v46 :: v_dual_and_b32 v45, 0x7fffff, v44
	s_delay_alu instid0(VALU_DEP_1) | instskip(SKIP_2) | instid1(VALU_DEP_4)
	v_or_b32_e32 v47, 0x800000, v45
	v_cmp_eq_u32_e32 vcc_lo, 0, v25
	v_add_nc_u32_e32 v25, 0xffffff89, v25
	v_cndmask_b32_e64 v46, v46, 0x77, vcc_lo
	s_delay_alu instid0(VALU_DEP_4) | instskip(NEXT) | instid1(VALU_DEP_3)
	v_cndmask_b32_e32 v45, v47, v45, vcc_lo
	v_cndmask_b32_e64 v25, v25, 0xffffff8a, vcc_lo
	s_delay_alu instid0(VALU_DEP_3) | instskip(NEXT) | instid1(VALU_DEP_3)
	v_lshl_add_u32 v47, 0x100000, v46, -1
	v_lshrrev_b32_e32 v56, v46, v45
	v_lshlrev_b32_e64 v58, v46, 0x80000
	s_delay_alu instid0(VALU_DEP_4) | instskip(NEXT) | instid1(VALU_DEP_4)
	v_add_nc_u32_e32 v46, v46, v25
	v_and_b32_e32 v45, v47, v45
	s_delay_alu instid0(VALU_DEP_4) | instskip(NEXT) | instid1(VALU_DEP_2)
	v_bfe_u32 v57, v56, 20, 1
	v_cmp_eq_u32_e64 s11, v45, v58
	s_delay_alu instid0(VALU_DEP_2) | instskip(NEXT) | instid1(VALU_DEP_1)
	v_add_nc_u32_e32 v47, -1, v57
	v_cndmask_b32_e64 v45, 0, v47, s11
	v_lshrrev_b32_e32 v47, 23, v56
	s_mov_b32 s11, exec_lo
	s_delay_alu instid0(VALU_DEP_2) | instskip(NEXT) | instid1(VALU_DEP_2)
	v_add_nc_u32_e32 v45, v45, v56
	v_xor_b32_e32 v47, 1, v47
	s_delay_alu instid0(VALU_DEP_2) | instskip(NEXT) | instid1(VALU_DEP_1)
	v_and_b32_e32 v25, 0xfffff, v45
	v_add_nc_u32_e32 v45, v25, v56
                                        ; implicit-def: $vgpr25
	s_delay_alu instid0(VALU_DEP_3)
	v_cmpx_ne_u32_e64 v46, v47
	s_xor_b32 s11, exec_lo, s11
; %bb.1559:                             ;   in Loop: Header=BB6_143 Depth=2
	s_delay_alu instid0(VALU_DEP_2) | instskip(SKIP_2) | instid1(VALU_DEP_2)
	v_cmp_lt_u32_e32 vcc_lo, 0xffffff, v45
	v_sub_nc_u32_e32 v25, v46, v47
	v_cndmask_b32_e64 v46, 0, 1, vcc_lo
	v_add_co_ci_u32_e32 v25, vcc_lo, 0, v25, vcc_lo
	s_delay_alu instid0(VALU_DEP_2)
	v_lshrrev_b32_e32 v45, v46, v45
; %bb.1560:                             ;   in Loop: Header=BB6_143 Depth=2
	s_and_not1_saveexec_b32 s11, s11
; %bb.1561:                             ;   in Loop: Header=BB6_143 Depth=2
	s_delay_alu instid0(VALU_DEP_1)
	v_bfe_u32 v25, v45, 23, 1
; %bb.1562:                             ;   in Loop: Header=BB6_143 Depth=2
	s_or_b32 exec_lo, exec_lo, s11
	v_lshrrev_b32_e32 v45, 20, v45
	s_delay_alu instid0(VALU_DEP_2) | instskip(SKIP_2) | instid1(VALU_DEP_2)
	v_cmp_gt_i32_e32 vcc_lo, 16, v25
	v_lshrrev_b32_e32 v44, 24, v44
	v_min_i32_e32 v46, 15, v25
	v_dual_cndmask_b32 v45, 7, v45 :: v_dual_and_b32 v44, 0x80, v44
	s_delay_alu instid0(VALU_DEP_1) | instskip(SKIP_1) | instid1(VALU_DEP_2)
	v_or_b32_e32 v25, v25, v45
	v_and_b32_e32 v47, 7, v45
	v_cmp_ne_u32_e32 vcc_lo, 0, v25
	v_lshlrev_b32_e32 v46, 3, v46
	s_delay_alu instid0(VALU_DEP_1) | instskip(NEXT) | instid1(VALU_DEP_1)
	v_or3_b32 v44, v46, v44, v47
	v_cndmask_b32_e32 v25, 0, v44, vcc_lo
.LBB6_1563:                             ;   in Loop: Header=BB6_143 Depth=2
	s_or_b32 exec_lo, exec_lo, s27
.LBB6_1564:                             ;   in Loop: Header=BB6_143 Depth=2
	s_delay_alu instid0(SALU_CYCLE_1)
	s_or_b32 exec_lo, exec_lo, s26
	v_lshrrev_b16 v45, 8, v14
	s_waitcnt vmcnt(0)
	v_lshrrev_b16 v44, 8, v10
	s_and_not1_b32 vcc_lo, exec_lo, s25
	s_cbranch_vccnz .LBB6_1574
; %bb.1565:                             ;   in Loop: Header=BB6_143 Depth=2
	s_mov_b32 s11, 0
	s_mov_b32 s27, exec_lo
                                        ; implicit-def: $sgpr26
	v_cmpx_lt_i16_e32 0x7f, v45
	s_xor_b32 s27, exec_lo, s27
	s_cbranch_execnz .LBB6_2781
; %bb.1566:                             ;   in Loop: Header=BB6_143 Depth=2
	s_or_saveexec_b32 s27, s27
	v_mov_b32_e32 v46, s26
	s_xor_b32 exec_lo, exec_lo, s27
	s_cbranch_execnz .LBB6_2784
.LBB6_1567:                             ;   in Loop: Header=BB6_143 Depth=2
	s_or_b32 exec_lo, exec_lo, s27
	s_and_saveexec_b32 s26, s11
	s_cbranch_execz .LBB6_1569
.LBB6_1568:                             ;   in Loop: Header=BB6_143 Depth=2
	v_and_b32_e32 v46, 0xffff, v45
	s_delay_alu instid0(VALU_DEP_1) | instskip(NEXT) | instid1(VALU_DEP_1)
	v_and_b32_e32 v47, 7, v46
	v_clz_i32_u32_e32 v56, v47
	s_delay_alu instid0(VALU_DEP_1) | instskip(NEXT) | instid1(VALU_DEP_1)
	v_min_u32_e32 v56, 32, v56
	v_subrev_nc_u32_e32 v57, 28, v56
	v_sub_nc_u32_e32 v56, 29, v56
	s_delay_alu instid0(VALU_DEP_2) | instskip(SKIP_1) | instid1(VALU_DEP_2)
	v_lshlrev_b32_e32 v57, v57, v46
	v_bfe_u32 v46, v46, 3, 4
	v_and_b32_e32 v57, 7, v57
	s_delay_alu instid0(VALU_DEP_2) | instskip(SKIP_1) | instid1(VALU_DEP_3)
	v_cmp_eq_u32_e32 vcc_lo, 0, v46
	v_cndmask_b32_e32 v46, v46, v56, vcc_lo
	v_dual_cndmask_b32 v47, v47, v57 :: v_dual_lshlrev_b32 v58, 16, v14
	s_delay_alu instid0(VALU_DEP_2) | instskip(NEXT) | instid1(VALU_DEP_2)
	v_lshl_add_u32 v46, v46, 23, 0x3b800000
	v_and_b32_e32 v56, 0x80000000, v58
	s_delay_alu instid0(VALU_DEP_3) | instskip(NEXT) | instid1(VALU_DEP_1)
	v_lshlrev_b32_e32 v47, 20, v47
	v_or3_b32 v46, v56, v46, v47
.LBB6_1569:                             ;   in Loop: Header=BB6_143 Depth=2
	s_or_b32 exec_lo, exec_lo, s26
	s_mov_b32 s11, 0
	s_mov_b32 s27, exec_lo
                                        ; implicit-def: $sgpr26
	v_cmpx_lt_i16_e32 0x7f, v44
	s_xor_b32 s27, exec_lo, s27
	s_cbranch_execnz .LBB6_2785
; %bb.1570:                             ;   in Loop: Header=BB6_143 Depth=2
	s_or_saveexec_b32 s27, s27
	v_mov_b32_e32 v47, s26
	s_xor_b32 exec_lo, exec_lo, s27
	s_cbranch_execnz .LBB6_2788
.LBB6_1571:                             ;   in Loop: Header=BB6_143 Depth=2
	s_or_b32 exec_lo, exec_lo, s27
	s_and_saveexec_b32 s26, s11
	s_cbranch_execz .LBB6_1573
.LBB6_1572:                             ;   in Loop: Header=BB6_143 Depth=2
	v_and_b32_e32 v47, 0xffff, v44
	v_lshlrev_b32_e32 v59, 16, v10
	s_delay_alu instid0(VALU_DEP_2) | instskip(NEXT) | instid1(VALU_DEP_1)
	v_and_b32_e32 v56, 7, v47
	v_clz_i32_u32_e32 v57, v56
	s_delay_alu instid0(VALU_DEP_1) | instskip(NEXT) | instid1(VALU_DEP_1)
	v_min_u32_e32 v57, 32, v57
	v_subrev_nc_u32_e32 v58, 28, v57
	v_sub_nc_u32_e32 v57, 29, v57
	s_delay_alu instid0(VALU_DEP_2) | instskip(SKIP_1) | instid1(VALU_DEP_2)
	v_lshlrev_b32_e32 v58, v58, v47
	v_bfe_u32 v47, v47, 3, 4
	v_and_b32_e32 v58, 7, v58
	s_delay_alu instid0(VALU_DEP_2) | instskip(NEXT) | instid1(VALU_DEP_2)
	v_cmp_eq_u32_e32 vcc_lo, 0, v47
	v_dual_cndmask_b32 v47, v47, v57 :: v_dual_cndmask_b32 v56, v56, v58
	v_and_b32_e32 v57, 0x80000000, v59
	s_delay_alu instid0(VALU_DEP_2) | instskip(NEXT) | instid1(VALU_DEP_3)
	v_lshl_add_u32 v47, v47, 23, 0x3b800000
	v_lshlrev_b32_e32 v56, 20, v56
	s_delay_alu instid0(VALU_DEP_1)
	v_or3_b32 v47, v57, v47, v56
.LBB6_1573:                             ;   in Loop: Header=BB6_143 Depth=2
	s_or_b32 exec_lo, exec_lo, s26
	s_delay_alu instid0(VALU_DEP_1) | instskip(SKIP_1) | instid1(VALU_DEP_1)
	v_dual_max_f32 v47, v47, v47 :: v_dual_max_f32 v46, v46, v46
	s_mov_b32 s11, 0
	v_max_f32_e32 v46, v46, v47
	s_branch .LBB6_1575
.LBB6_1574:                             ;   in Loop: Header=BB6_143 Depth=2
	s_mov_b32 s11, -1
                                        ; implicit-def: $vgpr46
.LBB6_1575:                             ;   in Loop: Header=BB6_143 Depth=2
	s_delay_alu instid0(SALU_CYCLE_1)
	s_and_b32 vcc_lo, exec_lo, s11
	s_cbranch_vccz .LBB6_1585
; %bb.1576:                             ;   in Loop: Header=BB6_143 Depth=2
	s_mov_b32 s11, 0
	s_mov_b32 s27, exec_lo
                                        ; implicit-def: $sgpr26
	v_cmpx_lt_i16_e32 0x7f, v45
	s_xor_b32 s27, exec_lo, s27
	s_cbranch_execnz .LBB6_2789
; %bb.1577:                             ;   in Loop: Header=BB6_143 Depth=2
	s_or_saveexec_b32 s27, s27
	v_mov_b32_e32 v46, s26
	s_xor_b32 exec_lo, exec_lo, s27
	s_cbranch_execnz .LBB6_2792
.LBB6_1578:                             ;   in Loop: Header=BB6_143 Depth=2
	s_or_b32 exec_lo, exec_lo, s27
	s_and_saveexec_b32 s26, s11
	s_cbranch_execz .LBB6_1580
.LBB6_1579:                             ;   in Loop: Header=BB6_143 Depth=2
	v_and_b32_e32 v45, 0xffff, v45
	v_lshlrev_b32_e32 v57, 16, v14
	s_delay_alu instid0(VALU_DEP_2) | instskip(NEXT) | instid1(VALU_DEP_1)
	v_and_b32_e32 v46, 7, v45
	v_clz_i32_u32_e32 v47, v46
	s_delay_alu instid0(VALU_DEP_1) | instskip(NEXT) | instid1(VALU_DEP_1)
	v_min_u32_e32 v47, 32, v47
	v_subrev_nc_u32_e32 v56, 28, v47
	v_sub_nc_u32_e32 v47, 29, v47
	s_delay_alu instid0(VALU_DEP_2) | instskip(SKIP_1) | instid1(VALU_DEP_2)
	v_lshlrev_b32_e32 v56, v56, v45
	v_bfe_u32 v45, v45, 3, 4
	v_and_b32_e32 v56, 7, v56
	s_delay_alu instid0(VALU_DEP_2) | instskip(NEXT) | instid1(VALU_DEP_2)
	v_cmp_eq_u32_e32 vcc_lo, 0, v45
	v_dual_cndmask_b32 v45, v45, v47 :: v_dual_cndmask_b32 v46, v46, v56
	v_and_b32_e32 v47, 0x80000000, v57
	s_delay_alu instid0(VALU_DEP_2) | instskip(NEXT) | instid1(VALU_DEP_3)
	v_lshl_add_u32 v45, v45, 23, 0x3b800000
	v_lshlrev_b32_e32 v46, 20, v46
	s_delay_alu instid0(VALU_DEP_1)
	v_or3_b32 v46, v47, v45, v46
.LBB6_1580:                             ;   in Loop: Header=BB6_143 Depth=2
	s_or_b32 exec_lo, exec_lo, s26
	s_mov_b32 s11, 0
	s_mov_b32 s27, exec_lo
                                        ; implicit-def: $sgpr26
	v_cmpx_lt_i16_e32 0x7f, v44
	s_xor_b32 s27, exec_lo, s27
	s_cbranch_execnz .LBB6_2793
; %bb.1581:                             ;   in Loop: Header=BB6_143 Depth=2
	s_or_saveexec_b32 s27, s27
	v_mov_b32_e32 v45, s26
	s_xor_b32 exec_lo, exec_lo, s27
	s_cbranch_execnz .LBB6_2796
.LBB6_1582:                             ;   in Loop: Header=BB6_143 Depth=2
	s_or_b32 exec_lo, exec_lo, s27
	s_and_saveexec_b32 s26, s11
	s_cbranch_execz .LBB6_1584
.LBB6_1583:                             ;   in Loop: Header=BB6_143 Depth=2
	v_and_b32_e32 v44, 0xffff, v44
	v_lshlrev_b32_e32 v57, 16, v10
	s_delay_alu instid0(VALU_DEP_2) | instskip(NEXT) | instid1(VALU_DEP_1)
	v_and_b32_e32 v45, 7, v44
	v_clz_i32_u32_e32 v47, v45
	s_delay_alu instid0(VALU_DEP_1) | instskip(NEXT) | instid1(VALU_DEP_1)
	v_min_u32_e32 v47, 32, v47
	v_subrev_nc_u32_e32 v56, 28, v47
	v_sub_nc_u32_e32 v47, 29, v47
	s_delay_alu instid0(VALU_DEP_2) | instskip(SKIP_1) | instid1(VALU_DEP_2)
	v_lshlrev_b32_e32 v56, v56, v44
	v_bfe_u32 v44, v44, 3, 4
	v_and_b32_e32 v56, 7, v56
	s_delay_alu instid0(VALU_DEP_2) | instskip(NEXT) | instid1(VALU_DEP_2)
	v_cmp_eq_u32_e32 vcc_lo, 0, v44
	v_dual_cndmask_b32 v44, v44, v47 :: v_dual_cndmask_b32 v45, v45, v56
	v_and_b32_e32 v47, 0x80000000, v57
	s_delay_alu instid0(VALU_DEP_2) | instskip(NEXT) | instid1(VALU_DEP_3)
	v_lshl_add_u32 v44, v44, 23, 0x3b800000
	v_lshlrev_b32_e32 v45, 20, v45
	s_delay_alu instid0(VALU_DEP_1)
	v_or3_b32 v45, v47, v44, v45
.LBB6_1584:                             ;   in Loop: Header=BB6_143 Depth=2
	s_or_b32 exec_lo, exec_lo, s26
	s_delay_alu instid0(VALU_DEP_1) | instskip(NEXT) | instid1(VALU_DEP_1)
	v_dual_max_f32 v44, v45, v45 :: v_dual_max_f32 v45, v46, v46
	v_min_f32_e32 v46, v45, v44
.LBB6_1585:                             ;   in Loop: Header=BB6_143 Depth=2
	s_delay_alu instid0(VALU_DEP_1) | instskip(NEXT) | instid1(VALU_DEP_1)
	v_and_b32_e32 v44, 0x7f800000, v46
	v_cmp_ne_u32_e32 vcc_lo, 0x7f800000, v44
	v_mov_b32_e32 v44, 0x80
	s_and_saveexec_b32 s26, vcc_lo
	s_cbranch_execz .LBB6_1593
; %bb.1586:                             ;   in Loop: Header=BB6_143 Depth=2
	v_mov_b32_e32 v44, 0
	s_mov_b32 s27, exec_lo
	v_cmpx_ne_u32_e32 0, v46
	s_cbranch_execz .LBB6_1592
; %bb.1587:                             ;   in Loop: Header=BB6_143 Depth=2
	v_bfe_u32 v44, v46, 23, 8
	v_and_b32_e32 v45, 0x7fffff, v46
	s_delay_alu instid0(VALU_DEP_2) | instskip(SKIP_1) | instid1(VALU_DEP_3)
	v_sub_nc_u32_e32 v47, 0x78, v44
	v_cmp_gt_u32_e32 vcc_lo, 0x79, v44
	v_or_b32_e32 v56, 0x800000, v45
	s_delay_alu instid0(VALU_DEP_3) | instskip(SKIP_2) | instid1(VALU_DEP_3)
	v_cndmask_b32_e32 v47, 0, v47, vcc_lo
	v_cmp_eq_u32_e32 vcc_lo, 0, v44
	v_add_nc_u32_e32 v44, 0xffffff89, v44
	v_cndmask_b32_e64 v47, v47, 0x77, vcc_lo
	v_cndmask_b32_e32 v45, v56, v45, vcc_lo
	s_delay_alu instid0(VALU_DEP_3) | instskip(NEXT) | instid1(VALU_DEP_3)
	v_cndmask_b32_e64 v44, v44, 0xffffff8a, vcc_lo
	v_lshl_add_u32 v56, 0x100000, v47, -1
	s_delay_alu instid0(VALU_DEP_3) | instskip(SKIP_1) | instid1(VALU_DEP_4)
	v_lshrrev_b32_e32 v57, v47, v45
	v_lshlrev_b32_e64 v59, v47, 0x80000
	v_add_nc_u32_e32 v47, v47, v44
	s_delay_alu instid0(VALU_DEP_4) | instskip(NEXT) | instid1(VALU_DEP_4)
	v_and_b32_e32 v45, v56, v45
	v_bfe_u32 v58, v57, 20, 1
	s_delay_alu instid0(VALU_DEP_2) | instskip(NEXT) | instid1(VALU_DEP_2)
	v_cmp_eq_u32_e64 s11, v45, v59
	v_add_nc_u32_e32 v56, -1, v58
	s_delay_alu instid0(VALU_DEP_1) | instskip(SKIP_2) | instid1(VALU_DEP_2)
	v_cndmask_b32_e64 v45, 0, v56, s11
	v_lshrrev_b32_e32 v56, 23, v57
	s_mov_b32 s11, exec_lo
	v_add_nc_u32_e32 v45, v45, v57
	s_delay_alu instid0(VALU_DEP_2) | instskip(NEXT) | instid1(VALU_DEP_2)
	v_xor_b32_e32 v56, 1, v56
	v_and_b32_e32 v44, 0xfffff, v45
	s_delay_alu instid0(VALU_DEP_1) | instskip(NEXT) | instid1(VALU_DEP_3)
	v_add_nc_u32_e32 v45, v44, v57
                                        ; implicit-def: $vgpr44
	v_cmpx_ne_u32_e64 v47, v56
	s_xor_b32 s11, exec_lo, s11
; %bb.1588:                             ;   in Loop: Header=BB6_143 Depth=2
	s_delay_alu instid0(VALU_DEP_2) | instskip(SKIP_2) | instid1(VALU_DEP_2)
	v_cmp_lt_u32_e32 vcc_lo, 0xffffff, v45
	v_sub_nc_u32_e32 v44, v47, v56
	v_cndmask_b32_e64 v47, 0, 1, vcc_lo
	v_add_co_ci_u32_e32 v44, vcc_lo, 0, v44, vcc_lo
	s_delay_alu instid0(VALU_DEP_2)
	v_lshrrev_b32_e32 v45, v47, v45
; %bb.1589:                             ;   in Loop: Header=BB6_143 Depth=2
	s_and_not1_saveexec_b32 s11, s11
; %bb.1590:                             ;   in Loop: Header=BB6_143 Depth=2
	s_delay_alu instid0(VALU_DEP_1)
	v_bfe_u32 v44, v45, 23, 1
; %bb.1591:                             ;   in Loop: Header=BB6_143 Depth=2
	s_or_b32 exec_lo, exec_lo, s11
	v_lshrrev_b32_e32 v45, 20, v45
	s_delay_alu instid0(VALU_DEP_2) | instskip(SKIP_2) | instid1(VALU_DEP_2)
	v_cmp_gt_i32_e32 vcc_lo, 16, v44
	v_lshrrev_b32_e32 v46, 24, v46
	v_min_i32_e32 v47, 15, v44
	v_dual_cndmask_b32 v45, 7, v45 :: v_dual_and_b32 v46, 0x80, v46
	s_delay_alu instid0(VALU_DEP_1) | instskip(SKIP_1) | instid1(VALU_DEP_2)
	v_or_b32_e32 v44, v44, v45
	v_and_b32_e32 v56, 7, v45
	v_cmp_ne_u32_e32 vcc_lo, 0, v44
	v_lshlrev_b32_e32 v47, 3, v47
	s_delay_alu instid0(VALU_DEP_1) | instskip(NEXT) | instid1(VALU_DEP_1)
	v_or3_b32 v45, v47, v46, v56
	v_cndmask_b32_e32 v44, 0, v45, vcc_lo
.LBB6_1592:                             ;   in Loop: Header=BB6_143 Depth=2
	s_or_b32 exec_lo, exec_lo, s27
.LBB6_1593:                             ;   in Loop: Header=BB6_143 Depth=2
	s_delay_alu instid0(SALU_CYCLE_1)
	s_or_b32 exec_lo, exec_lo, s26
	v_lshrrev_b32_e32 v46, 16, v14
	v_lshrrev_b32_e32 v45, 16, v10
	s_and_not1_b32 vcc_lo, exec_lo, s25
	s_cbranch_vccnz .LBB6_1603
; %bb.1594:                             ;   in Loop: Header=BB6_143 Depth=2
	s_delay_alu instid0(VALU_DEP_2) | instskip(SKIP_2) | instid1(VALU_DEP_1)
	v_and_b32_e32 v56, 0xff, v46
	s_mov_b32 s11, 0
	s_mov_b32 s27, exec_lo
                                        ; implicit-def: $sgpr26
	v_cmpx_lt_i16_e32 0x7f, v56
	s_xor_b32 s27, exec_lo, s27
	s_cbranch_execnz .LBB6_2797
; %bb.1595:                             ;   in Loop: Header=BB6_143 Depth=2
	s_or_saveexec_b32 s27, s27
	v_mov_b32_e32 v47, s26
	s_xor_b32 exec_lo, exec_lo, s27
	s_cbranch_execnz .LBB6_2800
.LBB6_1596:                             ;   in Loop: Header=BB6_143 Depth=2
	s_or_b32 exec_lo, exec_lo, s27
	s_and_saveexec_b32 s26, s11
	s_cbranch_execz .LBB6_1598
.LBB6_1597:                             ;   in Loop: Header=BB6_143 Depth=2
	v_bfe_u32 v47, v14, 16, 3
	v_bfe_u32 v58, v14, 19, 4
	v_lshlrev_b32_e32 v59, 24, v46
	s_delay_alu instid0(VALU_DEP_3) | instskip(NEXT) | instid1(VALU_DEP_3)
	v_clz_i32_u32_e32 v56, v47
	v_cmp_eq_u32_e32 vcc_lo, 0, v58
	s_delay_alu instid0(VALU_DEP_2) | instskip(NEXT) | instid1(VALU_DEP_1)
	v_min_u32_e32 v56, 32, v56
	v_subrev_nc_u32_e32 v57, 28, v56
	v_sub_nc_u32_e32 v56, 29, v56
	s_delay_alu instid0(VALU_DEP_1) | instskip(NEXT) | instid1(VALU_DEP_1)
	v_dual_cndmask_b32 v56, v58, v56 :: v_dual_lshlrev_b32 v57, v57, v46
	v_and_b32_e32 v57, 7, v57
	s_delay_alu instid0(VALU_DEP_2) | instskip(NEXT) | instid1(VALU_DEP_2)
	v_lshl_add_u32 v56, v56, 23, 0x3b800000
	v_cndmask_b32_e32 v47, v47, v57, vcc_lo
	v_and_b32_e32 v57, 0x80000000, v59
	s_delay_alu instid0(VALU_DEP_2) | instskip(NEXT) | instid1(VALU_DEP_1)
	v_lshlrev_b32_e32 v47, 20, v47
	v_or3_b32 v47, v57, v56, v47
.LBB6_1598:                             ;   in Loop: Header=BB6_143 Depth=2
	s_or_b32 exec_lo, exec_lo, s26
	v_and_b32_e32 v57, 0xff, v45
	s_mov_b32 s11, 0
	s_mov_b32 s27, exec_lo
                                        ; implicit-def: $sgpr26
	s_delay_alu instid0(VALU_DEP_1)
	v_cmpx_lt_i16_e32 0x7f, v57
	s_xor_b32 s27, exec_lo, s27
	s_cbranch_execnz .LBB6_2801
; %bb.1599:                             ;   in Loop: Header=BB6_143 Depth=2
	s_or_saveexec_b32 s27, s27
	v_mov_b32_e32 v56, s26
	s_xor_b32 exec_lo, exec_lo, s27
	s_cbranch_execnz .LBB6_2804
.LBB6_1600:                             ;   in Loop: Header=BB6_143 Depth=2
	s_or_b32 exec_lo, exec_lo, s27
	s_and_saveexec_b32 s26, s11
	s_cbranch_execz .LBB6_1602
.LBB6_1601:                             ;   in Loop: Header=BB6_143 Depth=2
	v_bfe_u32 v56, v10, 16, 3
	v_bfe_u32 v59, v10, 19, 4
	v_lshlrev_b32_e32 v60, 24, v45
	s_delay_alu instid0(VALU_DEP_3) | instskip(NEXT) | instid1(VALU_DEP_3)
	v_clz_i32_u32_e32 v57, v56
	v_cmp_eq_u32_e32 vcc_lo, 0, v59
	s_delay_alu instid0(VALU_DEP_2) | instskip(NEXT) | instid1(VALU_DEP_1)
	v_min_u32_e32 v57, 32, v57
	v_subrev_nc_u32_e32 v58, 28, v57
	v_sub_nc_u32_e32 v57, 29, v57
	s_delay_alu instid0(VALU_DEP_2) | instskip(NEXT) | instid1(VALU_DEP_1)
	v_lshlrev_b32_e32 v58, v58, v45
	v_dual_cndmask_b32 v57, v59, v57 :: v_dual_and_b32 v58, 7, v58
	s_delay_alu instid0(VALU_DEP_1) | instskip(NEXT) | instid1(VALU_DEP_2)
	v_lshl_add_u32 v57, v57, 23, 0x3b800000
	v_cndmask_b32_e32 v56, v56, v58, vcc_lo
	v_and_b32_e32 v58, 0x80000000, v60
	s_delay_alu instid0(VALU_DEP_2) | instskip(NEXT) | instid1(VALU_DEP_1)
	v_lshlrev_b32_e32 v56, 20, v56
	v_or3_b32 v56, v58, v57, v56
.LBB6_1602:                             ;   in Loop: Header=BB6_143 Depth=2
	s_or_b32 exec_lo, exec_lo, s26
	s_delay_alu instid0(VALU_DEP_1) | instskip(SKIP_1) | instid1(VALU_DEP_1)
	v_dual_max_f32 v56, v56, v56 :: v_dual_max_f32 v47, v47, v47
	s_mov_b32 s11, 0
	v_max_f32_e32 v47, v47, v56
	s_branch .LBB6_1604
.LBB6_1603:                             ;   in Loop: Header=BB6_143 Depth=2
	s_mov_b32 s11, -1
                                        ; implicit-def: $vgpr47
.LBB6_1604:                             ;   in Loop: Header=BB6_143 Depth=2
	s_delay_alu instid0(SALU_CYCLE_1)
	s_and_b32 vcc_lo, exec_lo, s11
	s_cbranch_vccz .LBB6_1614
; %bb.1605:                             ;   in Loop: Header=BB6_143 Depth=2
	v_and_b32_e32 v56, 0xff, v46
	s_mov_b32 s11, 0
	s_mov_b32 s27, exec_lo
                                        ; implicit-def: $sgpr26
	s_delay_alu instid0(VALU_DEP_1)
	v_cmpx_lt_i16_e32 0x7f, v56
	s_xor_b32 s27, exec_lo, s27
	s_cbranch_execnz .LBB6_2805
; %bb.1606:                             ;   in Loop: Header=BB6_143 Depth=2
	s_or_saveexec_b32 s27, s27
	v_mov_b32_e32 v47, s26
	s_xor_b32 exec_lo, exec_lo, s27
	s_cbranch_execnz .LBB6_2808
.LBB6_1607:                             ;   in Loop: Header=BB6_143 Depth=2
	s_or_b32 exec_lo, exec_lo, s27
	s_and_saveexec_b32 s26, s11
	s_cbranch_execz .LBB6_1609
.LBB6_1608:                             ;   in Loop: Header=BB6_143 Depth=2
	v_bfe_u32 v47, v14, 16, 3
	v_bfe_u32 v58, v14, 19, 4
	s_delay_alu instid0(VALU_DEP_2) | instskip(NEXT) | instid1(VALU_DEP_2)
	v_clz_i32_u32_e32 v56, v47
	v_cmp_eq_u32_e32 vcc_lo, 0, v58
	s_delay_alu instid0(VALU_DEP_2) | instskip(NEXT) | instid1(VALU_DEP_1)
	v_min_u32_e32 v56, 32, v56
	v_subrev_nc_u32_e32 v57, 28, v56
	v_sub_nc_u32_e32 v56, 29, v56
	s_delay_alu instid0(VALU_DEP_1) | instskip(NEXT) | instid1(VALU_DEP_1)
	v_dual_cndmask_b32 v56, v58, v56 :: v_dual_lshlrev_b32 v57, v57, v46
	v_and_b32_e32 v57, 7, v57
	v_lshlrev_b32_e32 v46, 24, v46
	s_delay_alu instid0(VALU_DEP_3) | instskip(NEXT) | instid1(VALU_DEP_2)
	v_lshl_add_u32 v56, v56, 23, 0x3b800000
	v_dual_cndmask_b32 v47, v47, v57 :: v_dual_and_b32 v46, 0x80000000, v46
	s_delay_alu instid0(VALU_DEP_1) | instskip(NEXT) | instid1(VALU_DEP_1)
	v_lshlrev_b32_e32 v47, 20, v47
	v_or3_b32 v47, v46, v56, v47
.LBB6_1609:                             ;   in Loop: Header=BB6_143 Depth=2
	s_or_b32 exec_lo, exec_lo, s26
	v_and_b32_e32 v56, 0xff, v45
	s_mov_b32 s11, 0
	s_mov_b32 s27, exec_lo
                                        ; implicit-def: $sgpr26
	s_delay_alu instid0(VALU_DEP_1)
	v_cmpx_lt_i16_e32 0x7f, v56
	s_xor_b32 s27, exec_lo, s27
	s_cbranch_execnz .LBB6_2809
; %bb.1610:                             ;   in Loop: Header=BB6_143 Depth=2
	s_or_saveexec_b32 s27, s27
	v_mov_b32_e32 v46, s26
	s_xor_b32 exec_lo, exec_lo, s27
	s_cbranch_execnz .LBB6_2812
.LBB6_1611:                             ;   in Loop: Header=BB6_143 Depth=2
	s_or_b32 exec_lo, exec_lo, s27
	s_and_saveexec_b32 s26, s11
	s_cbranch_execz .LBB6_1613
.LBB6_1612:                             ;   in Loop: Header=BB6_143 Depth=2
	v_bfe_u32 v46, v10, 16, 3
	v_bfe_u32 v58, v10, 19, 4
	s_delay_alu instid0(VALU_DEP_2) | instskip(NEXT) | instid1(VALU_DEP_2)
	v_clz_i32_u32_e32 v56, v46
	v_cmp_eq_u32_e32 vcc_lo, 0, v58
	s_delay_alu instid0(VALU_DEP_2) | instskip(NEXT) | instid1(VALU_DEP_1)
	v_min_u32_e32 v56, 32, v56
	v_subrev_nc_u32_e32 v57, 28, v56
	v_sub_nc_u32_e32 v56, 29, v56
	s_delay_alu instid0(VALU_DEP_1) | instskip(SKIP_1) | instid1(VALU_DEP_2)
	v_dual_cndmask_b32 v56, v58, v56 :: v_dual_lshlrev_b32 v57, v57, v45
	v_lshlrev_b32_e32 v45, 24, v45
	v_and_b32_e32 v57, 7, v57
	s_delay_alu instid0(VALU_DEP_3) | instskip(NEXT) | instid1(VALU_DEP_3)
	v_lshl_add_u32 v56, v56, 23, 0x3b800000
	v_and_b32_e32 v45, 0x80000000, v45
	s_delay_alu instid0(VALU_DEP_3) | instskip(NEXT) | instid1(VALU_DEP_1)
	v_cndmask_b32_e32 v46, v46, v57, vcc_lo
	v_lshlrev_b32_e32 v46, 20, v46
	s_delay_alu instid0(VALU_DEP_1)
	v_or3_b32 v46, v45, v56, v46
.LBB6_1613:                             ;   in Loop: Header=BB6_143 Depth=2
	s_or_b32 exec_lo, exec_lo, s26
	s_delay_alu instid0(VALU_DEP_1) | instskip(NEXT) | instid1(VALU_DEP_1)
	v_dual_max_f32 v45, v46, v46 :: v_dual_max_f32 v46, v47, v47
	v_min_f32_e32 v47, v46, v45
.LBB6_1614:                             ;   in Loop: Header=BB6_143 Depth=2
	s_delay_alu instid0(VALU_DEP_1) | instskip(NEXT) | instid1(VALU_DEP_1)
	v_and_b32_e32 v45, 0x7f800000, v47
	v_cmp_ne_u32_e32 vcc_lo, 0x7f800000, v45
	v_mov_b32_e32 v45, 0x80
	s_and_saveexec_b32 s26, vcc_lo
	s_cbranch_execz .LBB6_1622
; %bb.1615:                             ;   in Loop: Header=BB6_143 Depth=2
	v_mov_b32_e32 v45, 0
	s_mov_b32 s27, exec_lo
	v_cmpx_ne_u32_e32 0, v47
	s_cbranch_execz .LBB6_1621
; %bb.1616:                             ;   in Loop: Header=BB6_143 Depth=2
	v_bfe_u32 v45, v47, 23, 8
	v_and_b32_e32 v46, 0x7fffff, v47
	s_delay_alu instid0(VALU_DEP_2) | instskip(SKIP_1) | instid1(VALU_DEP_3)
	v_sub_nc_u32_e32 v56, 0x78, v45
	v_cmp_gt_u32_e32 vcc_lo, 0x79, v45
	v_or_b32_e32 v57, 0x800000, v46
	s_delay_alu instid0(VALU_DEP_3) | instskip(SKIP_2) | instid1(VALU_DEP_3)
	v_cndmask_b32_e32 v56, 0, v56, vcc_lo
	v_cmp_eq_u32_e32 vcc_lo, 0, v45
	v_add_nc_u32_e32 v45, 0xffffff89, v45
	v_cndmask_b32_e64 v56, v56, 0x77, vcc_lo
	v_cndmask_b32_e32 v46, v57, v46, vcc_lo
	s_delay_alu instid0(VALU_DEP_3) | instskip(NEXT) | instid1(VALU_DEP_3)
	v_cndmask_b32_e64 v45, v45, 0xffffff8a, vcc_lo
	v_lshl_add_u32 v57, 0x100000, v56, -1
	s_delay_alu instid0(VALU_DEP_3) | instskip(SKIP_1) | instid1(VALU_DEP_4)
	v_lshrrev_b32_e32 v58, v56, v46
	v_lshlrev_b32_e64 v60, v56, 0x80000
	v_add_nc_u32_e32 v56, v56, v45
	s_delay_alu instid0(VALU_DEP_4) | instskip(NEXT) | instid1(VALU_DEP_4)
	v_and_b32_e32 v46, v57, v46
	v_bfe_u32 v59, v58, 20, 1
	s_delay_alu instid0(VALU_DEP_2) | instskip(NEXT) | instid1(VALU_DEP_2)
	v_cmp_eq_u32_e64 s11, v46, v60
	v_add_nc_u32_e32 v57, -1, v59
	s_delay_alu instid0(VALU_DEP_1) | instskip(SKIP_2) | instid1(VALU_DEP_2)
	v_cndmask_b32_e64 v46, 0, v57, s11
	v_lshrrev_b32_e32 v57, 23, v58
	s_mov_b32 s11, exec_lo
	v_add_nc_u32_e32 v46, v46, v58
	s_delay_alu instid0(VALU_DEP_2) | instskip(NEXT) | instid1(VALU_DEP_2)
	v_xor_b32_e32 v57, 1, v57
	v_and_b32_e32 v45, 0xfffff, v46
	s_delay_alu instid0(VALU_DEP_1) | instskip(NEXT) | instid1(VALU_DEP_3)
	v_add_nc_u32_e32 v46, v45, v58
                                        ; implicit-def: $vgpr45
	v_cmpx_ne_u32_e64 v56, v57
	s_xor_b32 s11, exec_lo, s11
; %bb.1617:                             ;   in Loop: Header=BB6_143 Depth=2
	s_delay_alu instid0(VALU_DEP_2) | instskip(SKIP_2) | instid1(VALU_DEP_2)
	v_cmp_lt_u32_e32 vcc_lo, 0xffffff, v46
	v_sub_nc_u32_e32 v45, v56, v57
	v_cndmask_b32_e64 v56, 0, 1, vcc_lo
	v_add_co_ci_u32_e32 v45, vcc_lo, 0, v45, vcc_lo
	s_delay_alu instid0(VALU_DEP_2)
	v_lshrrev_b32_e32 v46, v56, v46
; %bb.1618:                             ;   in Loop: Header=BB6_143 Depth=2
	s_and_not1_saveexec_b32 s11, s11
; %bb.1619:                             ;   in Loop: Header=BB6_143 Depth=2
	s_delay_alu instid0(VALU_DEP_1)
	v_bfe_u32 v45, v46, 23, 1
; %bb.1620:                             ;   in Loop: Header=BB6_143 Depth=2
	s_or_b32 exec_lo, exec_lo, s11
	v_lshrrev_b32_e32 v46, 20, v46
	s_delay_alu instid0(VALU_DEP_2) | instskip(SKIP_2) | instid1(VALU_DEP_2)
	v_cmp_gt_i32_e32 vcc_lo, 16, v45
	v_lshrrev_b32_e32 v47, 24, v47
	v_min_i32_e32 v56, 15, v45
	v_dual_cndmask_b32 v46, 7, v46 :: v_dual_and_b32 v47, 0x80, v47
	s_delay_alu instid0(VALU_DEP_1) | instskip(SKIP_1) | instid1(VALU_DEP_2)
	v_or_b32_e32 v45, v45, v46
	v_and_b32_e32 v57, 7, v46
	v_cmp_ne_u32_e32 vcc_lo, 0, v45
	v_lshlrev_b32_e32 v56, 3, v56
	s_delay_alu instid0(VALU_DEP_1) | instskip(NEXT) | instid1(VALU_DEP_1)
	v_or3_b32 v46, v56, v47, v57
	v_cndmask_b32_e32 v45, 0, v46, vcc_lo
.LBB6_1621:                             ;   in Loop: Header=BB6_143 Depth=2
	s_or_b32 exec_lo, exec_lo, s27
.LBB6_1622:                             ;   in Loop: Header=BB6_143 Depth=2
	s_delay_alu instid0(SALU_CYCLE_1)
	s_or_b32 exec_lo, exec_lo, s26
	v_lshrrev_b32_e32 v47, 24, v14
	v_lshrrev_b32_e32 v46, 24, v10
	s_and_not1_b32 vcc_lo, exec_lo, s25
	s_cbranch_vccnz .LBB6_1632
; %bb.1623:                             ;   in Loop: Header=BB6_143 Depth=2
	s_mov_b32 s11, 0
	s_mov_b32 s27, exec_lo
                                        ; implicit-def: $sgpr26
	v_cmpx_lt_i16_e32 0x7f, v47
	s_xor_b32 s27, exec_lo, s27
	s_cbranch_execnz .LBB6_2813
; %bb.1624:                             ;   in Loop: Header=BB6_143 Depth=2
	s_or_saveexec_b32 s27, s27
	v_mov_b32_e32 v56, s26
	s_xor_b32 exec_lo, exec_lo, s27
	s_cbranch_execnz .LBB6_2816
.LBB6_1625:                             ;   in Loop: Header=BB6_143 Depth=2
	s_or_b32 exec_lo, exec_lo, s27
	s_and_saveexec_b32 s26, s11
	s_cbranch_execz .LBB6_1627
.LBB6_1626:                             ;   in Loop: Header=BB6_143 Depth=2
	v_bfe_u32 v56, v14, 24, 3
	v_bfe_u32 v59, v14, 27, 4
	s_delay_alu instid0(VALU_DEP_2) | instskip(NEXT) | instid1(VALU_DEP_2)
	v_clz_i32_u32_e32 v57, v56
	v_cmp_eq_u32_e32 vcc_lo, 0, v59
	s_delay_alu instid0(VALU_DEP_2) | instskip(NEXT) | instid1(VALU_DEP_1)
	v_min_u32_e32 v57, 32, v57
	v_subrev_nc_u32_e32 v58, 28, v57
	v_sub_nc_u32_e32 v57, 29, v57
	s_delay_alu instid0(VALU_DEP_1) | instskip(NEXT) | instid1(VALU_DEP_1)
	v_dual_cndmask_b32 v57, v59, v57 :: v_dual_lshlrev_b32 v58, v58, v47
	v_and_b32_e32 v58, 7, v58
	s_delay_alu instid0(VALU_DEP_2) | instskip(NEXT) | instid1(VALU_DEP_2)
	v_lshl_add_u32 v57, v57, 23, 0x3b800000
	v_cndmask_b32_e32 v56, v56, v58, vcc_lo
	v_and_b32_e32 v58, 0x80000000, v14
	s_delay_alu instid0(VALU_DEP_2) | instskip(NEXT) | instid1(VALU_DEP_1)
	v_lshlrev_b32_e32 v56, 20, v56
	v_or3_b32 v56, v58, v57, v56
.LBB6_1627:                             ;   in Loop: Header=BB6_143 Depth=2
	s_or_b32 exec_lo, exec_lo, s26
	s_mov_b32 s11, 0
	s_mov_b32 s27, exec_lo
                                        ; implicit-def: $sgpr26
	v_cmpx_lt_i16_e32 0x7f, v46
	s_xor_b32 s27, exec_lo, s27
	s_cbranch_execnz .LBB6_2817
; %bb.1628:                             ;   in Loop: Header=BB6_143 Depth=2
	s_or_saveexec_b32 s27, s27
	v_mov_b32_e32 v57, s26
	s_xor_b32 exec_lo, exec_lo, s27
	s_cbranch_execnz .LBB6_2820
.LBB6_1629:                             ;   in Loop: Header=BB6_143 Depth=2
	s_or_b32 exec_lo, exec_lo, s27
	s_and_saveexec_b32 s26, s11
	s_cbranch_execz .LBB6_1631
.LBB6_1630:                             ;   in Loop: Header=BB6_143 Depth=2
	v_bfe_u32 v57, v10, 24, 3
	v_bfe_u32 v60, v10, 27, 4
	s_delay_alu instid0(VALU_DEP_2) | instskip(NEXT) | instid1(VALU_DEP_2)
	v_clz_i32_u32_e32 v58, v57
	v_cmp_eq_u32_e32 vcc_lo, 0, v60
	s_delay_alu instid0(VALU_DEP_2) | instskip(NEXT) | instid1(VALU_DEP_1)
	v_min_u32_e32 v58, 32, v58
	v_subrev_nc_u32_e32 v59, 28, v58
	v_sub_nc_u32_e32 v58, 29, v58
	s_delay_alu instid0(VALU_DEP_2) | instskip(NEXT) | instid1(VALU_DEP_1)
	v_lshlrev_b32_e32 v59, v59, v46
	v_dual_cndmask_b32 v58, v60, v58 :: v_dual_and_b32 v59, 7, v59
	s_delay_alu instid0(VALU_DEP_1) | instskip(NEXT) | instid1(VALU_DEP_2)
	v_lshl_add_u32 v58, v58, 23, 0x3b800000
	v_cndmask_b32_e32 v57, v57, v59, vcc_lo
	v_and_b32_e32 v59, 0x80000000, v10
	s_delay_alu instid0(VALU_DEP_2) | instskip(NEXT) | instid1(VALU_DEP_1)
	v_lshlrev_b32_e32 v57, 20, v57
	v_or3_b32 v57, v59, v58, v57
.LBB6_1631:                             ;   in Loop: Header=BB6_143 Depth=2
	s_or_b32 exec_lo, exec_lo, s26
	s_delay_alu instid0(VALU_DEP_1) | instskip(SKIP_1) | instid1(VALU_DEP_1)
	v_dual_max_f32 v57, v57, v57 :: v_dual_max_f32 v56, v56, v56
	s_mov_b32 s11, 0
	v_max_f32_e32 v56, v56, v57
	s_branch .LBB6_1633
.LBB6_1632:                             ;   in Loop: Header=BB6_143 Depth=2
	s_mov_b32 s11, -1
                                        ; implicit-def: $vgpr56
.LBB6_1633:                             ;   in Loop: Header=BB6_143 Depth=2
	s_delay_alu instid0(SALU_CYCLE_1)
	s_and_b32 vcc_lo, exec_lo, s11
	s_cbranch_vccz .LBB6_1643
; %bb.1634:                             ;   in Loop: Header=BB6_143 Depth=2
	s_mov_b32 s11, 0
	s_mov_b32 s27, exec_lo
                                        ; implicit-def: $sgpr26
	v_cmpx_lt_i16_e32 0x7f, v47
	s_xor_b32 s27, exec_lo, s27
	s_cbranch_execnz .LBB6_2821
; %bb.1635:                             ;   in Loop: Header=BB6_143 Depth=2
	s_or_saveexec_b32 s27, s27
	v_mov_b32_e32 v56, s26
	s_xor_b32 exec_lo, exec_lo, s27
	s_cbranch_execnz .LBB6_2824
.LBB6_1636:                             ;   in Loop: Header=BB6_143 Depth=2
	s_or_b32 exec_lo, exec_lo, s27
	s_and_saveexec_b32 s26, s11
	s_cbranch_execz .LBB6_1638
.LBB6_1637:                             ;   in Loop: Header=BB6_143 Depth=2
	v_bfe_u32 v56, v14, 24, 3
	s_delay_alu instid0(VALU_DEP_1) | instskip(NEXT) | instid1(VALU_DEP_1)
	v_clz_i32_u32_e32 v57, v56
	v_min_u32_e32 v57, 32, v57
	s_delay_alu instid0(VALU_DEP_1) | instskip(SKIP_1) | instid1(VALU_DEP_2)
	v_subrev_nc_u32_e32 v58, 28, v57
	v_sub_nc_u32_e32 v57, 29, v57
	v_lshlrev_b32_e32 v47, v58, v47
	v_bfe_u32 v58, v14, 27, 4
	v_and_b32_e32 v14, 0x80000000, v14
	s_delay_alu instid0(VALU_DEP_3) | instskip(NEXT) | instid1(VALU_DEP_3)
	v_and_b32_e32 v47, 7, v47
	v_cmp_eq_u32_e32 vcc_lo, 0, v58
	v_cndmask_b32_e32 v57, v58, v57, vcc_lo
	s_delay_alu instid0(VALU_DEP_3) | instskip(NEXT) | instid1(VALU_DEP_2)
	v_cndmask_b32_e32 v47, v56, v47, vcc_lo
	v_lshl_add_u32 v56, v57, 23, 0x3b800000
	s_delay_alu instid0(VALU_DEP_2) | instskip(NEXT) | instid1(VALU_DEP_1)
	v_lshlrev_b32_e32 v47, 20, v47
	v_or3_b32 v56, v14, v56, v47
.LBB6_1638:                             ;   in Loop: Header=BB6_143 Depth=2
	s_or_b32 exec_lo, exec_lo, s26
	s_mov_b32 s11, 0
	s_mov_b32 s27, exec_lo
                                        ; implicit-def: $sgpr26
	v_cmpx_lt_i16_e32 0x7f, v46
	s_xor_b32 s27, exec_lo, s27
	s_cbranch_execnz .LBB6_2825
; %bb.1639:                             ;   in Loop: Header=BB6_143 Depth=2
	s_or_saveexec_b32 s27, s27
	v_mov_b32_e32 v14, s26
	s_xor_b32 exec_lo, exec_lo, s27
	s_cbranch_execnz .LBB6_2828
.LBB6_1640:                             ;   in Loop: Header=BB6_143 Depth=2
	s_or_b32 exec_lo, exec_lo, s27
	s_and_saveexec_b32 s26, s11
	s_cbranch_execz .LBB6_1642
.LBB6_1641:                             ;   in Loop: Header=BB6_143 Depth=2
	v_bfe_u32 v14, v10, 24, 3
	s_delay_alu instid0(VALU_DEP_1) | instskip(NEXT) | instid1(VALU_DEP_1)
	v_clz_i32_u32_e32 v47, v14
	v_min_u32_e32 v47, 32, v47
	s_delay_alu instid0(VALU_DEP_1) | instskip(SKIP_1) | instid1(VALU_DEP_2)
	v_subrev_nc_u32_e32 v57, 28, v47
	v_sub_nc_u32_e32 v47, 29, v47
	v_lshlrev_b32_e32 v46, v57, v46
	v_bfe_u32 v57, v10, 27, 4
	v_and_b32_e32 v10, 0x80000000, v10
	s_delay_alu instid0(VALU_DEP_2) | instskip(NEXT) | instid1(VALU_DEP_4)
	v_cmp_eq_u32_e32 vcc_lo, 0, v57
	v_dual_cndmask_b32 v47, v57, v47 :: v_dual_and_b32 v46, 7, v46
	s_delay_alu instid0(VALU_DEP_1) | instskip(NEXT) | instid1(VALU_DEP_2)
	v_cndmask_b32_e32 v14, v14, v46, vcc_lo
	v_lshl_add_u32 v46, v47, 23, 0x3b800000
	s_delay_alu instid0(VALU_DEP_2) | instskip(NEXT) | instid1(VALU_DEP_1)
	v_lshlrev_b32_e32 v14, 20, v14
	v_or3_b32 v14, v10, v46, v14
.LBB6_1642:                             ;   in Loop: Header=BB6_143 Depth=2
	s_or_b32 exec_lo, exec_lo, s26
	s_delay_alu instid0(VALU_DEP_1) | instskip(SKIP_1) | instid1(VALU_DEP_1)
	v_max_f32_e32 v10, v14, v14
	v_max_f32_e32 v14, v56, v56
	v_min_f32_e32 v56, v14, v10
.LBB6_1643:                             ;   in Loop: Header=BB6_143 Depth=2
	s_delay_alu instid0(VALU_DEP_1) | instskip(NEXT) | instid1(VALU_DEP_1)
	v_and_b32_e32 v10, 0x7f800000, v56
	v_cmp_ne_u32_e32 vcc_lo, 0x7f800000, v10
	v_mov_b32_e32 v10, 0x80
	s_and_saveexec_b32 s26, vcc_lo
	s_cbranch_execz .LBB6_1651
; %bb.1644:                             ;   in Loop: Header=BB6_143 Depth=2
	v_mov_b32_e32 v10, 0
	s_mov_b32 s27, exec_lo
	v_cmpx_ne_u32_e32 0, v56
	s_cbranch_execz .LBB6_1650
; %bb.1645:                             ;   in Loop: Header=BB6_143 Depth=2
	v_bfe_u32 v10, v56, 23, 8
	v_and_b32_e32 v14, 0x7fffff, v56
	s_delay_alu instid0(VALU_DEP_2) | instskip(SKIP_1) | instid1(VALU_DEP_3)
	v_sub_nc_u32_e32 v46, 0x78, v10
	v_cmp_gt_u32_e32 vcc_lo, 0x79, v10
	v_or_b32_e32 v47, 0x800000, v14
	s_delay_alu instid0(VALU_DEP_3) | instskip(SKIP_2) | instid1(VALU_DEP_3)
	v_cndmask_b32_e32 v46, 0, v46, vcc_lo
	v_cmp_eq_u32_e32 vcc_lo, 0, v10
	v_add_nc_u32_e32 v10, 0xffffff89, v10
	v_cndmask_b32_e64 v46, v46, 0x77, vcc_lo
	v_cndmask_b32_e32 v14, v47, v14, vcc_lo
	s_delay_alu instid0(VALU_DEP_3) | instskip(NEXT) | instid1(VALU_DEP_3)
	v_cndmask_b32_e64 v10, v10, 0xffffff8a, vcc_lo
	v_lshl_add_u32 v47, 0x100000, v46, -1
	s_delay_alu instid0(VALU_DEP_3) | instskip(SKIP_1) | instid1(VALU_DEP_4)
	v_lshrrev_b32_e32 v57, v46, v14
	v_lshlrev_b32_e64 v59, v46, 0x80000
	v_add_nc_u32_e32 v46, v46, v10
	s_delay_alu instid0(VALU_DEP_4) | instskip(NEXT) | instid1(VALU_DEP_4)
	v_and_b32_e32 v14, v47, v14
	v_bfe_u32 v58, v57, 20, 1
	s_delay_alu instid0(VALU_DEP_2) | instskip(NEXT) | instid1(VALU_DEP_2)
	v_cmp_eq_u32_e64 s11, v14, v59
	v_add_nc_u32_e32 v47, -1, v58
	s_delay_alu instid0(VALU_DEP_1) | instskip(SKIP_2) | instid1(VALU_DEP_2)
	v_cndmask_b32_e64 v14, 0, v47, s11
	v_lshrrev_b32_e32 v47, 23, v57
	s_mov_b32 s11, exec_lo
	v_add_nc_u32_e32 v14, v14, v57
	s_delay_alu instid0(VALU_DEP_2) | instskip(NEXT) | instid1(VALU_DEP_2)
	v_xor_b32_e32 v47, 1, v47
	v_and_b32_e32 v10, 0xfffff, v14
	s_delay_alu instid0(VALU_DEP_1) | instskip(NEXT) | instid1(VALU_DEP_3)
	v_add_nc_u32_e32 v14, v10, v57
                                        ; implicit-def: $vgpr10
	v_cmpx_ne_u32_e64 v46, v47
	s_xor_b32 s11, exec_lo, s11
; %bb.1646:                             ;   in Loop: Header=BB6_143 Depth=2
	s_delay_alu instid0(VALU_DEP_2) | instskip(SKIP_2) | instid1(VALU_DEP_2)
	v_cmp_lt_u32_e32 vcc_lo, 0xffffff, v14
	v_sub_nc_u32_e32 v10, v46, v47
	v_cndmask_b32_e64 v46, 0, 1, vcc_lo
	v_add_co_ci_u32_e32 v10, vcc_lo, 0, v10, vcc_lo
	s_delay_alu instid0(VALU_DEP_2)
	v_lshrrev_b32_e32 v14, v46, v14
; %bb.1647:                             ;   in Loop: Header=BB6_143 Depth=2
	s_and_not1_saveexec_b32 s11, s11
; %bb.1648:                             ;   in Loop: Header=BB6_143 Depth=2
	s_delay_alu instid0(VALU_DEP_1)
	v_bfe_u32 v10, v14, 23, 1
; %bb.1649:                             ;   in Loop: Header=BB6_143 Depth=2
	s_or_b32 exec_lo, exec_lo, s11
	v_lshrrev_b32_e32 v14, 20, v14
	s_delay_alu instid0(VALU_DEP_2) | instskip(SKIP_2) | instid1(VALU_DEP_4)
	v_cmp_gt_i32_e32 vcc_lo, 16, v10
	v_lshrrev_b32_e32 v46, 24, v56
	v_min_i32_e32 v47, 15, v10
	v_cndmask_b32_e32 v14, 7, v14, vcc_lo
	s_delay_alu instid0(VALU_DEP_3) | instskip(NEXT) | instid1(VALU_DEP_3)
	v_and_b32_e32 v46, 0x80, v46
	v_lshlrev_b32_e32 v47, 3, v47
	s_delay_alu instid0(VALU_DEP_3) | instskip(SKIP_1) | instid1(VALU_DEP_2)
	v_and_b32_e32 v56, 7, v14
	v_or_b32_e32 v10, v10, v14
	v_or3_b32 v14, v47, v46, v56
	s_delay_alu instid0(VALU_DEP_2) | instskip(NEXT) | instid1(VALU_DEP_2)
	v_cmp_ne_u32_e32 vcc_lo, 0, v10
	v_cndmask_b32_e32 v10, 0, v14, vcc_lo
.LBB6_1650:                             ;   in Loop: Header=BB6_143 Depth=2
	s_or_b32 exec_lo, exec_lo, s27
.LBB6_1651:                             ;   in Loop: Header=BB6_143 Depth=2
	s_delay_alu instid0(SALU_CYCLE_1) | instskip(NEXT) | instid1(SALU_CYCLE_1)
	s_or_b32 exec_lo, exec_lo, s26
	s_and_not1_b32 vcc_lo, exec_lo, s25
	s_cbranch_vccnz .LBB6_1661
; %bb.1652:                             ;   in Loop: Header=BB6_143 Depth=2
	v_and_b32_e32 v46, 0xff, v15
	s_mov_b32 s11, 0
	s_mov_b32 s27, exec_lo
                                        ; implicit-def: $sgpr26
	s_delay_alu instid0(VALU_DEP_1)
	v_cmpx_lt_i16_e32 0x7f, v46
	s_xor_b32 s27, exec_lo, s27
	s_cbranch_execnz .LBB6_2829
; %bb.1653:                             ;   in Loop: Header=BB6_143 Depth=2
	s_or_saveexec_b32 s27, s27
	v_mov_b32_e32 v14, s26
	s_xor_b32 exec_lo, exec_lo, s27
	s_cbranch_execnz .LBB6_2832
.LBB6_1654:                             ;   in Loop: Header=BB6_143 Depth=2
	s_or_b32 exec_lo, exec_lo, s27
	s_and_saveexec_b32 s26, s11
	s_cbranch_execz .LBB6_1656
.LBB6_1655:                             ;   in Loop: Header=BB6_143 Depth=2
	v_and_b32_e32 v14, 7, v15
	v_bfe_u32 v56, v15, 3, 4
	v_lshlrev_b32_e32 v57, 24, v15
	s_delay_alu instid0(VALU_DEP_3) | instskip(NEXT) | instid1(VALU_DEP_3)
	v_clz_i32_u32_e32 v46, v14
	v_cmp_eq_u32_e32 vcc_lo, 0, v56
	s_delay_alu instid0(VALU_DEP_2) | instskip(NEXT) | instid1(VALU_DEP_1)
	v_min_u32_e32 v46, 32, v46
	v_subrev_nc_u32_e32 v47, 28, v46
	v_sub_nc_u32_e32 v46, 29, v46
	s_delay_alu instid0(VALU_DEP_1) | instskip(NEXT) | instid1(VALU_DEP_1)
	v_dual_cndmask_b32 v46, v56, v46 :: v_dual_lshlrev_b32 v47, v47, v15
	v_and_b32_e32 v47, 7, v47
	s_delay_alu instid0(VALU_DEP_2) | instskip(NEXT) | instid1(VALU_DEP_2)
	v_lshl_add_u32 v46, v46, 23, 0x3b800000
	v_dual_cndmask_b32 v14, v14, v47 :: v_dual_and_b32 v47, 0x80000000, v57
	s_delay_alu instid0(VALU_DEP_1) | instskip(NEXT) | instid1(VALU_DEP_1)
	v_lshlrev_b32_e32 v14, 20, v14
	v_or3_b32 v14, v47, v46, v14
.LBB6_1656:                             ;   in Loop: Header=BB6_143 Depth=2
	s_or_b32 exec_lo, exec_lo, s26
	v_and_b32_e32 v47, 0xff, v11
	s_mov_b32 s11, 0
	s_mov_b32 s27, exec_lo
                                        ; implicit-def: $sgpr26
	s_delay_alu instid0(VALU_DEP_1)
	v_cmpx_lt_i16_e32 0x7f, v47
	s_xor_b32 s27, exec_lo, s27
	s_cbranch_execnz .LBB6_2833
; %bb.1657:                             ;   in Loop: Header=BB6_143 Depth=2
	s_or_saveexec_b32 s27, s27
	v_mov_b32_e32 v46, s26
	s_xor_b32 exec_lo, exec_lo, s27
	s_cbranch_execnz .LBB6_2836
.LBB6_1658:                             ;   in Loop: Header=BB6_143 Depth=2
	s_or_b32 exec_lo, exec_lo, s27
	s_and_saveexec_b32 s26, s11
	s_cbranch_execz .LBB6_1660
.LBB6_1659:                             ;   in Loop: Header=BB6_143 Depth=2
	v_and_b32_e32 v46, 7, v11
	v_bfe_u32 v57, v11, 3, 4
	v_lshlrev_b32_e32 v58, 24, v11
	s_delay_alu instid0(VALU_DEP_3) | instskip(NEXT) | instid1(VALU_DEP_3)
	v_clz_i32_u32_e32 v47, v46
	v_cmp_eq_u32_e32 vcc_lo, 0, v57
	s_delay_alu instid0(VALU_DEP_2) | instskip(NEXT) | instid1(VALU_DEP_1)
	v_min_u32_e32 v47, 32, v47
	v_subrev_nc_u32_e32 v56, 28, v47
	v_sub_nc_u32_e32 v47, 29, v47
	s_delay_alu instid0(VALU_DEP_2) | instskip(NEXT) | instid1(VALU_DEP_1)
	v_lshlrev_b32_e32 v56, v56, v11
	v_dual_cndmask_b32 v47, v57, v47 :: v_dual_and_b32 v56, 7, v56
	s_delay_alu instid0(VALU_DEP_1) | instskip(NEXT) | instid1(VALU_DEP_2)
	v_lshl_add_u32 v47, v47, 23, 0x3b800000
	v_cndmask_b32_e32 v46, v46, v56, vcc_lo
	v_and_b32_e32 v56, 0x80000000, v58
	s_delay_alu instid0(VALU_DEP_2) | instskip(NEXT) | instid1(VALU_DEP_1)
	v_lshlrev_b32_e32 v46, 20, v46
	v_or3_b32 v46, v56, v47, v46
.LBB6_1660:                             ;   in Loop: Header=BB6_143 Depth=2
	s_or_b32 exec_lo, exec_lo, s26
	s_delay_alu instid0(VALU_DEP_1) | instskip(SKIP_2) | instid1(VALU_DEP_1)
	v_max_f32_e32 v46, v46, v46
	v_max_f32_e32 v14, v14, v14
	s_mov_b32 s11, 0
	v_max_f32_e32 v46, v14, v46
	s_branch .LBB6_1662
.LBB6_1661:                             ;   in Loop: Header=BB6_143 Depth=2
	s_mov_b32 s11, -1
                                        ; implicit-def: $vgpr46
.LBB6_1662:                             ;   in Loop: Header=BB6_143 Depth=2
	s_delay_alu instid0(SALU_CYCLE_1)
	s_and_b32 vcc_lo, exec_lo, s11
	s_cbranch_vccz .LBB6_1672
; %bb.1663:                             ;   in Loop: Header=BB6_143 Depth=2
	v_and_b32_e32 v46, 0xff, v15
	s_mov_b32 s11, 0
	s_mov_b32 s27, exec_lo
                                        ; implicit-def: $sgpr26
	s_delay_alu instid0(VALU_DEP_1)
	v_cmpx_lt_i16_e32 0x7f, v46
	s_xor_b32 s27, exec_lo, s27
	s_cbranch_execnz .LBB6_2837
; %bb.1664:                             ;   in Loop: Header=BB6_143 Depth=2
	s_or_saveexec_b32 s27, s27
	v_mov_b32_e32 v14, s26
	s_xor_b32 exec_lo, exec_lo, s27
	s_cbranch_execnz .LBB6_2840
.LBB6_1665:                             ;   in Loop: Header=BB6_143 Depth=2
	s_or_b32 exec_lo, exec_lo, s27
	s_and_saveexec_b32 s26, s11
	s_cbranch_execz .LBB6_1667
.LBB6_1666:                             ;   in Loop: Header=BB6_143 Depth=2
	v_and_b32_e32 v14, 7, v15
	v_bfe_u32 v56, v15, 3, 4
	v_lshlrev_b32_e32 v57, 24, v15
	s_delay_alu instid0(VALU_DEP_3) | instskip(NEXT) | instid1(VALU_DEP_3)
	v_clz_i32_u32_e32 v46, v14
	v_cmp_eq_u32_e32 vcc_lo, 0, v56
	s_delay_alu instid0(VALU_DEP_2) | instskip(NEXT) | instid1(VALU_DEP_1)
	v_min_u32_e32 v46, 32, v46
	v_subrev_nc_u32_e32 v47, 28, v46
	v_sub_nc_u32_e32 v46, 29, v46
	s_delay_alu instid0(VALU_DEP_1) | instskip(NEXT) | instid1(VALU_DEP_1)
	v_dual_cndmask_b32 v46, v56, v46 :: v_dual_lshlrev_b32 v47, v47, v15
	v_and_b32_e32 v47, 7, v47
	s_delay_alu instid0(VALU_DEP_2) | instskip(NEXT) | instid1(VALU_DEP_2)
	v_lshl_add_u32 v46, v46, 23, 0x3b800000
	v_dual_cndmask_b32 v14, v14, v47 :: v_dual_and_b32 v47, 0x80000000, v57
	s_delay_alu instid0(VALU_DEP_1) | instskip(NEXT) | instid1(VALU_DEP_1)
	v_lshlrev_b32_e32 v14, 20, v14
	v_or3_b32 v14, v47, v46, v14
.LBB6_1667:                             ;   in Loop: Header=BB6_143 Depth=2
	s_or_b32 exec_lo, exec_lo, s26
	v_and_b32_e32 v47, 0xff, v11
	s_mov_b32 s11, 0
	s_mov_b32 s27, exec_lo
                                        ; implicit-def: $sgpr26
	s_delay_alu instid0(VALU_DEP_1)
	v_cmpx_lt_i16_e32 0x7f, v47
	s_xor_b32 s27, exec_lo, s27
	s_cbranch_execnz .LBB6_2841
; %bb.1668:                             ;   in Loop: Header=BB6_143 Depth=2
	s_or_saveexec_b32 s27, s27
	v_mov_b32_e32 v46, s26
	s_xor_b32 exec_lo, exec_lo, s27
	s_cbranch_execnz .LBB6_2844
.LBB6_1669:                             ;   in Loop: Header=BB6_143 Depth=2
	s_or_b32 exec_lo, exec_lo, s27
	s_and_saveexec_b32 s26, s11
	s_cbranch_execz .LBB6_1671
.LBB6_1670:                             ;   in Loop: Header=BB6_143 Depth=2
	v_and_b32_e32 v46, 7, v11
	v_bfe_u32 v57, v11, 3, 4
	v_lshlrev_b32_e32 v58, 24, v11
	s_delay_alu instid0(VALU_DEP_3) | instskip(NEXT) | instid1(VALU_DEP_3)
	v_clz_i32_u32_e32 v47, v46
	v_cmp_eq_u32_e32 vcc_lo, 0, v57
	s_delay_alu instid0(VALU_DEP_2) | instskip(NEXT) | instid1(VALU_DEP_1)
	v_min_u32_e32 v47, 32, v47
	v_subrev_nc_u32_e32 v56, 28, v47
	v_sub_nc_u32_e32 v47, 29, v47
	s_delay_alu instid0(VALU_DEP_2) | instskip(NEXT) | instid1(VALU_DEP_1)
	v_lshlrev_b32_e32 v56, v56, v11
	v_dual_cndmask_b32 v47, v57, v47 :: v_dual_and_b32 v56, 7, v56
	s_delay_alu instid0(VALU_DEP_1) | instskip(NEXT) | instid1(VALU_DEP_2)
	v_lshl_add_u32 v47, v47, 23, 0x3b800000
	v_cndmask_b32_e32 v46, v46, v56, vcc_lo
	v_and_b32_e32 v56, 0x80000000, v58
	s_delay_alu instid0(VALU_DEP_2) | instskip(NEXT) | instid1(VALU_DEP_1)
	v_lshlrev_b32_e32 v46, 20, v46
	v_or3_b32 v46, v56, v47, v46
.LBB6_1671:                             ;   in Loop: Header=BB6_143 Depth=2
	s_or_b32 exec_lo, exec_lo, s26
	s_delay_alu instid0(VALU_DEP_1) | instskip(SKIP_1) | instid1(VALU_DEP_1)
	v_max_f32_e32 v46, v46, v46
	v_max_f32_e32 v14, v14, v14
	v_min_f32_e32 v46, v14, v46
.LBB6_1672:                             ;   in Loop: Header=BB6_143 Depth=2
	s_delay_alu instid0(VALU_DEP_1) | instskip(NEXT) | instid1(VALU_DEP_1)
	v_and_b32_e32 v14, 0x7f800000, v46
	v_cmp_ne_u32_e32 vcc_lo, 0x7f800000, v14
	v_mov_b32_e32 v14, 0x80
	s_and_saveexec_b32 s26, vcc_lo
	s_cbranch_execz .LBB6_1680
; %bb.1673:                             ;   in Loop: Header=BB6_143 Depth=2
	v_mov_b32_e32 v14, 0
	s_mov_b32 s27, exec_lo
	v_cmpx_ne_u32_e32 0, v46
	s_cbranch_execz .LBB6_1679
; %bb.1674:                             ;   in Loop: Header=BB6_143 Depth=2
	v_bfe_u32 v14, v46, 23, 8
	s_delay_alu instid0(VALU_DEP_1) | instskip(SKIP_1) | instid1(VALU_DEP_2)
	v_sub_nc_u32_e32 v56, 0x78, v14
	v_cmp_gt_u32_e32 vcc_lo, 0x79, v14
	v_dual_cndmask_b32 v56, 0, v56 :: v_dual_and_b32 v47, 0x7fffff, v46
	s_delay_alu instid0(VALU_DEP_1) | instskip(SKIP_2) | instid1(VALU_DEP_4)
	v_or_b32_e32 v57, 0x800000, v47
	v_cmp_eq_u32_e32 vcc_lo, 0, v14
	v_add_nc_u32_e32 v14, 0xffffff89, v14
	v_cndmask_b32_e64 v56, v56, 0x77, vcc_lo
	s_delay_alu instid0(VALU_DEP_4) | instskip(NEXT) | instid1(VALU_DEP_3)
	v_cndmask_b32_e32 v47, v57, v47, vcc_lo
	v_cndmask_b32_e64 v14, v14, 0xffffff8a, vcc_lo
	s_delay_alu instid0(VALU_DEP_3) | instskip(NEXT) | instid1(VALU_DEP_3)
	v_lshl_add_u32 v57, 0x100000, v56, -1
	v_lshrrev_b32_e32 v58, v56, v47
	v_lshlrev_b32_e64 v60, v56, 0x80000
	s_delay_alu instid0(VALU_DEP_4) | instskip(NEXT) | instid1(VALU_DEP_4)
	v_add_nc_u32_e32 v56, v56, v14
	v_and_b32_e32 v47, v57, v47
	s_delay_alu instid0(VALU_DEP_4) | instskip(NEXT) | instid1(VALU_DEP_2)
	v_bfe_u32 v59, v58, 20, 1
	v_cmp_eq_u32_e64 s11, v47, v60
	s_delay_alu instid0(VALU_DEP_2) | instskip(NEXT) | instid1(VALU_DEP_1)
	v_add_nc_u32_e32 v57, -1, v59
	v_cndmask_b32_e64 v47, 0, v57, s11
	v_lshrrev_b32_e32 v57, 23, v58
	s_mov_b32 s11, exec_lo
	s_delay_alu instid0(VALU_DEP_2) | instskip(NEXT) | instid1(VALU_DEP_2)
	v_add_nc_u32_e32 v47, v47, v58
	v_xor_b32_e32 v57, 1, v57
	s_delay_alu instid0(VALU_DEP_2) | instskip(NEXT) | instid1(VALU_DEP_1)
	v_and_b32_e32 v14, 0xfffff, v47
	v_add_nc_u32_e32 v47, v14, v58
                                        ; implicit-def: $vgpr14
	s_delay_alu instid0(VALU_DEP_3)
	v_cmpx_ne_u32_e64 v56, v57
	s_xor_b32 s11, exec_lo, s11
; %bb.1675:                             ;   in Loop: Header=BB6_143 Depth=2
	s_delay_alu instid0(VALU_DEP_2) | instskip(SKIP_2) | instid1(VALU_DEP_2)
	v_cmp_lt_u32_e32 vcc_lo, 0xffffff, v47
	v_sub_nc_u32_e32 v14, v56, v57
	v_cndmask_b32_e64 v56, 0, 1, vcc_lo
	v_add_co_ci_u32_e32 v14, vcc_lo, 0, v14, vcc_lo
	s_delay_alu instid0(VALU_DEP_2)
	v_lshrrev_b32_e32 v47, v56, v47
; %bb.1676:                             ;   in Loop: Header=BB6_143 Depth=2
	s_and_not1_saveexec_b32 s11, s11
; %bb.1677:                             ;   in Loop: Header=BB6_143 Depth=2
	s_delay_alu instid0(VALU_DEP_1)
	v_bfe_u32 v14, v47, 23, 1
; %bb.1678:                             ;   in Loop: Header=BB6_143 Depth=2
	s_or_b32 exec_lo, exec_lo, s11
	v_lshrrev_b32_e32 v47, 20, v47
	s_delay_alu instid0(VALU_DEP_2) | instskip(SKIP_2) | instid1(VALU_DEP_2)
	v_cmp_gt_i32_e32 vcc_lo, 16, v14
	v_lshrrev_b32_e32 v46, 24, v46
	v_min_i32_e32 v56, 15, v14
	v_dual_cndmask_b32 v47, 7, v47 :: v_dual_and_b32 v46, 0x80, v46
	s_delay_alu instid0(VALU_DEP_2) | instskip(NEXT) | instid1(VALU_DEP_2)
	v_lshlrev_b32_e32 v56, 3, v56
	v_or_b32_e32 v14, v14, v47
	s_delay_alu instid0(VALU_DEP_1) | instskip(SKIP_1) | instid1(VALU_DEP_1)
	v_cmp_ne_u32_e32 vcc_lo, 0, v14
	v_and_b32_e32 v57, 7, v47
	v_or3_b32 v46, v56, v46, v57
	s_delay_alu instid0(VALU_DEP_1)
	v_cndmask_b32_e32 v14, 0, v46, vcc_lo
.LBB6_1679:                             ;   in Loop: Header=BB6_143 Depth=2
	s_or_b32 exec_lo, exec_lo, s27
.LBB6_1680:                             ;   in Loop: Header=BB6_143 Depth=2
	s_delay_alu instid0(SALU_CYCLE_1)
	s_or_b32 exec_lo, exec_lo, s26
	v_lshrrev_b16 v47, 8, v15
	v_lshrrev_b16 v46, 8, v11
	s_and_not1_b32 vcc_lo, exec_lo, s25
	s_cbranch_vccnz .LBB6_1690
; %bb.1681:                             ;   in Loop: Header=BB6_143 Depth=2
	s_mov_b32 s11, 0
	s_mov_b32 s27, exec_lo
                                        ; implicit-def: $sgpr26
	v_cmpx_lt_i16_e32 0x7f, v47
	s_xor_b32 s27, exec_lo, s27
	s_cbranch_execnz .LBB6_2845
; %bb.1682:                             ;   in Loop: Header=BB6_143 Depth=2
	s_or_saveexec_b32 s27, s27
	v_mov_b32_e32 v56, s26
	s_xor_b32 exec_lo, exec_lo, s27
	s_cbranch_execnz .LBB6_2848
.LBB6_1683:                             ;   in Loop: Header=BB6_143 Depth=2
	s_or_b32 exec_lo, exec_lo, s27
	s_and_saveexec_b32 s26, s11
	s_cbranch_execz .LBB6_1685
.LBB6_1684:                             ;   in Loop: Header=BB6_143 Depth=2
	v_and_b32_e32 v56, 0xffff, v47
	v_lshlrev_b32_e32 v60, 16, v15
	s_delay_alu instid0(VALU_DEP_2) | instskip(NEXT) | instid1(VALU_DEP_1)
	v_and_b32_e32 v57, 7, v56
	v_clz_i32_u32_e32 v58, v57
	s_delay_alu instid0(VALU_DEP_1) | instskip(NEXT) | instid1(VALU_DEP_1)
	v_min_u32_e32 v58, 32, v58
	v_subrev_nc_u32_e32 v59, 28, v58
	v_sub_nc_u32_e32 v58, 29, v58
	s_delay_alu instid0(VALU_DEP_2) | instskip(SKIP_1) | instid1(VALU_DEP_2)
	v_lshlrev_b32_e32 v59, v59, v56
	v_bfe_u32 v56, v56, 3, 4
	v_and_b32_e32 v59, 7, v59
	s_delay_alu instid0(VALU_DEP_2) | instskip(NEXT) | instid1(VALU_DEP_2)
	v_cmp_eq_u32_e32 vcc_lo, 0, v56
	v_dual_cndmask_b32 v56, v56, v58 :: v_dual_cndmask_b32 v57, v57, v59
	v_and_b32_e32 v58, 0x80000000, v60
	s_delay_alu instid0(VALU_DEP_2) | instskip(NEXT) | instid1(VALU_DEP_3)
	v_lshl_add_u32 v56, v56, 23, 0x3b800000
	v_lshlrev_b32_e32 v57, 20, v57
	s_delay_alu instid0(VALU_DEP_1)
	v_or3_b32 v56, v58, v56, v57
.LBB6_1685:                             ;   in Loop: Header=BB6_143 Depth=2
	s_or_b32 exec_lo, exec_lo, s26
	s_mov_b32 s11, 0
	s_mov_b32 s27, exec_lo
                                        ; implicit-def: $sgpr26
	v_cmpx_lt_i16_e32 0x7f, v46
	s_xor_b32 s27, exec_lo, s27
	s_cbranch_execnz .LBB6_2849
; %bb.1686:                             ;   in Loop: Header=BB6_143 Depth=2
	s_or_saveexec_b32 s27, s27
	v_mov_b32_e32 v57, s26
	s_xor_b32 exec_lo, exec_lo, s27
	s_cbranch_execnz .LBB6_2852
.LBB6_1687:                             ;   in Loop: Header=BB6_143 Depth=2
	s_or_b32 exec_lo, exec_lo, s27
	s_and_saveexec_b32 s26, s11
	s_cbranch_execz .LBB6_1689
.LBB6_1688:                             ;   in Loop: Header=BB6_143 Depth=2
	v_and_b32_e32 v57, 0xffff, v46
	v_lshlrev_b32_e32 v61, 16, v11
	s_delay_alu instid0(VALU_DEP_2) | instskip(NEXT) | instid1(VALU_DEP_1)
	v_and_b32_e32 v58, 7, v57
	v_clz_i32_u32_e32 v59, v58
	s_delay_alu instid0(VALU_DEP_1) | instskip(NEXT) | instid1(VALU_DEP_1)
	v_min_u32_e32 v59, 32, v59
	v_subrev_nc_u32_e32 v60, 28, v59
	v_sub_nc_u32_e32 v59, 29, v59
	s_delay_alu instid0(VALU_DEP_2) | instskip(SKIP_1) | instid1(VALU_DEP_2)
	v_lshlrev_b32_e32 v60, v60, v57
	v_bfe_u32 v57, v57, 3, 4
	v_and_b32_e32 v60, 7, v60
	s_delay_alu instid0(VALU_DEP_2) | instskip(NEXT) | instid1(VALU_DEP_2)
	v_cmp_eq_u32_e32 vcc_lo, 0, v57
	v_dual_cndmask_b32 v57, v57, v59 :: v_dual_cndmask_b32 v58, v58, v60
	v_and_b32_e32 v59, 0x80000000, v61
	s_delay_alu instid0(VALU_DEP_2) | instskip(NEXT) | instid1(VALU_DEP_3)
	v_lshl_add_u32 v57, v57, 23, 0x3b800000
	v_lshlrev_b32_e32 v58, 20, v58
	s_delay_alu instid0(VALU_DEP_1)
	v_or3_b32 v57, v59, v57, v58
.LBB6_1689:                             ;   in Loop: Header=BB6_143 Depth=2
	s_or_b32 exec_lo, exec_lo, s26
	s_delay_alu instid0(VALU_DEP_1) | instskip(SKIP_1) | instid1(VALU_DEP_1)
	v_dual_max_f32 v57, v57, v57 :: v_dual_max_f32 v56, v56, v56
	s_mov_b32 s11, 0
	v_max_f32_e32 v56, v56, v57
	s_branch .LBB6_1691
.LBB6_1690:                             ;   in Loop: Header=BB6_143 Depth=2
	s_mov_b32 s11, -1
                                        ; implicit-def: $vgpr56
.LBB6_1691:                             ;   in Loop: Header=BB6_143 Depth=2
	s_delay_alu instid0(SALU_CYCLE_1)
	s_and_b32 vcc_lo, exec_lo, s11
	s_cbranch_vccz .LBB6_1701
; %bb.1692:                             ;   in Loop: Header=BB6_143 Depth=2
	s_mov_b32 s11, 0
	s_mov_b32 s27, exec_lo
                                        ; implicit-def: $sgpr26
	v_cmpx_lt_i16_e32 0x7f, v47
	s_xor_b32 s27, exec_lo, s27
	s_cbranch_execnz .LBB6_2853
; %bb.1693:                             ;   in Loop: Header=BB6_143 Depth=2
	s_or_saveexec_b32 s27, s27
	v_mov_b32_e32 v56, s26
	s_xor_b32 exec_lo, exec_lo, s27
	s_cbranch_execnz .LBB6_2856
.LBB6_1694:                             ;   in Loop: Header=BB6_143 Depth=2
	s_or_b32 exec_lo, exec_lo, s27
	s_and_saveexec_b32 s26, s11
	s_cbranch_execz .LBB6_1696
.LBB6_1695:                             ;   in Loop: Header=BB6_143 Depth=2
	v_and_b32_e32 v47, 0xffff, v47
	v_lshlrev_b32_e32 v59, 16, v15
	s_delay_alu instid0(VALU_DEP_2) | instskip(NEXT) | instid1(VALU_DEP_1)
	v_and_b32_e32 v56, 7, v47
	v_clz_i32_u32_e32 v57, v56
	s_delay_alu instid0(VALU_DEP_1) | instskip(NEXT) | instid1(VALU_DEP_1)
	v_min_u32_e32 v57, 32, v57
	v_subrev_nc_u32_e32 v58, 28, v57
	v_sub_nc_u32_e32 v57, 29, v57
	s_delay_alu instid0(VALU_DEP_2) | instskip(SKIP_1) | instid1(VALU_DEP_2)
	v_lshlrev_b32_e32 v58, v58, v47
	v_bfe_u32 v47, v47, 3, 4
	v_and_b32_e32 v58, 7, v58
	s_delay_alu instid0(VALU_DEP_2) | instskip(NEXT) | instid1(VALU_DEP_2)
	v_cmp_eq_u32_e32 vcc_lo, 0, v47
	v_dual_cndmask_b32 v47, v47, v57 :: v_dual_cndmask_b32 v56, v56, v58
	v_and_b32_e32 v57, 0x80000000, v59
	s_delay_alu instid0(VALU_DEP_2) | instskip(NEXT) | instid1(VALU_DEP_3)
	v_lshl_add_u32 v47, v47, 23, 0x3b800000
	v_lshlrev_b32_e32 v56, 20, v56
	s_delay_alu instid0(VALU_DEP_1)
	v_or3_b32 v56, v57, v47, v56
.LBB6_1696:                             ;   in Loop: Header=BB6_143 Depth=2
	s_or_b32 exec_lo, exec_lo, s26
	s_mov_b32 s11, 0
	s_mov_b32 s27, exec_lo
                                        ; implicit-def: $sgpr26
	v_cmpx_lt_i16_e32 0x7f, v46
	s_xor_b32 s27, exec_lo, s27
	s_cbranch_execnz .LBB6_2857
; %bb.1697:                             ;   in Loop: Header=BB6_143 Depth=2
	s_or_saveexec_b32 s27, s27
	v_mov_b32_e32 v47, s26
	s_xor_b32 exec_lo, exec_lo, s27
	s_cbranch_execnz .LBB6_2860
.LBB6_1698:                             ;   in Loop: Header=BB6_143 Depth=2
	s_or_b32 exec_lo, exec_lo, s27
	s_and_saveexec_b32 s26, s11
	s_cbranch_execz .LBB6_1700
.LBB6_1699:                             ;   in Loop: Header=BB6_143 Depth=2
	v_and_b32_e32 v46, 0xffff, v46
	v_lshlrev_b32_e32 v59, 16, v11
	s_delay_alu instid0(VALU_DEP_2) | instskip(NEXT) | instid1(VALU_DEP_1)
	v_and_b32_e32 v47, 7, v46
	v_clz_i32_u32_e32 v57, v47
	s_delay_alu instid0(VALU_DEP_1) | instskip(NEXT) | instid1(VALU_DEP_1)
	v_min_u32_e32 v57, 32, v57
	v_subrev_nc_u32_e32 v58, 28, v57
	v_sub_nc_u32_e32 v57, 29, v57
	s_delay_alu instid0(VALU_DEP_2) | instskip(SKIP_1) | instid1(VALU_DEP_2)
	v_lshlrev_b32_e32 v58, v58, v46
	v_bfe_u32 v46, v46, 3, 4
	v_and_b32_e32 v58, 7, v58
	s_delay_alu instid0(VALU_DEP_2) | instskip(NEXT) | instid1(VALU_DEP_2)
	v_cmp_eq_u32_e32 vcc_lo, 0, v46
	v_dual_cndmask_b32 v46, v46, v57 :: v_dual_cndmask_b32 v47, v47, v58
	v_and_b32_e32 v57, 0x80000000, v59
	s_delay_alu instid0(VALU_DEP_2) | instskip(NEXT) | instid1(VALU_DEP_3)
	v_lshl_add_u32 v46, v46, 23, 0x3b800000
	v_lshlrev_b32_e32 v47, 20, v47
	s_delay_alu instid0(VALU_DEP_1)
	v_or3_b32 v47, v57, v46, v47
.LBB6_1700:                             ;   in Loop: Header=BB6_143 Depth=2
	s_or_b32 exec_lo, exec_lo, s26
	s_delay_alu instid0(VALU_DEP_1) | instskip(NEXT) | instid1(VALU_DEP_1)
	v_dual_max_f32 v46, v47, v47 :: v_dual_max_f32 v47, v56, v56
	v_min_f32_e32 v56, v47, v46
.LBB6_1701:                             ;   in Loop: Header=BB6_143 Depth=2
	s_delay_alu instid0(VALU_DEP_1) | instskip(NEXT) | instid1(VALU_DEP_1)
	v_and_b32_e32 v46, 0x7f800000, v56
	v_cmp_ne_u32_e32 vcc_lo, 0x7f800000, v46
	v_mov_b32_e32 v46, 0x80
	s_and_saveexec_b32 s26, vcc_lo
	s_cbranch_execz .LBB6_1709
; %bb.1702:                             ;   in Loop: Header=BB6_143 Depth=2
	v_mov_b32_e32 v46, 0
	s_mov_b32 s27, exec_lo
	v_cmpx_ne_u32_e32 0, v56
	s_cbranch_execz .LBB6_1708
; %bb.1703:                             ;   in Loop: Header=BB6_143 Depth=2
	v_bfe_u32 v46, v56, 23, 8
	v_and_b32_e32 v47, 0x7fffff, v56
	s_delay_alu instid0(VALU_DEP_2) | instskip(SKIP_1) | instid1(VALU_DEP_3)
	v_sub_nc_u32_e32 v57, 0x78, v46
	v_cmp_gt_u32_e32 vcc_lo, 0x79, v46
	v_or_b32_e32 v58, 0x800000, v47
	s_delay_alu instid0(VALU_DEP_3) | instskip(SKIP_2) | instid1(VALU_DEP_3)
	v_cndmask_b32_e32 v57, 0, v57, vcc_lo
	v_cmp_eq_u32_e32 vcc_lo, 0, v46
	v_add_nc_u32_e32 v46, 0xffffff89, v46
	v_cndmask_b32_e64 v57, v57, 0x77, vcc_lo
	v_cndmask_b32_e32 v47, v58, v47, vcc_lo
	s_delay_alu instid0(VALU_DEP_3) | instskip(NEXT) | instid1(VALU_DEP_3)
	v_cndmask_b32_e64 v46, v46, 0xffffff8a, vcc_lo
	v_lshl_add_u32 v58, 0x100000, v57, -1
	s_delay_alu instid0(VALU_DEP_3) | instskip(SKIP_1) | instid1(VALU_DEP_4)
	v_lshrrev_b32_e32 v59, v57, v47
	v_lshlrev_b32_e64 v61, v57, 0x80000
	v_add_nc_u32_e32 v57, v57, v46
	s_delay_alu instid0(VALU_DEP_4) | instskip(NEXT) | instid1(VALU_DEP_4)
	v_and_b32_e32 v47, v58, v47
	v_bfe_u32 v60, v59, 20, 1
	s_delay_alu instid0(VALU_DEP_2) | instskip(NEXT) | instid1(VALU_DEP_2)
	v_cmp_eq_u32_e64 s11, v47, v61
	v_add_nc_u32_e32 v58, -1, v60
	s_delay_alu instid0(VALU_DEP_1) | instskip(SKIP_2) | instid1(VALU_DEP_2)
	v_cndmask_b32_e64 v47, 0, v58, s11
	v_lshrrev_b32_e32 v58, 23, v59
	s_mov_b32 s11, exec_lo
	v_add_nc_u32_e32 v47, v47, v59
	s_delay_alu instid0(VALU_DEP_2) | instskip(NEXT) | instid1(VALU_DEP_2)
	v_xor_b32_e32 v58, 1, v58
	v_and_b32_e32 v46, 0xfffff, v47
	s_delay_alu instid0(VALU_DEP_1) | instskip(NEXT) | instid1(VALU_DEP_3)
	v_add_nc_u32_e32 v47, v46, v59
                                        ; implicit-def: $vgpr46
	v_cmpx_ne_u32_e64 v57, v58
	s_xor_b32 s11, exec_lo, s11
; %bb.1704:                             ;   in Loop: Header=BB6_143 Depth=2
	s_delay_alu instid0(VALU_DEP_2) | instskip(SKIP_2) | instid1(VALU_DEP_2)
	v_cmp_lt_u32_e32 vcc_lo, 0xffffff, v47
	v_sub_nc_u32_e32 v46, v57, v58
	v_cndmask_b32_e64 v57, 0, 1, vcc_lo
	v_add_co_ci_u32_e32 v46, vcc_lo, 0, v46, vcc_lo
	s_delay_alu instid0(VALU_DEP_2)
	v_lshrrev_b32_e32 v47, v57, v47
; %bb.1705:                             ;   in Loop: Header=BB6_143 Depth=2
	s_and_not1_saveexec_b32 s11, s11
; %bb.1706:                             ;   in Loop: Header=BB6_143 Depth=2
	s_delay_alu instid0(VALU_DEP_1)
	v_bfe_u32 v46, v47, 23, 1
; %bb.1707:                             ;   in Loop: Header=BB6_143 Depth=2
	s_or_b32 exec_lo, exec_lo, s11
	v_lshrrev_b32_e32 v47, 20, v47
	s_delay_alu instid0(VALU_DEP_2) | instskip(SKIP_2) | instid1(VALU_DEP_2)
	v_cmp_gt_i32_e32 vcc_lo, 16, v46
	v_lshrrev_b32_e32 v56, 24, v56
	v_min_i32_e32 v57, 15, v46
	v_dual_cndmask_b32 v47, 7, v47 :: v_dual_and_b32 v56, 0x80, v56
	s_delay_alu instid0(VALU_DEP_1) | instskip(SKIP_1) | instid1(VALU_DEP_2)
	v_or_b32_e32 v46, v46, v47
	v_and_b32_e32 v58, 7, v47
	v_cmp_ne_u32_e32 vcc_lo, 0, v46
	v_lshlrev_b32_e32 v57, 3, v57
	s_delay_alu instid0(VALU_DEP_1) | instskip(NEXT) | instid1(VALU_DEP_1)
	v_or3_b32 v47, v57, v56, v58
	v_cndmask_b32_e32 v46, 0, v47, vcc_lo
.LBB6_1708:                             ;   in Loop: Header=BB6_143 Depth=2
	s_or_b32 exec_lo, exec_lo, s27
.LBB6_1709:                             ;   in Loop: Header=BB6_143 Depth=2
	s_delay_alu instid0(SALU_CYCLE_1)
	s_or_b32 exec_lo, exec_lo, s26
	v_lshrrev_b32_e32 v56, 16, v15
	v_lshrrev_b32_e32 v47, 16, v11
	s_and_not1_b32 vcc_lo, exec_lo, s25
	s_cbranch_vccnz .LBB6_1719
; %bb.1710:                             ;   in Loop: Header=BB6_143 Depth=2
	s_delay_alu instid0(VALU_DEP_2) | instskip(SKIP_2) | instid1(VALU_DEP_1)
	v_and_b32_e32 v58, 0xff, v56
	s_mov_b32 s11, 0
	s_mov_b32 s27, exec_lo
                                        ; implicit-def: $sgpr26
	v_cmpx_lt_i16_e32 0x7f, v58
	s_xor_b32 s27, exec_lo, s27
	s_cbranch_execnz .LBB6_2861
; %bb.1711:                             ;   in Loop: Header=BB6_143 Depth=2
	s_or_saveexec_b32 s27, s27
	v_mov_b32_e32 v57, s26
	s_xor_b32 exec_lo, exec_lo, s27
	s_cbranch_execnz .LBB6_2864
.LBB6_1712:                             ;   in Loop: Header=BB6_143 Depth=2
	s_or_b32 exec_lo, exec_lo, s27
	s_and_saveexec_b32 s26, s11
	s_cbranch_execz .LBB6_1714
.LBB6_1713:                             ;   in Loop: Header=BB6_143 Depth=2
	v_bfe_u32 v57, v15, 16, 3
	v_bfe_u32 v60, v15, 19, 4
	v_lshlrev_b32_e32 v61, 24, v56
	s_delay_alu instid0(VALU_DEP_3) | instskip(NEXT) | instid1(VALU_DEP_3)
	v_clz_i32_u32_e32 v58, v57
	v_cmp_eq_u32_e32 vcc_lo, 0, v60
	s_delay_alu instid0(VALU_DEP_2) | instskip(NEXT) | instid1(VALU_DEP_1)
	v_min_u32_e32 v58, 32, v58
	v_subrev_nc_u32_e32 v59, 28, v58
	v_sub_nc_u32_e32 v58, 29, v58
	s_delay_alu instid0(VALU_DEP_1) | instskip(NEXT) | instid1(VALU_DEP_1)
	v_dual_cndmask_b32 v58, v60, v58 :: v_dual_lshlrev_b32 v59, v59, v56
	v_and_b32_e32 v59, 7, v59
	s_delay_alu instid0(VALU_DEP_2) | instskip(NEXT) | instid1(VALU_DEP_2)
	v_lshl_add_u32 v58, v58, 23, 0x3b800000
	v_cndmask_b32_e32 v57, v57, v59, vcc_lo
	v_and_b32_e32 v59, 0x80000000, v61
	s_delay_alu instid0(VALU_DEP_2) | instskip(NEXT) | instid1(VALU_DEP_1)
	v_lshlrev_b32_e32 v57, 20, v57
	v_or3_b32 v57, v59, v58, v57
.LBB6_1714:                             ;   in Loop: Header=BB6_143 Depth=2
	s_or_b32 exec_lo, exec_lo, s26
	v_and_b32_e32 v59, 0xff, v47
	s_mov_b32 s11, 0
	s_mov_b32 s27, exec_lo
                                        ; implicit-def: $sgpr26
	s_delay_alu instid0(VALU_DEP_1)
	v_cmpx_lt_i16_e32 0x7f, v59
	s_xor_b32 s27, exec_lo, s27
	s_cbranch_execnz .LBB6_2865
; %bb.1715:                             ;   in Loop: Header=BB6_143 Depth=2
	s_or_saveexec_b32 s27, s27
	v_mov_b32_e32 v58, s26
	s_xor_b32 exec_lo, exec_lo, s27
	s_cbranch_execnz .LBB6_2868
.LBB6_1716:                             ;   in Loop: Header=BB6_143 Depth=2
	s_or_b32 exec_lo, exec_lo, s27
	s_and_saveexec_b32 s26, s11
	s_cbranch_execz .LBB6_1718
.LBB6_1717:                             ;   in Loop: Header=BB6_143 Depth=2
	v_bfe_u32 v58, v11, 16, 3
	v_bfe_u32 v61, v11, 19, 4
	v_lshlrev_b32_e32 v62, 24, v47
	s_delay_alu instid0(VALU_DEP_3) | instskip(NEXT) | instid1(VALU_DEP_3)
	v_clz_i32_u32_e32 v59, v58
	v_cmp_eq_u32_e32 vcc_lo, 0, v61
	s_delay_alu instid0(VALU_DEP_2) | instskip(NEXT) | instid1(VALU_DEP_1)
	v_min_u32_e32 v59, 32, v59
	v_subrev_nc_u32_e32 v60, 28, v59
	v_sub_nc_u32_e32 v59, 29, v59
	s_delay_alu instid0(VALU_DEP_2) | instskip(NEXT) | instid1(VALU_DEP_1)
	v_lshlrev_b32_e32 v60, v60, v47
	v_dual_cndmask_b32 v59, v61, v59 :: v_dual_and_b32 v60, 7, v60
	s_delay_alu instid0(VALU_DEP_1) | instskip(NEXT) | instid1(VALU_DEP_2)
	v_lshl_add_u32 v59, v59, 23, 0x3b800000
	v_cndmask_b32_e32 v58, v58, v60, vcc_lo
	v_and_b32_e32 v60, 0x80000000, v62
	s_delay_alu instid0(VALU_DEP_2) | instskip(NEXT) | instid1(VALU_DEP_1)
	v_lshlrev_b32_e32 v58, 20, v58
	v_or3_b32 v58, v60, v59, v58
.LBB6_1718:                             ;   in Loop: Header=BB6_143 Depth=2
	s_or_b32 exec_lo, exec_lo, s26
	s_delay_alu instid0(VALU_DEP_1) | instskip(SKIP_1) | instid1(VALU_DEP_1)
	v_dual_max_f32 v58, v58, v58 :: v_dual_max_f32 v57, v57, v57
	s_mov_b32 s11, 0
	v_max_f32_e32 v57, v57, v58
	s_branch .LBB6_1720
.LBB6_1719:                             ;   in Loop: Header=BB6_143 Depth=2
	s_mov_b32 s11, -1
                                        ; implicit-def: $vgpr57
.LBB6_1720:                             ;   in Loop: Header=BB6_143 Depth=2
	s_delay_alu instid0(SALU_CYCLE_1)
	s_and_b32 vcc_lo, exec_lo, s11
	s_cbranch_vccz .LBB6_1730
; %bb.1721:                             ;   in Loop: Header=BB6_143 Depth=2
	v_and_b32_e32 v58, 0xff, v56
	s_mov_b32 s11, 0
	s_mov_b32 s27, exec_lo
                                        ; implicit-def: $sgpr26
	s_delay_alu instid0(VALU_DEP_1)
	v_cmpx_lt_i16_e32 0x7f, v58
	s_xor_b32 s27, exec_lo, s27
	s_cbranch_execnz .LBB6_2869
; %bb.1722:                             ;   in Loop: Header=BB6_143 Depth=2
	s_or_saveexec_b32 s27, s27
	v_mov_b32_e32 v57, s26
	s_xor_b32 exec_lo, exec_lo, s27
	s_cbranch_execnz .LBB6_2872
.LBB6_1723:                             ;   in Loop: Header=BB6_143 Depth=2
	s_or_b32 exec_lo, exec_lo, s27
	s_and_saveexec_b32 s26, s11
	s_cbranch_execz .LBB6_1725
.LBB6_1724:                             ;   in Loop: Header=BB6_143 Depth=2
	v_bfe_u32 v57, v15, 16, 3
	v_bfe_u32 v60, v15, 19, 4
	s_delay_alu instid0(VALU_DEP_2) | instskip(NEXT) | instid1(VALU_DEP_2)
	v_clz_i32_u32_e32 v58, v57
	v_cmp_eq_u32_e32 vcc_lo, 0, v60
	s_delay_alu instid0(VALU_DEP_2) | instskip(NEXT) | instid1(VALU_DEP_1)
	v_min_u32_e32 v58, 32, v58
	v_subrev_nc_u32_e32 v59, 28, v58
	v_sub_nc_u32_e32 v58, 29, v58
	s_delay_alu instid0(VALU_DEP_1) | instskip(NEXT) | instid1(VALU_DEP_1)
	v_dual_cndmask_b32 v58, v60, v58 :: v_dual_lshlrev_b32 v59, v59, v56
	v_and_b32_e32 v59, 7, v59
	v_lshlrev_b32_e32 v56, 24, v56
	s_delay_alu instid0(VALU_DEP_3) | instskip(NEXT) | instid1(VALU_DEP_2)
	v_lshl_add_u32 v58, v58, 23, 0x3b800000
	v_dual_cndmask_b32 v57, v57, v59 :: v_dual_and_b32 v56, 0x80000000, v56
	s_delay_alu instid0(VALU_DEP_1) | instskip(NEXT) | instid1(VALU_DEP_1)
	v_lshlrev_b32_e32 v57, 20, v57
	v_or3_b32 v57, v56, v58, v57
.LBB6_1725:                             ;   in Loop: Header=BB6_143 Depth=2
	s_or_b32 exec_lo, exec_lo, s26
	v_and_b32_e32 v58, 0xff, v47
	s_mov_b32 s11, 0
	s_mov_b32 s27, exec_lo
                                        ; implicit-def: $sgpr26
	s_delay_alu instid0(VALU_DEP_1)
	v_cmpx_lt_i16_e32 0x7f, v58
	s_xor_b32 s27, exec_lo, s27
	s_cbranch_execnz .LBB6_2873
; %bb.1726:                             ;   in Loop: Header=BB6_143 Depth=2
	s_or_saveexec_b32 s27, s27
	v_mov_b32_e32 v56, s26
	s_xor_b32 exec_lo, exec_lo, s27
	s_cbranch_execnz .LBB6_2876
.LBB6_1727:                             ;   in Loop: Header=BB6_143 Depth=2
	s_or_b32 exec_lo, exec_lo, s27
	s_and_saveexec_b32 s26, s11
	s_cbranch_execz .LBB6_1729
.LBB6_1728:                             ;   in Loop: Header=BB6_143 Depth=2
	v_bfe_u32 v56, v11, 16, 3
	v_bfe_u32 v60, v11, 19, 4
	s_delay_alu instid0(VALU_DEP_2) | instskip(NEXT) | instid1(VALU_DEP_2)
	v_clz_i32_u32_e32 v58, v56
	v_cmp_eq_u32_e32 vcc_lo, 0, v60
	s_delay_alu instid0(VALU_DEP_2) | instskip(NEXT) | instid1(VALU_DEP_1)
	v_min_u32_e32 v58, 32, v58
	v_subrev_nc_u32_e32 v59, 28, v58
	v_sub_nc_u32_e32 v58, 29, v58
	s_delay_alu instid0(VALU_DEP_1) | instskip(SKIP_1) | instid1(VALU_DEP_2)
	v_dual_cndmask_b32 v58, v60, v58 :: v_dual_lshlrev_b32 v59, v59, v47
	v_lshlrev_b32_e32 v47, 24, v47
	v_and_b32_e32 v59, 7, v59
	s_delay_alu instid0(VALU_DEP_3) | instskip(NEXT) | instid1(VALU_DEP_3)
	v_lshl_add_u32 v58, v58, 23, 0x3b800000
	v_and_b32_e32 v47, 0x80000000, v47
	s_delay_alu instid0(VALU_DEP_3) | instskip(NEXT) | instid1(VALU_DEP_1)
	v_cndmask_b32_e32 v56, v56, v59, vcc_lo
	v_lshlrev_b32_e32 v56, 20, v56
	s_delay_alu instid0(VALU_DEP_1)
	v_or3_b32 v56, v47, v58, v56
.LBB6_1729:                             ;   in Loop: Header=BB6_143 Depth=2
	s_or_b32 exec_lo, exec_lo, s26
	s_delay_alu instid0(VALU_DEP_1) | instskip(NEXT) | instid1(VALU_DEP_1)
	v_dual_max_f32 v47, v56, v56 :: v_dual_max_f32 v56, v57, v57
	v_min_f32_e32 v57, v56, v47
.LBB6_1730:                             ;   in Loop: Header=BB6_143 Depth=2
	s_delay_alu instid0(VALU_DEP_1) | instskip(NEXT) | instid1(VALU_DEP_1)
	v_and_b32_e32 v47, 0x7f800000, v57
	v_cmp_ne_u32_e32 vcc_lo, 0x7f800000, v47
	v_mov_b32_e32 v47, 0x80
	s_and_saveexec_b32 s26, vcc_lo
	s_cbranch_execz .LBB6_1738
; %bb.1731:                             ;   in Loop: Header=BB6_143 Depth=2
	v_mov_b32_e32 v47, 0
	s_mov_b32 s27, exec_lo
	v_cmpx_ne_u32_e32 0, v57
	s_cbranch_execz .LBB6_1737
; %bb.1732:                             ;   in Loop: Header=BB6_143 Depth=2
	v_bfe_u32 v47, v57, 23, 8
	v_and_b32_e32 v56, 0x7fffff, v57
	s_delay_alu instid0(VALU_DEP_2) | instskip(SKIP_1) | instid1(VALU_DEP_3)
	v_sub_nc_u32_e32 v58, 0x78, v47
	v_cmp_gt_u32_e32 vcc_lo, 0x79, v47
	v_or_b32_e32 v59, 0x800000, v56
	s_delay_alu instid0(VALU_DEP_3) | instskip(SKIP_2) | instid1(VALU_DEP_3)
	v_cndmask_b32_e32 v58, 0, v58, vcc_lo
	v_cmp_eq_u32_e32 vcc_lo, 0, v47
	v_add_nc_u32_e32 v47, 0xffffff89, v47
	v_cndmask_b32_e64 v58, v58, 0x77, vcc_lo
	v_cndmask_b32_e32 v56, v59, v56, vcc_lo
	s_delay_alu instid0(VALU_DEP_3) | instskip(NEXT) | instid1(VALU_DEP_3)
	v_cndmask_b32_e64 v47, v47, 0xffffff8a, vcc_lo
	v_lshl_add_u32 v59, 0x100000, v58, -1
	s_delay_alu instid0(VALU_DEP_3) | instskip(SKIP_1) | instid1(VALU_DEP_4)
	v_lshrrev_b32_e32 v60, v58, v56
	v_lshlrev_b32_e64 v62, v58, 0x80000
	v_add_nc_u32_e32 v58, v58, v47
	s_delay_alu instid0(VALU_DEP_4) | instskip(NEXT) | instid1(VALU_DEP_4)
	v_and_b32_e32 v56, v59, v56
	v_bfe_u32 v61, v60, 20, 1
	s_delay_alu instid0(VALU_DEP_2) | instskip(NEXT) | instid1(VALU_DEP_2)
	v_cmp_eq_u32_e64 s11, v56, v62
	v_add_nc_u32_e32 v59, -1, v61
	s_delay_alu instid0(VALU_DEP_1) | instskip(SKIP_2) | instid1(VALU_DEP_2)
	v_cndmask_b32_e64 v56, 0, v59, s11
	v_lshrrev_b32_e32 v59, 23, v60
	s_mov_b32 s11, exec_lo
	v_add_nc_u32_e32 v56, v56, v60
	s_delay_alu instid0(VALU_DEP_2) | instskip(NEXT) | instid1(VALU_DEP_2)
	v_xor_b32_e32 v59, 1, v59
	v_and_b32_e32 v47, 0xfffff, v56
	s_delay_alu instid0(VALU_DEP_1) | instskip(NEXT) | instid1(VALU_DEP_3)
	v_add_nc_u32_e32 v56, v47, v60
                                        ; implicit-def: $vgpr47
	v_cmpx_ne_u32_e64 v58, v59
	s_xor_b32 s11, exec_lo, s11
; %bb.1733:                             ;   in Loop: Header=BB6_143 Depth=2
	s_delay_alu instid0(VALU_DEP_2) | instskip(SKIP_2) | instid1(VALU_DEP_2)
	v_cmp_lt_u32_e32 vcc_lo, 0xffffff, v56
	v_sub_nc_u32_e32 v47, v58, v59
	v_cndmask_b32_e64 v58, 0, 1, vcc_lo
	v_add_co_ci_u32_e32 v47, vcc_lo, 0, v47, vcc_lo
	s_delay_alu instid0(VALU_DEP_2)
	v_lshrrev_b32_e32 v56, v58, v56
; %bb.1734:                             ;   in Loop: Header=BB6_143 Depth=2
	s_and_not1_saveexec_b32 s11, s11
; %bb.1735:                             ;   in Loop: Header=BB6_143 Depth=2
	s_delay_alu instid0(VALU_DEP_1)
	v_bfe_u32 v47, v56, 23, 1
; %bb.1736:                             ;   in Loop: Header=BB6_143 Depth=2
	s_or_b32 exec_lo, exec_lo, s11
	v_lshrrev_b32_e32 v56, 20, v56
	s_delay_alu instid0(VALU_DEP_2) | instskip(SKIP_2) | instid1(VALU_DEP_2)
	v_cmp_gt_i32_e32 vcc_lo, 16, v47
	v_lshrrev_b32_e32 v57, 24, v57
	v_min_i32_e32 v58, 15, v47
	v_dual_cndmask_b32 v56, 7, v56 :: v_dual_and_b32 v57, 0x80, v57
	s_delay_alu instid0(VALU_DEP_1) | instskip(SKIP_1) | instid1(VALU_DEP_2)
	v_or_b32_e32 v47, v47, v56
	v_and_b32_e32 v59, 7, v56
	v_cmp_ne_u32_e32 vcc_lo, 0, v47
	v_lshlrev_b32_e32 v58, 3, v58
	s_delay_alu instid0(VALU_DEP_1) | instskip(NEXT) | instid1(VALU_DEP_1)
	v_and_b32_e32 v58, 0xf8, v58
	v_or3_b32 v56, v58, v57, v59
	s_delay_alu instid0(VALU_DEP_1)
	v_cndmask_b32_e32 v47, 0, v56, vcc_lo
.LBB6_1737:                             ;   in Loop: Header=BB6_143 Depth=2
	s_or_b32 exec_lo, exec_lo, s27
.LBB6_1738:                             ;   in Loop: Header=BB6_143 Depth=2
	s_delay_alu instid0(SALU_CYCLE_1)
	s_or_b32 exec_lo, exec_lo, s26
	v_lshrrev_b32_e32 v57, 24, v15
	v_lshrrev_b32_e32 v56, 24, v11
	s_and_not1_b32 vcc_lo, exec_lo, s25
	s_cbranch_vccnz .LBB6_1748
; %bb.1739:                             ;   in Loop: Header=BB6_143 Depth=2
	s_mov_b32 s11, 0
	s_mov_b32 s27, exec_lo
                                        ; implicit-def: $sgpr26
	v_cmpx_lt_i16_e32 0x7f, v57
	s_xor_b32 s27, exec_lo, s27
	s_cbranch_execnz .LBB6_2877
; %bb.1740:                             ;   in Loop: Header=BB6_143 Depth=2
	s_or_saveexec_b32 s27, s27
	v_mov_b32_e32 v58, s26
	s_xor_b32 exec_lo, exec_lo, s27
	s_cbranch_execnz .LBB6_2880
.LBB6_1741:                             ;   in Loop: Header=BB6_143 Depth=2
	s_or_b32 exec_lo, exec_lo, s27
	s_and_saveexec_b32 s26, s11
	s_cbranch_execz .LBB6_1743
.LBB6_1742:                             ;   in Loop: Header=BB6_143 Depth=2
	v_bfe_u32 v58, v15, 24, 3
	v_bfe_u32 v61, v15, 27, 4
	s_delay_alu instid0(VALU_DEP_2) | instskip(NEXT) | instid1(VALU_DEP_2)
	v_clz_i32_u32_e32 v59, v58
	v_cmp_eq_u32_e32 vcc_lo, 0, v61
	s_delay_alu instid0(VALU_DEP_2) | instskip(NEXT) | instid1(VALU_DEP_1)
	v_min_u32_e32 v59, 32, v59
	v_subrev_nc_u32_e32 v60, 28, v59
	v_sub_nc_u32_e32 v59, 29, v59
	s_delay_alu instid0(VALU_DEP_1) | instskip(NEXT) | instid1(VALU_DEP_1)
	v_dual_cndmask_b32 v59, v61, v59 :: v_dual_lshlrev_b32 v60, v60, v57
	v_and_b32_e32 v60, 7, v60
	s_delay_alu instid0(VALU_DEP_2) | instskip(NEXT) | instid1(VALU_DEP_2)
	v_lshl_add_u32 v59, v59, 23, 0x3b800000
	v_cndmask_b32_e32 v58, v58, v60, vcc_lo
	v_and_b32_e32 v60, 0x80000000, v15
	s_delay_alu instid0(VALU_DEP_2) | instskip(NEXT) | instid1(VALU_DEP_1)
	v_lshlrev_b32_e32 v58, 20, v58
	v_or3_b32 v58, v60, v59, v58
.LBB6_1743:                             ;   in Loop: Header=BB6_143 Depth=2
	s_or_b32 exec_lo, exec_lo, s26
	s_mov_b32 s11, 0
	s_mov_b32 s27, exec_lo
                                        ; implicit-def: $sgpr26
	v_cmpx_lt_i16_e32 0x7f, v56
	s_xor_b32 s27, exec_lo, s27
	s_cbranch_execnz .LBB6_2881
; %bb.1744:                             ;   in Loop: Header=BB6_143 Depth=2
	s_or_saveexec_b32 s27, s27
	v_mov_b32_e32 v59, s26
	s_xor_b32 exec_lo, exec_lo, s27
	s_cbranch_execnz .LBB6_2884
.LBB6_1745:                             ;   in Loop: Header=BB6_143 Depth=2
	s_or_b32 exec_lo, exec_lo, s27
	s_and_saveexec_b32 s26, s11
	s_cbranch_execz .LBB6_1747
.LBB6_1746:                             ;   in Loop: Header=BB6_143 Depth=2
	v_bfe_u32 v59, v11, 24, 3
	v_bfe_u32 v62, v11, 27, 4
	s_delay_alu instid0(VALU_DEP_2) | instskip(NEXT) | instid1(VALU_DEP_2)
	v_clz_i32_u32_e32 v60, v59
	v_cmp_eq_u32_e32 vcc_lo, 0, v62
	s_delay_alu instid0(VALU_DEP_2) | instskip(NEXT) | instid1(VALU_DEP_1)
	v_min_u32_e32 v60, 32, v60
	v_subrev_nc_u32_e32 v61, 28, v60
	v_sub_nc_u32_e32 v60, 29, v60
	s_delay_alu instid0(VALU_DEP_2) | instskip(NEXT) | instid1(VALU_DEP_1)
	v_lshlrev_b32_e32 v61, v61, v56
	v_dual_cndmask_b32 v60, v62, v60 :: v_dual_and_b32 v61, 7, v61
	s_delay_alu instid0(VALU_DEP_1) | instskip(NEXT) | instid1(VALU_DEP_2)
	v_lshl_add_u32 v60, v60, 23, 0x3b800000
	v_cndmask_b32_e32 v59, v59, v61, vcc_lo
	v_and_b32_e32 v61, 0x80000000, v11
	s_delay_alu instid0(VALU_DEP_2) | instskip(NEXT) | instid1(VALU_DEP_1)
	v_lshlrev_b32_e32 v59, 20, v59
	v_or3_b32 v59, v61, v60, v59
.LBB6_1747:                             ;   in Loop: Header=BB6_143 Depth=2
	s_or_b32 exec_lo, exec_lo, s26
	s_delay_alu instid0(VALU_DEP_1) | instskip(SKIP_1) | instid1(VALU_DEP_1)
	v_dual_max_f32 v59, v59, v59 :: v_dual_max_f32 v58, v58, v58
	s_mov_b32 s11, 0
	v_max_f32_e32 v58, v58, v59
	s_branch .LBB6_1749
.LBB6_1748:                             ;   in Loop: Header=BB6_143 Depth=2
	s_mov_b32 s11, -1
                                        ; implicit-def: $vgpr58
.LBB6_1749:                             ;   in Loop: Header=BB6_143 Depth=2
	s_delay_alu instid0(SALU_CYCLE_1)
	s_and_b32 vcc_lo, exec_lo, s11
	s_cbranch_vccz .LBB6_1759
; %bb.1750:                             ;   in Loop: Header=BB6_143 Depth=2
	s_mov_b32 s11, 0
	s_mov_b32 s27, exec_lo
                                        ; implicit-def: $sgpr26
	v_cmpx_lt_i16_e32 0x7f, v57
	s_xor_b32 s27, exec_lo, s27
	s_cbranch_execnz .LBB6_2885
; %bb.1751:                             ;   in Loop: Header=BB6_143 Depth=2
	s_or_saveexec_b32 s27, s27
	v_mov_b32_e32 v58, s26
	s_xor_b32 exec_lo, exec_lo, s27
	s_cbranch_execnz .LBB6_2888
.LBB6_1752:                             ;   in Loop: Header=BB6_143 Depth=2
	s_or_b32 exec_lo, exec_lo, s27
	s_and_saveexec_b32 s26, s11
	s_cbranch_execz .LBB6_1754
.LBB6_1753:                             ;   in Loop: Header=BB6_143 Depth=2
	v_bfe_u32 v58, v15, 24, 3
	s_delay_alu instid0(VALU_DEP_1) | instskip(NEXT) | instid1(VALU_DEP_1)
	v_clz_i32_u32_e32 v59, v58
	v_min_u32_e32 v59, 32, v59
	s_delay_alu instid0(VALU_DEP_1) | instskip(SKIP_1) | instid1(VALU_DEP_2)
	v_subrev_nc_u32_e32 v60, 28, v59
	v_sub_nc_u32_e32 v59, 29, v59
	v_lshlrev_b32_e32 v57, v60, v57
	v_bfe_u32 v60, v15, 27, 4
	v_and_b32_e32 v15, 0x80000000, v15
	s_delay_alu instid0(VALU_DEP_3) | instskip(NEXT) | instid1(VALU_DEP_3)
	v_and_b32_e32 v57, 7, v57
	v_cmp_eq_u32_e32 vcc_lo, 0, v60
	v_cndmask_b32_e32 v59, v60, v59, vcc_lo
	s_delay_alu instid0(VALU_DEP_3) | instskip(NEXT) | instid1(VALU_DEP_2)
	v_cndmask_b32_e32 v57, v58, v57, vcc_lo
	v_lshl_add_u32 v58, v59, 23, 0x3b800000
	s_delay_alu instid0(VALU_DEP_2) | instskip(NEXT) | instid1(VALU_DEP_1)
	v_lshlrev_b32_e32 v57, 20, v57
	v_or3_b32 v58, v15, v58, v57
.LBB6_1754:                             ;   in Loop: Header=BB6_143 Depth=2
	s_or_b32 exec_lo, exec_lo, s26
	s_mov_b32 s11, 0
	s_mov_b32 s27, exec_lo
                                        ; implicit-def: $sgpr26
	v_cmpx_lt_i16_e32 0x7f, v56
	s_xor_b32 s27, exec_lo, s27
	s_cbranch_execnz .LBB6_2889
; %bb.1755:                             ;   in Loop: Header=BB6_143 Depth=2
	s_or_saveexec_b32 s27, s27
	v_mov_b32_e32 v15, s26
	s_xor_b32 exec_lo, exec_lo, s27
	s_cbranch_execnz .LBB6_2892
.LBB6_1756:                             ;   in Loop: Header=BB6_143 Depth=2
	s_or_b32 exec_lo, exec_lo, s27
	s_and_saveexec_b32 s26, s11
	s_cbranch_execz .LBB6_1758
.LBB6_1757:                             ;   in Loop: Header=BB6_143 Depth=2
	v_bfe_u32 v15, v11, 24, 3
	s_delay_alu instid0(VALU_DEP_1) | instskip(NEXT) | instid1(VALU_DEP_1)
	v_clz_i32_u32_e32 v57, v15
	v_min_u32_e32 v57, 32, v57
	s_delay_alu instid0(VALU_DEP_1) | instskip(SKIP_1) | instid1(VALU_DEP_2)
	v_subrev_nc_u32_e32 v59, 28, v57
	v_sub_nc_u32_e32 v57, 29, v57
	v_lshlrev_b32_e32 v56, v59, v56
	v_bfe_u32 v59, v11, 27, 4
	v_and_b32_e32 v11, 0x80000000, v11
	s_delay_alu instid0(VALU_DEP_2) | instskip(NEXT) | instid1(VALU_DEP_4)
	v_cmp_eq_u32_e32 vcc_lo, 0, v59
	v_dual_cndmask_b32 v57, v59, v57 :: v_dual_and_b32 v56, 7, v56
	s_delay_alu instid0(VALU_DEP_1) | instskip(NEXT) | instid1(VALU_DEP_2)
	v_cndmask_b32_e32 v15, v15, v56, vcc_lo
	v_lshl_add_u32 v56, v57, 23, 0x3b800000
	s_delay_alu instid0(VALU_DEP_2) | instskip(NEXT) | instid1(VALU_DEP_1)
	v_lshlrev_b32_e32 v15, 20, v15
	v_or3_b32 v15, v11, v56, v15
.LBB6_1758:                             ;   in Loop: Header=BB6_143 Depth=2
	s_or_b32 exec_lo, exec_lo, s26
	s_delay_alu instid0(VALU_DEP_1) | instskip(SKIP_1) | instid1(VALU_DEP_1)
	v_max_f32_e32 v11, v15, v15
	v_max_f32_e32 v15, v58, v58
	v_min_f32_e32 v58, v15, v11
.LBB6_1759:                             ;   in Loop: Header=BB6_143 Depth=2
	s_delay_alu instid0(VALU_DEP_1) | instskip(NEXT) | instid1(VALU_DEP_1)
	v_and_b32_e32 v11, 0x7f800000, v58
	v_cmp_ne_u32_e32 vcc_lo, 0x7f800000, v11
	v_mov_b32_e32 v11, 0x8000
	s_and_saveexec_b32 s26, vcc_lo
	s_cbranch_execz .LBB6_1767
; %bb.1760:                             ;   in Loop: Header=BB6_143 Depth=2
	v_mov_b32_e32 v11, 0
	s_mov_b32 s27, exec_lo
	v_cmpx_ne_u32_e32 0, v58
	s_cbranch_execz .LBB6_1766
; %bb.1761:                             ;   in Loop: Header=BB6_143 Depth=2
	v_bfe_u32 v11, v58, 23, 8
	s_delay_alu instid0(VALU_DEP_1) | instskip(SKIP_1) | instid1(VALU_DEP_2)
	v_sub_nc_u32_e32 v56, 0x78, v11
	v_cmp_gt_u32_e32 vcc_lo, 0x79, v11
	v_dual_cndmask_b32 v56, 0, v56 :: v_dual_and_b32 v15, 0x7fffff, v58
	s_delay_alu instid0(VALU_DEP_1) | instskip(SKIP_2) | instid1(VALU_DEP_4)
	v_or_b32_e32 v57, 0x800000, v15
	v_cmp_eq_u32_e32 vcc_lo, 0, v11
	v_add_nc_u32_e32 v11, 0xffffff89, v11
	v_cndmask_b32_e64 v56, v56, 0x77, vcc_lo
	s_delay_alu instid0(VALU_DEP_4) | instskip(NEXT) | instid1(VALU_DEP_3)
	v_cndmask_b32_e32 v15, v57, v15, vcc_lo
	v_cndmask_b32_e64 v11, v11, 0xffffff8a, vcc_lo
	s_delay_alu instid0(VALU_DEP_3) | instskip(NEXT) | instid1(VALU_DEP_3)
	v_lshl_add_u32 v57, 0x100000, v56, -1
	v_lshrrev_b32_e32 v59, v56, v15
	v_lshlrev_b32_e64 v61, v56, 0x80000
	s_delay_alu instid0(VALU_DEP_4) | instskip(NEXT) | instid1(VALU_DEP_4)
	v_add_nc_u32_e32 v56, v56, v11
	v_and_b32_e32 v15, v57, v15
	s_delay_alu instid0(VALU_DEP_4) | instskip(NEXT) | instid1(VALU_DEP_2)
	v_bfe_u32 v60, v59, 20, 1
	v_cmp_eq_u32_e64 s11, v15, v61
	s_delay_alu instid0(VALU_DEP_2) | instskip(NEXT) | instid1(VALU_DEP_1)
	v_add_nc_u32_e32 v57, -1, v60
	v_cndmask_b32_e64 v15, 0, v57, s11
	v_lshrrev_b32_e32 v57, 23, v59
	s_mov_b32 s11, exec_lo
	s_delay_alu instid0(VALU_DEP_2) | instskip(NEXT) | instid1(VALU_DEP_2)
	v_add_nc_u32_e32 v15, v15, v59
	v_xor_b32_e32 v57, 1, v57
	s_delay_alu instid0(VALU_DEP_2) | instskip(NEXT) | instid1(VALU_DEP_1)
	v_and_b32_e32 v11, 0xfffff, v15
	v_add_nc_u32_e32 v15, v11, v59
                                        ; implicit-def: $vgpr11
	s_delay_alu instid0(VALU_DEP_3)
	v_cmpx_ne_u32_e64 v56, v57
	s_xor_b32 s11, exec_lo, s11
; %bb.1762:                             ;   in Loop: Header=BB6_143 Depth=2
	s_delay_alu instid0(VALU_DEP_2) | instskip(SKIP_2) | instid1(VALU_DEP_2)
	v_cmp_lt_u32_e32 vcc_lo, 0xffffff, v15
	v_sub_nc_u32_e32 v11, v56, v57
	v_cndmask_b32_e64 v56, 0, 1, vcc_lo
	v_add_co_ci_u32_e32 v11, vcc_lo, 0, v11, vcc_lo
	s_delay_alu instid0(VALU_DEP_2)
	v_lshrrev_b32_e32 v15, v56, v15
; %bb.1763:                             ;   in Loop: Header=BB6_143 Depth=2
	s_and_not1_saveexec_b32 s11, s11
; %bb.1764:                             ;   in Loop: Header=BB6_143 Depth=2
	s_delay_alu instid0(VALU_DEP_1)
	v_bfe_u32 v11, v15, 23, 1
; %bb.1765:                             ;   in Loop: Header=BB6_143 Depth=2
	s_or_b32 exec_lo, exec_lo, s11
	v_lshrrev_b32_e32 v15, 20, v15
	s_delay_alu instid0(VALU_DEP_2) | instskip(SKIP_2) | instid1(VALU_DEP_2)
	v_cmp_gt_i32_e32 vcc_lo, 16, v11
	v_min_i32_e32 v56, 15, v11
	v_lshrrev_b32_e32 v57, 24, v58
	v_dual_cndmask_b32 v15, 7, v15 :: v_dual_lshlrev_b32 v56, 3, v56
	s_delay_alu instid0(VALU_DEP_2) | instskip(NEXT) | instid1(VALU_DEP_2)
	v_and_b32_e32 v57, 0x80, v57
	v_or_b32_e32 v11, v11, v15
	v_and_b32_e32 v58, 7, v15
	s_delay_alu instid0(VALU_DEP_2) | instskip(SKIP_1) | instid1(VALU_DEP_1)
	v_cmp_ne_u32_e32 vcc_lo, 0, v11
	v_and_b32_e32 v56, 0xf8, v56
	v_or3_b32 v56, v57, v56, v58
	s_delay_alu instid0(VALU_DEP_1) | instskip(NEXT) | instid1(VALU_DEP_1)
	v_lshlrev_b32_e32 v15, 8, v56
	v_cndmask_b32_e32 v11, 0, v15, vcc_lo
.LBB6_1766:                             ;   in Loop: Header=BB6_143 Depth=2
	s_or_b32 exec_lo, exec_lo, s27
.LBB6_1767:                             ;   in Loop: Header=BB6_143 Depth=2
	s_delay_alu instid0(SALU_CYCLE_1) | instskip(NEXT) | instid1(SALU_CYCLE_1)
	s_or_b32 exec_lo, exec_lo, s26
	s_and_not1_b32 vcc_lo, exec_lo, s25
	s_cbranch_vccnz .LBB6_1777
; %bb.1768:                             ;   in Loop: Header=BB6_143 Depth=2
	v_and_b32_e32 v56, 0xff, v16
	s_mov_b32 s11, 0
	s_mov_b32 s27, exec_lo
                                        ; implicit-def: $sgpr26
	s_delay_alu instid0(VALU_DEP_1)
	v_cmpx_lt_i16_e32 0x7f, v56
	s_xor_b32 s27, exec_lo, s27
	s_cbranch_execnz .LBB6_2893
; %bb.1769:                             ;   in Loop: Header=BB6_143 Depth=2
	s_or_saveexec_b32 s27, s27
	v_mov_b32_e32 v15, s26
	s_xor_b32 exec_lo, exec_lo, s27
	s_cbranch_execnz .LBB6_2896
.LBB6_1770:                             ;   in Loop: Header=BB6_143 Depth=2
	s_or_b32 exec_lo, exec_lo, s27
	s_and_saveexec_b32 s26, s11
	s_cbranch_execz .LBB6_1772
.LBB6_1771:                             ;   in Loop: Header=BB6_143 Depth=2
	v_and_b32_e32 v15, 7, v16
	v_bfe_u32 v58, v16, 3, 4
	v_lshlrev_b32_e32 v59, 24, v16
	s_delay_alu instid0(VALU_DEP_3) | instskip(NEXT) | instid1(VALU_DEP_3)
	v_clz_i32_u32_e32 v56, v15
	v_cmp_eq_u32_e32 vcc_lo, 0, v58
	s_delay_alu instid0(VALU_DEP_2) | instskip(NEXT) | instid1(VALU_DEP_1)
	v_min_u32_e32 v56, 32, v56
	v_subrev_nc_u32_e32 v57, 28, v56
	v_sub_nc_u32_e32 v56, 29, v56
	s_delay_alu instid0(VALU_DEP_2) | instskip(NEXT) | instid1(VALU_DEP_1)
	v_lshlrev_b32_e32 v57, v57, v16
	v_dual_cndmask_b32 v56, v58, v56 :: v_dual_and_b32 v57, 7, v57
	s_delay_alu instid0(VALU_DEP_1) | instskip(NEXT) | instid1(VALU_DEP_2)
	v_lshl_add_u32 v56, v56, 23, 0x3b800000
	v_cndmask_b32_e32 v15, v15, v57, vcc_lo
	v_and_b32_e32 v57, 0x80000000, v59
	s_delay_alu instid0(VALU_DEP_2) | instskip(NEXT) | instid1(VALU_DEP_1)
	v_lshlrev_b32_e32 v15, 20, v15
	v_or3_b32 v15, v57, v56, v15
.LBB6_1772:                             ;   in Loop: Header=BB6_143 Depth=2
	s_or_b32 exec_lo, exec_lo, s26
	v_and_b32_e32 v57, 0xff, v12
	s_mov_b32 s11, 0
	s_mov_b32 s27, exec_lo
                                        ; implicit-def: $sgpr26
	s_delay_alu instid0(VALU_DEP_1)
	v_cmpx_lt_i16_e32 0x7f, v57
	s_xor_b32 s27, exec_lo, s27
	s_cbranch_execnz .LBB6_2897
; %bb.1773:                             ;   in Loop: Header=BB6_143 Depth=2
	s_or_saveexec_b32 s27, s27
	v_mov_b32_e32 v56, s26
	s_xor_b32 exec_lo, exec_lo, s27
	s_cbranch_execnz .LBB6_2900
.LBB6_1774:                             ;   in Loop: Header=BB6_143 Depth=2
	s_or_b32 exec_lo, exec_lo, s27
	s_and_saveexec_b32 s26, s11
	s_cbranch_execz .LBB6_1776
.LBB6_1775:                             ;   in Loop: Header=BB6_143 Depth=2
	v_bfe_u32 v59, v12, 3, 4
	v_lshlrev_b32_e32 v60, 24, v12
	s_delay_alu instid0(VALU_DEP_2) | instskip(SKIP_1) | instid1(VALU_DEP_1)
	v_cmp_eq_u32_e32 vcc_lo, 0, v59
	v_and_b32_e32 v56, 7, v12
	v_clz_i32_u32_e32 v57, v56
	s_delay_alu instid0(VALU_DEP_1) | instskip(NEXT) | instid1(VALU_DEP_1)
	v_min_u32_e32 v57, 32, v57
	v_subrev_nc_u32_e32 v58, 28, v57
	v_sub_nc_u32_e32 v57, 29, v57
	s_delay_alu instid0(VALU_DEP_1) | instskip(NEXT) | instid1(VALU_DEP_1)
	v_dual_cndmask_b32 v57, v59, v57 :: v_dual_lshlrev_b32 v58, v58, v12
	v_and_b32_e32 v58, 7, v58
	s_delay_alu instid0(VALU_DEP_2) | instskip(NEXT) | instid1(VALU_DEP_2)
	v_lshl_add_u32 v57, v57, 23, 0x3b800000
	v_cndmask_b32_e32 v56, v56, v58, vcc_lo
	v_and_b32_e32 v58, 0x80000000, v60
	s_delay_alu instid0(VALU_DEP_2) | instskip(NEXT) | instid1(VALU_DEP_1)
	v_lshlrev_b32_e32 v56, 20, v56
	v_or3_b32 v56, v58, v57, v56
.LBB6_1776:                             ;   in Loop: Header=BB6_143 Depth=2
	s_or_b32 exec_lo, exec_lo, s26
	s_delay_alu instid0(VALU_DEP_1) | instskip(SKIP_1) | instid1(VALU_DEP_1)
	v_dual_max_f32 v56, v56, v56 :: v_dual_max_f32 v15, v15, v15
	s_mov_b32 s11, 0
	v_max_f32_e32 v56, v15, v56
	s_branch .LBB6_1778
.LBB6_1777:                             ;   in Loop: Header=BB6_143 Depth=2
	s_mov_b32 s11, -1
                                        ; implicit-def: $vgpr56
.LBB6_1778:                             ;   in Loop: Header=BB6_143 Depth=2
	s_delay_alu instid0(SALU_CYCLE_1)
	s_and_b32 vcc_lo, exec_lo, s11
	s_cbranch_vccz .LBB6_1788
; %bb.1779:                             ;   in Loop: Header=BB6_143 Depth=2
	v_and_b32_e32 v56, 0xff, v16
	s_mov_b32 s11, 0
	s_mov_b32 s27, exec_lo
                                        ; implicit-def: $sgpr26
	s_delay_alu instid0(VALU_DEP_1)
	v_cmpx_lt_i16_e32 0x7f, v56
	s_xor_b32 s27, exec_lo, s27
	s_cbranch_execnz .LBB6_2901
; %bb.1780:                             ;   in Loop: Header=BB6_143 Depth=2
	s_or_saveexec_b32 s27, s27
	v_mov_b32_e32 v15, s26
	s_xor_b32 exec_lo, exec_lo, s27
	s_cbranch_execnz .LBB6_2904
.LBB6_1781:                             ;   in Loop: Header=BB6_143 Depth=2
	s_or_b32 exec_lo, exec_lo, s27
	s_and_saveexec_b32 s26, s11
	s_cbranch_execz .LBB6_1783
.LBB6_1782:                             ;   in Loop: Header=BB6_143 Depth=2
	v_and_b32_e32 v15, 7, v16
	v_bfe_u32 v58, v16, 3, 4
	v_lshlrev_b32_e32 v59, 24, v16
	s_delay_alu instid0(VALU_DEP_3) | instskip(NEXT) | instid1(VALU_DEP_3)
	v_clz_i32_u32_e32 v56, v15
	v_cmp_eq_u32_e32 vcc_lo, 0, v58
	s_delay_alu instid0(VALU_DEP_2) | instskip(NEXT) | instid1(VALU_DEP_1)
	v_min_u32_e32 v56, 32, v56
	v_subrev_nc_u32_e32 v57, 28, v56
	v_sub_nc_u32_e32 v56, 29, v56
	s_delay_alu instid0(VALU_DEP_2) | instskip(NEXT) | instid1(VALU_DEP_1)
	v_lshlrev_b32_e32 v57, v57, v16
	v_dual_cndmask_b32 v56, v58, v56 :: v_dual_and_b32 v57, 7, v57
	s_delay_alu instid0(VALU_DEP_1) | instskip(NEXT) | instid1(VALU_DEP_2)
	v_lshl_add_u32 v56, v56, 23, 0x3b800000
	v_cndmask_b32_e32 v15, v15, v57, vcc_lo
	v_and_b32_e32 v57, 0x80000000, v59
	s_delay_alu instid0(VALU_DEP_2) | instskip(NEXT) | instid1(VALU_DEP_1)
	v_lshlrev_b32_e32 v15, 20, v15
	v_or3_b32 v15, v57, v56, v15
.LBB6_1783:                             ;   in Loop: Header=BB6_143 Depth=2
	s_or_b32 exec_lo, exec_lo, s26
	v_and_b32_e32 v57, 0xff, v12
	s_mov_b32 s11, 0
	s_mov_b32 s27, exec_lo
                                        ; implicit-def: $sgpr26
	s_delay_alu instid0(VALU_DEP_1)
	v_cmpx_lt_i16_e32 0x7f, v57
	s_xor_b32 s27, exec_lo, s27
	s_cbranch_execnz .LBB6_2905
; %bb.1784:                             ;   in Loop: Header=BB6_143 Depth=2
	s_or_saveexec_b32 s27, s27
	v_mov_b32_e32 v56, s26
	s_xor_b32 exec_lo, exec_lo, s27
	s_cbranch_execnz .LBB6_2908
.LBB6_1785:                             ;   in Loop: Header=BB6_143 Depth=2
	s_or_b32 exec_lo, exec_lo, s27
	s_and_saveexec_b32 s26, s11
	s_cbranch_execz .LBB6_1787
.LBB6_1786:                             ;   in Loop: Header=BB6_143 Depth=2
	v_bfe_u32 v59, v12, 3, 4
	v_lshlrev_b32_e32 v60, 24, v12
	s_delay_alu instid0(VALU_DEP_2) | instskip(SKIP_1) | instid1(VALU_DEP_1)
	v_cmp_eq_u32_e32 vcc_lo, 0, v59
	v_and_b32_e32 v56, 7, v12
	v_clz_i32_u32_e32 v57, v56
	s_delay_alu instid0(VALU_DEP_1) | instskip(NEXT) | instid1(VALU_DEP_1)
	v_min_u32_e32 v57, 32, v57
	v_subrev_nc_u32_e32 v58, 28, v57
	v_sub_nc_u32_e32 v57, 29, v57
	s_delay_alu instid0(VALU_DEP_1) | instskip(NEXT) | instid1(VALU_DEP_1)
	v_dual_cndmask_b32 v57, v59, v57 :: v_dual_lshlrev_b32 v58, v58, v12
	v_and_b32_e32 v58, 7, v58
	s_delay_alu instid0(VALU_DEP_2) | instskip(NEXT) | instid1(VALU_DEP_2)
	v_lshl_add_u32 v57, v57, 23, 0x3b800000
	v_cndmask_b32_e32 v56, v56, v58, vcc_lo
	v_and_b32_e32 v58, 0x80000000, v60
	s_delay_alu instid0(VALU_DEP_2) | instskip(NEXT) | instid1(VALU_DEP_1)
	v_lshlrev_b32_e32 v56, 20, v56
	v_or3_b32 v56, v58, v57, v56
.LBB6_1787:                             ;   in Loop: Header=BB6_143 Depth=2
	s_or_b32 exec_lo, exec_lo, s26
	s_delay_alu instid0(VALU_DEP_1) | instskip(NEXT) | instid1(VALU_DEP_1)
	v_dual_max_f32 v56, v56, v56 :: v_dual_max_f32 v15, v15, v15
	v_min_f32_e32 v56, v15, v56
.LBB6_1788:                             ;   in Loop: Header=BB6_143 Depth=2
	s_delay_alu instid0(VALU_DEP_1) | instskip(NEXT) | instid1(VALU_DEP_1)
	v_and_b32_e32 v15, 0x7f800000, v56
	v_cmp_ne_u32_e32 vcc_lo, 0x7f800000, v15
	v_mov_b32_e32 v15, 0x80
	s_and_saveexec_b32 s26, vcc_lo
	s_cbranch_execz .LBB6_1796
; %bb.1789:                             ;   in Loop: Header=BB6_143 Depth=2
	v_mov_b32_e32 v15, 0
	s_mov_b32 s27, exec_lo
	v_cmpx_ne_u32_e32 0, v56
	s_cbranch_execz .LBB6_1795
; %bb.1790:                             ;   in Loop: Header=BB6_143 Depth=2
	v_bfe_u32 v15, v56, 23, 8
	s_delay_alu instid0(VALU_DEP_1) | instskip(SKIP_1) | instid1(VALU_DEP_2)
	v_sub_nc_u32_e32 v58, 0x78, v15
	v_cmp_gt_u32_e32 vcc_lo, 0x79, v15
	v_dual_cndmask_b32 v58, 0, v58 :: v_dual_and_b32 v57, 0x7fffff, v56
	s_delay_alu instid0(VALU_DEP_1) | instskip(SKIP_2) | instid1(VALU_DEP_4)
	v_or_b32_e32 v59, 0x800000, v57
	v_cmp_eq_u32_e32 vcc_lo, 0, v15
	v_add_nc_u32_e32 v15, 0xffffff89, v15
	v_cndmask_b32_e64 v58, v58, 0x77, vcc_lo
	s_delay_alu instid0(VALU_DEP_2) | instskip(SKIP_1) | instid1(VALU_DEP_3)
	v_cndmask_b32_e64 v15, v15, 0xffffff8a, vcc_lo
	v_cndmask_b32_e32 v57, v59, v57, vcc_lo
	v_lshl_add_u32 v59, 0x100000, v58, -1
	v_lshlrev_b32_e64 v62, v58, 0x80000
	s_delay_alu instid0(VALU_DEP_3) | instskip(SKIP_1) | instid1(VALU_DEP_4)
	v_lshrrev_b32_e32 v60, v58, v57
	v_add_nc_u32_e32 v58, v58, v15
	v_and_b32_e32 v57, v59, v57
	s_delay_alu instid0(VALU_DEP_3) | instskip(NEXT) | instid1(VALU_DEP_2)
	v_bfe_u32 v61, v60, 20, 1
	v_cmp_eq_u32_e64 s11, v57, v62
	s_delay_alu instid0(VALU_DEP_2) | instskip(NEXT) | instid1(VALU_DEP_1)
	v_add_nc_u32_e32 v59, -1, v61
	v_cndmask_b32_e64 v57, 0, v59, s11
	v_lshrrev_b32_e32 v59, 23, v60
	s_mov_b32 s11, exec_lo
	s_delay_alu instid0(VALU_DEP_2) | instskip(NEXT) | instid1(VALU_DEP_2)
	v_add_nc_u32_e32 v57, v57, v60
	v_xor_b32_e32 v59, 1, v59
	s_delay_alu instid0(VALU_DEP_2) | instskip(NEXT) | instid1(VALU_DEP_1)
	v_and_b32_e32 v15, 0xfffff, v57
	v_add_nc_u32_e32 v57, v15, v60
                                        ; implicit-def: $vgpr15
	s_delay_alu instid0(VALU_DEP_3)
	v_cmpx_ne_u32_e64 v58, v59
	s_xor_b32 s11, exec_lo, s11
; %bb.1791:                             ;   in Loop: Header=BB6_143 Depth=2
	s_delay_alu instid0(VALU_DEP_2) | instskip(SKIP_2) | instid1(VALU_DEP_2)
	v_cmp_lt_u32_e32 vcc_lo, 0xffffff, v57
	v_sub_nc_u32_e32 v15, v58, v59
	v_cndmask_b32_e64 v58, 0, 1, vcc_lo
	v_add_co_ci_u32_e32 v15, vcc_lo, 0, v15, vcc_lo
	s_delay_alu instid0(VALU_DEP_2)
	v_lshrrev_b32_e32 v57, v58, v57
; %bb.1792:                             ;   in Loop: Header=BB6_143 Depth=2
	s_and_not1_saveexec_b32 s11, s11
; %bb.1793:                             ;   in Loop: Header=BB6_143 Depth=2
	s_delay_alu instid0(VALU_DEP_1)
	v_bfe_u32 v15, v57, 23, 1
; %bb.1794:                             ;   in Loop: Header=BB6_143 Depth=2
	s_or_b32 exec_lo, exec_lo, s11
	v_lshrrev_b32_e32 v57, 20, v57
	s_delay_alu instid0(VALU_DEP_2) | instskip(SKIP_2) | instid1(VALU_DEP_2)
	v_cmp_gt_i32_e32 vcc_lo, 16, v15
	v_lshrrev_b32_e32 v56, 24, v56
	v_min_i32_e32 v58, 15, v15
	v_dual_cndmask_b32 v57, 7, v57 :: v_dual_and_b32 v56, 0x80, v56
	s_delay_alu instid0(VALU_DEP_1) | instskip(SKIP_1) | instid1(VALU_DEP_2)
	v_or_b32_e32 v15, v15, v57
	v_and_b32_e32 v59, 7, v57
	v_cmp_ne_u32_e32 vcc_lo, 0, v15
	v_lshlrev_b32_e32 v58, 3, v58
	s_delay_alu instid0(VALU_DEP_1) | instskip(NEXT) | instid1(VALU_DEP_1)
	v_or3_b32 v56, v58, v56, v59
	v_cndmask_b32_e32 v15, 0, v56, vcc_lo
.LBB6_1795:                             ;   in Loop: Header=BB6_143 Depth=2
	s_or_b32 exec_lo, exec_lo, s27
.LBB6_1796:                             ;   in Loop: Header=BB6_143 Depth=2
	s_delay_alu instid0(SALU_CYCLE_1)
	s_or_b32 exec_lo, exec_lo, s26
	v_lshrrev_b16 v57, 8, v16
	v_lshrrev_b16 v56, 8, v12
	s_and_not1_b32 vcc_lo, exec_lo, s25
	s_cbranch_vccnz .LBB6_1806
; %bb.1797:                             ;   in Loop: Header=BB6_143 Depth=2
	s_mov_b32 s11, 0
	s_mov_b32 s27, exec_lo
                                        ; implicit-def: $sgpr26
	v_cmpx_lt_i16_e32 0x7f, v57
	s_xor_b32 s27, exec_lo, s27
	s_cbranch_execnz .LBB6_2909
; %bb.1798:                             ;   in Loop: Header=BB6_143 Depth=2
	s_or_saveexec_b32 s27, s27
	v_mov_b32_e32 v58, s26
	s_xor_b32 exec_lo, exec_lo, s27
	s_cbranch_execnz .LBB6_2912
.LBB6_1799:                             ;   in Loop: Header=BB6_143 Depth=2
	s_or_b32 exec_lo, exec_lo, s27
	s_and_saveexec_b32 s26, s11
	s_cbranch_execz .LBB6_1801
.LBB6_1800:                             ;   in Loop: Header=BB6_143 Depth=2
	v_and_b32_e32 v58, 0xffff, v57
	s_delay_alu instid0(VALU_DEP_1) | instskip(NEXT) | instid1(VALU_DEP_1)
	v_and_b32_e32 v59, 7, v58
	v_clz_i32_u32_e32 v60, v59
	s_delay_alu instid0(VALU_DEP_1) | instskip(NEXT) | instid1(VALU_DEP_1)
	v_min_u32_e32 v60, 32, v60
	v_subrev_nc_u32_e32 v61, 28, v60
	v_sub_nc_u32_e32 v60, 29, v60
	s_delay_alu instid0(VALU_DEP_2) | instskip(SKIP_1) | instid1(VALU_DEP_2)
	v_lshlrev_b32_e32 v61, v61, v58
	v_bfe_u32 v58, v58, 3, 4
	v_and_b32_e32 v61, 7, v61
	s_delay_alu instid0(VALU_DEP_2) | instskip(SKIP_1) | instid1(VALU_DEP_3)
	v_cmp_eq_u32_e32 vcc_lo, 0, v58
	v_cndmask_b32_e32 v58, v58, v60, vcc_lo
	v_dual_cndmask_b32 v59, v59, v61 :: v_dual_lshlrev_b32 v62, 16, v16
	s_delay_alu instid0(VALU_DEP_2) | instskip(NEXT) | instid1(VALU_DEP_2)
	v_lshl_add_u32 v58, v58, 23, 0x3b800000
	v_and_b32_e32 v60, 0x80000000, v62
	s_delay_alu instid0(VALU_DEP_3) | instskip(NEXT) | instid1(VALU_DEP_1)
	v_lshlrev_b32_e32 v59, 20, v59
	v_or3_b32 v58, v60, v58, v59
.LBB6_1801:                             ;   in Loop: Header=BB6_143 Depth=2
	s_or_b32 exec_lo, exec_lo, s26
	s_mov_b32 s11, 0
	s_mov_b32 s27, exec_lo
                                        ; implicit-def: $sgpr26
	v_cmpx_lt_i16_e32 0x7f, v56
	s_xor_b32 s27, exec_lo, s27
	s_cbranch_execnz .LBB6_2913
; %bb.1802:                             ;   in Loop: Header=BB6_143 Depth=2
	s_or_saveexec_b32 s27, s27
	v_mov_b32_e32 v59, s26
	s_xor_b32 exec_lo, exec_lo, s27
	s_cbranch_execnz .LBB6_2916
.LBB6_1803:                             ;   in Loop: Header=BB6_143 Depth=2
	s_or_b32 exec_lo, exec_lo, s27
	s_and_saveexec_b32 s26, s11
	s_cbranch_execz .LBB6_1805
.LBB6_1804:                             ;   in Loop: Header=BB6_143 Depth=2
	v_and_b32_e32 v59, 0xffff, v56
	v_lshlrev_b32_e32 v63, 16, v12
	s_delay_alu instid0(VALU_DEP_2) | instskip(NEXT) | instid1(VALU_DEP_1)
	v_and_b32_e32 v60, 7, v59
	v_clz_i32_u32_e32 v61, v60
	s_delay_alu instid0(VALU_DEP_1) | instskip(NEXT) | instid1(VALU_DEP_1)
	v_min_u32_e32 v61, 32, v61
	v_subrev_nc_u32_e32 v62, 28, v61
	v_sub_nc_u32_e32 v61, 29, v61
	s_delay_alu instid0(VALU_DEP_2) | instskip(SKIP_1) | instid1(VALU_DEP_2)
	v_lshlrev_b32_e32 v62, v62, v59
	v_bfe_u32 v59, v59, 3, 4
	v_and_b32_e32 v62, 7, v62
	s_delay_alu instid0(VALU_DEP_2) | instskip(NEXT) | instid1(VALU_DEP_2)
	v_cmp_eq_u32_e32 vcc_lo, 0, v59
	v_dual_cndmask_b32 v59, v59, v61 :: v_dual_cndmask_b32 v60, v60, v62
	v_and_b32_e32 v61, 0x80000000, v63
	s_delay_alu instid0(VALU_DEP_2) | instskip(NEXT) | instid1(VALU_DEP_3)
	v_lshl_add_u32 v59, v59, 23, 0x3b800000
	v_lshlrev_b32_e32 v60, 20, v60
	s_delay_alu instid0(VALU_DEP_1)
	v_or3_b32 v59, v61, v59, v60
.LBB6_1805:                             ;   in Loop: Header=BB6_143 Depth=2
	s_or_b32 exec_lo, exec_lo, s26
	s_delay_alu instid0(VALU_DEP_1) | instskip(SKIP_1) | instid1(VALU_DEP_1)
	v_dual_max_f32 v59, v59, v59 :: v_dual_max_f32 v58, v58, v58
	s_mov_b32 s11, 0
	v_max_f32_e32 v58, v58, v59
	s_branch .LBB6_1807
.LBB6_1806:                             ;   in Loop: Header=BB6_143 Depth=2
	s_mov_b32 s11, -1
                                        ; implicit-def: $vgpr58
.LBB6_1807:                             ;   in Loop: Header=BB6_143 Depth=2
	s_delay_alu instid0(SALU_CYCLE_1)
	s_and_b32 vcc_lo, exec_lo, s11
	s_cbranch_vccz .LBB6_1817
; %bb.1808:                             ;   in Loop: Header=BB6_143 Depth=2
	s_mov_b32 s11, 0
	s_mov_b32 s27, exec_lo
                                        ; implicit-def: $sgpr26
	v_cmpx_lt_i16_e32 0x7f, v57
	s_xor_b32 s27, exec_lo, s27
	s_cbranch_execnz .LBB6_2917
; %bb.1809:                             ;   in Loop: Header=BB6_143 Depth=2
	s_or_saveexec_b32 s27, s27
	v_mov_b32_e32 v58, s26
	s_xor_b32 exec_lo, exec_lo, s27
	s_cbranch_execnz .LBB6_2920
.LBB6_1810:                             ;   in Loop: Header=BB6_143 Depth=2
	s_or_b32 exec_lo, exec_lo, s27
	s_and_saveexec_b32 s26, s11
	s_cbranch_execz .LBB6_1812
.LBB6_1811:                             ;   in Loop: Header=BB6_143 Depth=2
	v_and_b32_e32 v57, 0xffff, v57
	v_lshlrev_b32_e32 v61, 16, v16
	s_delay_alu instid0(VALU_DEP_2) | instskip(NEXT) | instid1(VALU_DEP_1)
	v_and_b32_e32 v58, 7, v57
	v_clz_i32_u32_e32 v59, v58
	s_delay_alu instid0(VALU_DEP_1) | instskip(NEXT) | instid1(VALU_DEP_1)
	v_min_u32_e32 v59, 32, v59
	v_subrev_nc_u32_e32 v60, 28, v59
	v_sub_nc_u32_e32 v59, 29, v59
	s_delay_alu instid0(VALU_DEP_2) | instskip(SKIP_1) | instid1(VALU_DEP_2)
	v_lshlrev_b32_e32 v60, v60, v57
	v_bfe_u32 v57, v57, 3, 4
	v_and_b32_e32 v60, 7, v60
	s_delay_alu instid0(VALU_DEP_2) | instskip(NEXT) | instid1(VALU_DEP_2)
	v_cmp_eq_u32_e32 vcc_lo, 0, v57
	v_dual_cndmask_b32 v57, v57, v59 :: v_dual_cndmask_b32 v58, v58, v60
	v_and_b32_e32 v59, 0x80000000, v61
	s_delay_alu instid0(VALU_DEP_2) | instskip(NEXT) | instid1(VALU_DEP_3)
	v_lshl_add_u32 v57, v57, 23, 0x3b800000
	v_lshlrev_b32_e32 v58, 20, v58
	s_delay_alu instid0(VALU_DEP_1)
	v_or3_b32 v58, v59, v57, v58
.LBB6_1812:                             ;   in Loop: Header=BB6_143 Depth=2
	s_or_b32 exec_lo, exec_lo, s26
	s_mov_b32 s11, 0
	s_mov_b32 s27, exec_lo
                                        ; implicit-def: $sgpr26
	v_cmpx_lt_i16_e32 0x7f, v56
	s_xor_b32 s27, exec_lo, s27
	s_cbranch_execnz .LBB6_2921
; %bb.1813:                             ;   in Loop: Header=BB6_143 Depth=2
	s_or_saveexec_b32 s27, s27
	v_mov_b32_e32 v57, s26
	s_xor_b32 exec_lo, exec_lo, s27
	s_cbranch_execnz .LBB6_2924
.LBB6_1814:                             ;   in Loop: Header=BB6_143 Depth=2
	s_or_b32 exec_lo, exec_lo, s27
	s_and_saveexec_b32 s26, s11
	s_cbranch_execz .LBB6_1816
.LBB6_1815:                             ;   in Loop: Header=BB6_143 Depth=2
	v_and_b32_e32 v56, 0xffff, v56
	v_lshlrev_b32_e32 v61, 16, v12
	s_delay_alu instid0(VALU_DEP_2) | instskip(NEXT) | instid1(VALU_DEP_1)
	v_and_b32_e32 v57, 7, v56
	v_clz_i32_u32_e32 v59, v57
	s_delay_alu instid0(VALU_DEP_1) | instskip(NEXT) | instid1(VALU_DEP_1)
	v_min_u32_e32 v59, 32, v59
	v_subrev_nc_u32_e32 v60, 28, v59
	v_sub_nc_u32_e32 v59, 29, v59
	s_delay_alu instid0(VALU_DEP_2) | instskip(SKIP_1) | instid1(VALU_DEP_2)
	v_lshlrev_b32_e32 v60, v60, v56
	v_bfe_u32 v56, v56, 3, 4
	v_and_b32_e32 v60, 7, v60
	s_delay_alu instid0(VALU_DEP_2) | instskip(NEXT) | instid1(VALU_DEP_2)
	v_cmp_eq_u32_e32 vcc_lo, 0, v56
	v_dual_cndmask_b32 v56, v56, v59 :: v_dual_cndmask_b32 v57, v57, v60
	v_and_b32_e32 v59, 0x80000000, v61
	s_delay_alu instid0(VALU_DEP_2) | instskip(NEXT) | instid1(VALU_DEP_3)
	v_lshl_add_u32 v56, v56, 23, 0x3b800000
	v_lshlrev_b32_e32 v57, 20, v57
	s_delay_alu instid0(VALU_DEP_1)
	v_or3_b32 v57, v59, v56, v57
.LBB6_1816:                             ;   in Loop: Header=BB6_143 Depth=2
	s_or_b32 exec_lo, exec_lo, s26
	s_delay_alu instid0(VALU_DEP_1) | instskip(NEXT) | instid1(VALU_DEP_1)
	v_dual_max_f32 v56, v57, v57 :: v_dual_max_f32 v57, v58, v58
	v_min_f32_e32 v58, v57, v56
.LBB6_1817:                             ;   in Loop: Header=BB6_143 Depth=2
	s_delay_alu instid0(VALU_DEP_1) | instskip(NEXT) | instid1(VALU_DEP_1)
	v_and_b32_e32 v56, 0x7f800000, v58
	v_cmp_ne_u32_e32 vcc_lo, 0x7f800000, v56
	v_mov_b32_e32 v56, 0x80
	s_and_saveexec_b32 s26, vcc_lo
	s_cbranch_execz .LBB6_1825
; %bb.1818:                             ;   in Loop: Header=BB6_143 Depth=2
	v_mov_b32_e32 v56, 0
	s_mov_b32 s27, exec_lo
	v_cmpx_ne_u32_e32 0, v58
	s_cbranch_execz .LBB6_1824
; %bb.1819:                             ;   in Loop: Header=BB6_143 Depth=2
	v_bfe_u32 v56, v58, 23, 8
	v_and_b32_e32 v57, 0x7fffff, v58
	s_delay_alu instid0(VALU_DEP_2) | instskip(SKIP_1) | instid1(VALU_DEP_3)
	v_sub_nc_u32_e32 v59, 0x78, v56
	v_cmp_gt_u32_e32 vcc_lo, 0x79, v56
	v_or_b32_e32 v60, 0x800000, v57
	s_delay_alu instid0(VALU_DEP_3) | instskip(SKIP_2) | instid1(VALU_DEP_3)
	v_cndmask_b32_e32 v59, 0, v59, vcc_lo
	v_cmp_eq_u32_e32 vcc_lo, 0, v56
	v_add_nc_u32_e32 v56, 0xffffff89, v56
	v_cndmask_b32_e64 v59, v59, 0x77, vcc_lo
	v_cndmask_b32_e32 v57, v60, v57, vcc_lo
	s_delay_alu instid0(VALU_DEP_3) | instskip(NEXT) | instid1(VALU_DEP_3)
	v_cndmask_b32_e64 v56, v56, 0xffffff8a, vcc_lo
	v_lshl_add_u32 v60, 0x100000, v59, -1
	s_delay_alu instid0(VALU_DEP_3) | instskip(SKIP_1) | instid1(VALU_DEP_4)
	v_lshrrev_b32_e32 v61, v59, v57
	v_lshlrev_b32_e64 v63, v59, 0x80000
	v_add_nc_u32_e32 v59, v59, v56
	s_delay_alu instid0(VALU_DEP_4) | instskip(NEXT) | instid1(VALU_DEP_4)
	v_and_b32_e32 v57, v60, v57
	v_bfe_u32 v62, v61, 20, 1
	s_delay_alu instid0(VALU_DEP_2) | instskip(NEXT) | instid1(VALU_DEP_2)
	v_cmp_eq_u32_e64 s11, v57, v63
	v_add_nc_u32_e32 v60, -1, v62
	s_delay_alu instid0(VALU_DEP_1) | instskip(SKIP_2) | instid1(VALU_DEP_2)
	v_cndmask_b32_e64 v57, 0, v60, s11
	v_lshrrev_b32_e32 v60, 23, v61
	s_mov_b32 s11, exec_lo
	v_add_nc_u32_e32 v57, v57, v61
	s_delay_alu instid0(VALU_DEP_2) | instskip(NEXT) | instid1(VALU_DEP_2)
	v_xor_b32_e32 v60, 1, v60
	v_and_b32_e32 v56, 0xfffff, v57
	s_delay_alu instid0(VALU_DEP_1) | instskip(NEXT) | instid1(VALU_DEP_3)
	v_add_nc_u32_e32 v57, v56, v61
                                        ; implicit-def: $vgpr56
	v_cmpx_ne_u32_e64 v59, v60
	s_xor_b32 s11, exec_lo, s11
; %bb.1820:                             ;   in Loop: Header=BB6_143 Depth=2
	s_delay_alu instid0(VALU_DEP_2) | instskip(SKIP_2) | instid1(VALU_DEP_2)
	v_cmp_lt_u32_e32 vcc_lo, 0xffffff, v57
	v_sub_nc_u32_e32 v56, v59, v60
	v_cndmask_b32_e64 v59, 0, 1, vcc_lo
	v_add_co_ci_u32_e32 v56, vcc_lo, 0, v56, vcc_lo
	s_delay_alu instid0(VALU_DEP_2)
	v_lshrrev_b32_e32 v57, v59, v57
; %bb.1821:                             ;   in Loop: Header=BB6_143 Depth=2
	s_and_not1_saveexec_b32 s11, s11
; %bb.1822:                             ;   in Loop: Header=BB6_143 Depth=2
	s_delay_alu instid0(VALU_DEP_1)
	v_bfe_u32 v56, v57, 23, 1
; %bb.1823:                             ;   in Loop: Header=BB6_143 Depth=2
	s_or_b32 exec_lo, exec_lo, s11
	v_lshrrev_b32_e32 v57, 20, v57
	s_delay_alu instid0(VALU_DEP_2) | instskip(SKIP_2) | instid1(VALU_DEP_2)
	v_cmp_gt_i32_e32 vcc_lo, 16, v56
	v_lshrrev_b32_e32 v58, 24, v58
	v_min_i32_e32 v59, 15, v56
	v_dual_cndmask_b32 v57, 7, v57 :: v_dual_and_b32 v58, 0x80, v58
	s_delay_alu instid0(VALU_DEP_1) | instskip(SKIP_1) | instid1(VALU_DEP_2)
	v_or_b32_e32 v56, v56, v57
	v_and_b32_e32 v60, 7, v57
	v_cmp_ne_u32_e32 vcc_lo, 0, v56
	v_lshlrev_b32_e32 v59, 3, v59
	s_delay_alu instid0(VALU_DEP_1) | instskip(NEXT) | instid1(VALU_DEP_1)
	v_or3_b32 v57, v59, v58, v60
	v_cndmask_b32_e32 v56, 0, v57, vcc_lo
.LBB6_1824:                             ;   in Loop: Header=BB6_143 Depth=2
	s_or_b32 exec_lo, exec_lo, s27
.LBB6_1825:                             ;   in Loop: Header=BB6_143 Depth=2
	s_delay_alu instid0(SALU_CYCLE_1)
	s_or_b32 exec_lo, exec_lo, s26
	v_lshrrev_b32_e32 v58, 16, v16
	v_lshrrev_b32_e32 v57, 16, v12
	s_and_not1_b32 vcc_lo, exec_lo, s25
	s_cbranch_vccnz .LBB6_1835
; %bb.1826:                             ;   in Loop: Header=BB6_143 Depth=2
	s_delay_alu instid0(VALU_DEP_2) | instskip(SKIP_2) | instid1(VALU_DEP_1)
	v_and_b32_e32 v60, 0xff, v58
	s_mov_b32 s11, 0
	s_mov_b32 s27, exec_lo
                                        ; implicit-def: $sgpr26
	v_cmpx_lt_i16_e32 0x7f, v60
	s_xor_b32 s27, exec_lo, s27
	s_cbranch_execnz .LBB6_2925
; %bb.1827:                             ;   in Loop: Header=BB6_143 Depth=2
	s_or_saveexec_b32 s27, s27
	v_mov_b32_e32 v59, s26
	s_xor_b32 exec_lo, exec_lo, s27
	s_cbranch_execnz .LBB6_2928
.LBB6_1828:                             ;   in Loop: Header=BB6_143 Depth=2
	s_or_b32 exec_lo, exec_lo, s27
	s_and_saveexec_b32 s26, s11
	s_cbranch_execz .LBB6_1830
.LBB6_1829:                             ;   in Loop: Header=BB6_143 Depth=2
	v_bfe_u32 v59, v16, 16, 3
	v_bfe_u32 v62, v16, 19, 4
	v_lshlrev_b32_e32 v63, 24, v58
	s_delay_alu instid0(VALU_DEP_3) | instskip(NEXT) | instid1(VALU_DEP_3)
	v_clz_i32_u32_e32 v60, v59
	v_cmp_eq_u32_e32 vcc_lo, 0, v62
	s_delay_alu instid0(VALU_DEP_2) | instskip(NEXT) | instid1(VALU_DEP_1)
	v_min_u32_e32 v60, 32, v60
	v_subrev_nc_u32_e32 v61, 28, v60
	v_sub_nc_u32_e32 v60, 29, v60
	s_delay_alu instid0(VALU_DEP_1) | instskip(NEXT) | instid1(VALU_DEP_1)
	v_dual_cndmask_b32 v60, v62, v60 :: v_dual_lshlrev_b32 v61, v61, v58
	v_and_b32_e32 v61, 7, v61
	s_delay_alu instid0(VALU_DEP_2) | instskip(NEXT) | instid1(VALU_DEP_2)
	v_lshl_add_u32 v60, v60, 23, 0x3b800000
	v_cndmask_b32_e32 v59, v59, v61, vcc_lo
	v_and_b32_e32 v61, 0x80000000, v63
	s_delay_alu instid0(VALU_DEP_2) | instskip(NEXT) | instid1(VALU_DEP_1)
	v_lshlrev_b32_e32 v59, 20, v59
	v_or3_b32 v59, v61, v60, v59
.LBB6_1830:                             ;   in Loop: Header=BB6_143 Depth=2
	s_or_b32 exec_lo, exec_lo, s26
	v_and_b32_e32 v61, 0xff, v57
	s_mov_b32 s11, 0
	s_mov_b32 s27, exec_lo
                                        ; implicit-def: $sgpr26
	s_delay_alu instid0(VALU_DEP_1)
	v_cmpx_lt_i16_e32 0x7f, v61
	s_xor_b32 s27, exec_lo, s27
	s_cbranch_execnz .LBB6_2929
; %bb.1831:                             ;   in Loop: Header=BB6_143 Depth=2
	s_or_saveexec_b32 s27, s27
	v_mov_b32_e32 v60, s26
	s_xor_b32 exec_lo, exec_lo, s27
	s_cbranch_execnz .LBB6_2932
.LBB6_1832:                             ;   in Loop: Header=BB6_143 Depth=2
	s_or_b32 exec_lo, exec_lo, s27
	s_and_saveexec_b32 s26, s11
	s_cbranch_execz .LBB6_1834
.LBB6_1833:                             ;   in Loop: Header=BB6_143 Depth=2
	v_bfe_u32 v60, v12, 16, 3
	v_bfe_u32 v63, v12, 19, 4
	v_lshlrev_b32_e32 v72, 24, v57
	s_delay_alu instid0(VALU_DEP_3) | instskip(NEXT) | instid1(VALU_DEP_3)
	v_clz_i32_u32_e32 v61, v60
	v_cmp_eq_u32_e32 vcc_lo, 0, v63
	s_delay_alu instid0(VALU_DEP_2) | instskip(NEXT) | instid1(VALU_DEP_1)
	v_min_u32_e32 v61, 32, v61
	v_subrev_nc_u32_e32 v62, 28, v61
	v_sub_nc_u32_e32 v61, 29, v61
	s_delay_alu instid0(VALU_DEP_2) | instskip(NEXT) | instid1(VALU_DEP_1)
	v_lshlrev_b32_e32 v62, v62, v57
	v_dual_cndmask_b32 v61, v63, v61 :: v_dual_and_b32 v62, 7, v62
	s_delay_alu instid0(VALU_DEP_1) | instskip(NEXT) | instid1(VALU_DEP_2)
	v_lshl_add_u32 v61, v61, 23, 0x3b800000
	v_cndmask_b32_e32 v60, v60, v62, vcc_lo
	v_and_b32_e32 v62, 0x80000000, v72
	s_delay_alu instid0(VALU_DEP_2) | instskip(NEXT) | instid1(VALU_DEP_1)
	v_lshlrev_b32_e32 v60, 20, v60
	v_or3_b32 v60, v62, v61, v60
.LBB6_1834:                             ;   in Loop: Header=BB6_143 Depth=2
	s_or_b32 exec_lo, exec_lo, s26
	s_delay_alu instid0(VALU_DEP_1) | instskip(SKIP_1) | instid1(VALU_DEP_1)
	v_dual_max_f32 v60, v60, v60 :: v_dual_max_f32 v59, v59, v59
	s_mov_b32 s11, 0
	v_max_f32_e32 v59, v59, v60
	s_branch .LBB6_1836
.LBB6_1835:                             ;   in Loop: Header=BB6_143 Depth=2
	s_mov_b32 s11, -1
                                        ; implicit-def: $vgpr59
.LBB6_1836:                             ;   in Loop: Header=BB6_143 Depth=2
	s_delay_alu instid0(SALU_CYCLE_1)
	s_and_b32 vcc_lo, exec_lo, s11
	s_cbranch_vccz .LBB6_1846
; %bb.1837:                             ;   in Loop: Header=BB6_143 Depth=2
	v_and_b32_e32 v60, 0xff, v58
	s_mov_b32 s11, 0
	s_mov_b32 s27, exec_lo
                                        ; implicit-def: $sgpr26
	s_delay_alu instid0(VALU_DEP_1)
	v_cmpx_lt_i16_e32 0x7f, v60
	s_xor_b32 s27, exec_lo, s27
	s_cbranch_execnz .LBB6_2933
; %bb.1838:                             ;   in Loop: Header=BB6_143 Depth=2
	s_or_saveexec_b32 s27, s27
	v_mov_b32_e32 v59, s26
	s_xor_b32 exec_lo, exec_lo, s27
	s_cbranch_execnz .LBB6_2936
.LBB6_1839:                             ;   in Loop: Header=BB6_143 Depth=2
	s_or_b32 exec_lo, exec_lo, s27
	s_and_saveexec_b32 s26, s11
	s_cbranch_execz .LBB6_1841
.LBB6_1840:                             ;   in Loop: Header=BB6_143 Depth=2
	v_bfe_u32 v59, v16, 16, 3
	v_bfe_u32 v62, v16, 19, 4
	s_delay_alu instid0(VALU_DEP_2) | instskip(NEXT) | instid1(VALU_DEP_2)
	v_clz_i32_u32_e32 v60, v59
	v_cmp_eq_u32_e32 vcc_lo, 0, v62
	s_delay_alu instid0(VALU_DEP_2) | instskip(NEXT) | instid1(VALU_DEP_1)
	v_min_u32_e32 v60, 32, v60
	v_subrev_nc_u32_e32 v61, 28, v60
	v_sub_nc_u32_e32 v60, 29, v60
	s_delay_alu instid0(VALU_DEP_1) | instskip(NEXT) | instid1(VALU_DEP_1)
	v_dual_cndmask_b32 v60, v62, v60 :: v_dual_lshlrev_b32 v61, v61, v58
	v_and_b32_e32 v61, 7, v61
	v_lshlrev_b32_e32 v58, 24, v58
	s_delay_alu instid0(VALU_DEP_3) | instskip(NEXT) | instid1(VALU_DEP_2)
	v_lshl_add_u32 v60, v60, 23, 0x3b800000
	v_dual_cndmask_b32 v59, v59, v61 :: v_dual_and_b32 v58, 0x80000000, v58
	s_delay_alu instid0(VALU_DEP_1) | instskip(NEXT) | instid1(VALU_DEP_1)
	v_lshlrev_b32_e32 v59, 20, v59
	v_or3_b32 v59, v58, v60, v59
.LBB6_1841:                             ;   in Loop: Header=BB6_143 Depth=2
	s_or_b32 exec_lo, exec_lo, s26
	v_and_b32_e32 v60, 0xff, v57
	s_mov_b32 s11, 0
	s_mov_b32 s27, exec_lo
                                        ; implicit-def: $sgpr26
	s_delay_alu instid0(VALU_DEP_1)
	v_cmpx_lt_i16_e32 0x7f, v60
	s_xor_b32 s27, exec_lo, s27
	s_cbranch_execnz .LBB6_2937
; %bb.1842:                             ;   in Loop: Header=BB6_143 Depth=2
	s_or_saveexec_b32 s27, s27
	v_mov_b32_e32 v58, s26
	s_xor_b32 exec_lo, exec_lo, s27
	s_cbranch_execnz .LBB6_2940
.LBB6_1843:                             ;   in Loop: Header=BB6_143 Depth=2
	s_or_b32 exec_lo, exec_lo, s27
	s_and_saveexec_b32 s26, s11
	s_cbranch_execz .LBB6_1845
.LBB6_1844:                             ;   in Loop: Header=BB6_143 Depth=2
	v_bfe_u32 v58, v12, 16, 3
	v_bfe_u32 v62, v12, 19, 4
	s_delay_alu instid0(VALU_DEP_2) | instskip(NEXT) | instid1(VALU_DEP_2)
	v_clz_i32_u32_e32 v60, v58
	v_cmp_eq_u32_e32 vcc_lo, 0, v62
	s_delay_alu instid0(VALU_DEP_2) | instskip(NEXT) | instid1(VALU_DEP_1)
	v_min_u32_e32 v60, 32, v60
	v_subrev_nc_u32_e32 v61, 28, v60
	v_sub_nc_u32_e32 v60, 29, v60
	s_delay_alu instid0(VALU_DEP_1) | instskip(SKIP_1) | instid1(VALU_DEP_2)
	v_dual_cndmask_b32 v60, v62, v60 :: v_dual_lshlrev_b32 v61, v61, v57
	v_lshlrev_b32_e32 v57, 24, v57
	v_and_b32_e32 v61, 7, v61
	s_delay_alu instid0(VALU_DEP_3) | instskip(NEXT) | instid1(VALU_DEP_3)
	v_lshl_add_u32 v60, v60, 23, 0x3b800000
	v_and_b32_e32 v57, 0x80000000, v57
	s_delay_alu instid0(VALU_DEP_3) | instskip(NEXT) | instid1(VALU_DEP_1)
	v_cndmask_b32_e32 v58, v58, v61, vcc_lo
	v_lshlrev_b32_e32 v58, 20, v58
	s_delay_alu instid0(VALU_DEP_1)
	v_or3_b32 v58, v57, v60, v58
.LBB6_1845:                             ;   in Loop: Header=BB6_143 Depth=2
	s_or_b32 exec_lo, exec_lo, s26
	s_delay_alu instid0(VALU_DEP_1) | instskip(NEXT) | instid1(VALU_DEP_1)
	v_dual_max_f32 v57, v58, v58 :: v_dual_max_f32 v58, v59, v59
	v_min_f32_e32 v59, v58, v57
.LBB6_1846:                             ;   in Loop: Header=BB6_143 Depth=2
	s_delay_alu instid0(VALU_DEP_1) | instskip(NEXT) | instid1(VALU_DEP_1)
	v_and_b32_e32 v57, 0x7f800000, v59
	v_cmp_ne_u32_e32 vcc_lo, 0x7f800000, v57
	v_mov_b32_e32 v57, 0x80
	s_and_saveexec_b32 s26, vcc_lo
	s_cbranch_execz .LBB6_1854
; %bb.1847:                             ;   in Loop: Header=BB6_143 Depth=2
	v_mov_b32_e32 v57, 0
	s_mov_b32 s27, exec_lo
	v_cmpx_ne_u32_e32 0, v59
	s_cbranch_execz .LBB6_1853
; %bb.1848:                             ;   in Loop: Header=BB6_143 Depth=2
	v_bfe_u32 v57, v59, 23, 8
	v_and_b32_e32 v58, 0x7fffff, v59
	s_delay_alu instid0(VALU_DEP_2) | instskip(SKIP_1) | instid1(VALU_DEP_3)
	v_sub_nc_u32_e32 v60, 0x78, v57
	v_cmp_gt_u32_e32 vcc_lo, 0x79, v57
	v_or_b32_e32 v61, 0x800000, v58
	s_delay_alu instid0(VALU_DEP_3) | instskip(SKIP_2) | instid1(VALU_DEP_3)
	v_cndmask_b32_e32 v60, 0, v60, vcc_lo
	v_cmp_eq_u32_e32 vcc_lo, 0, v57
	v_add_nc_u32_e32 v57, 0xffffff89, v57
	v_cndmask_b32_e64 v60, v60, 0x77, vcc_lo
	v_cndmask_b32_e32 v58, v61, v58, vcc_lo
	s_delay_alu instid0(VALU_DEP_3) | instskip(NEXT) | instid1(VALU_DEP_3)
	v_cndmask_b32_e64 v57, v57, 0xffffff8a, vcc_lo
	v_lshl_add_u32 v61, 0x100000, v60, -1
	s_delay_alu instid0(VALU_DEP_3) | instskip(SKIP_1) | instid1(VALU_DEP_4)
	v_lshrrev_b32_e32 v62, v60, v58
	v_lshlrev_b32_e64 v72, v60, 0x80000
	v_add_nc_u32_e32 v60, v60, v57
	s_delay_alu instid0(VALU_DEP_4) | instskip(NEXT) | instid1(VALU_DEP_4)
	v_and_b32_e32 v58, v61, v58
	v_bfe_u32 v63, v62, 20, 1
	s_delay_alu instid0(VALU_DEP_2) | instskip(NEXT) | instid1(VALU_DEP_2)
	v_cmp_eq_u32_e64 s11, v58, v72
	v_add_nc_u32_e32 v61, -1, v63
	s_delay_alu instid0(VALU_DEP_1) | instskip(SKIP_2) | instid1(VALU_DEP_2)
	v_cndmask_b32_e64 v58, 0, v61, s11
	v_lshrrev_b32_e32 v61, 23, v62
	s_mov_b32 s11, exec_lo
	v_add_nc_u32_e32 v58, v58, v62
	s_delay_alu instid0(VALU_DEP_2) | instskip(NEXT) | instid1(VALU_DEP_2)
	v_xor_b32_e32 v61, 1, v61
	v_and_b32_e32 v57, 0xfffff, v58
	s_delay_alu instid0(VALU_DEP_1) | instskip(NEXT) | instid1(VALU_DEP_3)
	v_add_nc_u32_e32 v58, v57, v62
                                        ; implicit-def: $vgpr57
	v_cmpx_ne_u32_e64 v60, v61
	s_xor_b32 s11, exec_lo, s11
; %bb.1849:                             ;   in Loop: Header=BB6_143 Depth=2
	s_delay_alu instid0(VALU_DEP_2) | instskip(SKIP_2) | instid1(VALU_DEP_2)
	v_cmp_lt_u32_e32 vcc_lo, 0xffffff, v58
	v_sub_nc_u32_e32 v57, v60, v61
	v_cndmask_b32_e64 v60, 0, 1, vcc_lo
	v_add_co_ci_u32_e32 v57, vcc_lo, 0, v57, vcc_lo
	s_delay_alu instid0(VALU_DEP_2)
	v_lshrrev_b32_e32 v58, v60, v58
; %bb.1850:                             ;   in Loop: Header=BB6_143 Depth=2
	s_and_not1_saveexec_b32 s11, s11
; %bb.1851:                             ;   in Loop: Header=BB6_143 Depth=2
	s_delay_alu instid0(VALU_DEP_1)
	v_bfe_u32 v57, v58, 23, 1
; %bb.1852:                             ;   in Loop: Header=BB6_143 Depth=2
	s_or_b32 exec_lo, exec_lo, s11
	v_lshrrev_b32_e32 v58, 20, v58
	s_delay_alu instid0(VALU_DEP_2) | instskip(SKIP_2) | instid1(VALU_DEP_2)
	v_cmp_gt_i32_e32 vcc_lo, 16, v57
	v_lshrrev_b32_e32 v59, 24, v59
	v_min_i32_e32 v60, 15, v57
	v_dual_cndmask_b32 v58, 7, v58 :: v_dual_and_b32 v59, 0x80, v59
	s_delay_alu instid0(VALU_DEP_1) | instskip(SKIP_1) | instid1(VALU_DEP_2)
	v_or_b32_e32 v57, v57, v58
	v_and_b32_e32 v61, 7, v58
	v_cmp_ne_u32_e32 vcc_lo, 0, v57
	v_lshlrev_b32_e32 v60, 3, v60
	s_delay_alu instid0(VALU_DEP_1) | instskip(NEXT) | instid1(VALU_DEP_1)
	v_or3_b32 v58, v60, v59, v61
	v_cndmask_b32_e32 v57, 0, v58, vcc_lo
.LBB6_1853:                             ;   in Loop: Header=BB6_143 Depth=2
	s_or_b32 exec_lo, exec_lo, s27
.LBB6_1854:                             ;   in Loop: Header=BB6_143 Depth=2
	s_delay_alu instid0(SALU_CYCLE_1)
	s_or_b32 exec_lo, exec_lo, s26
	v_lshrrev_b32_e32 v59, 24, v16
	v_lshrrev_b32_e32 v58, 24, v12
	s_and_not1_b32 vcc_lo, exec_lo, s25
	s_cbranch_vccnz .LBB6_1864
; %bb.1855:                             ;   in Loop: Header=BB6_143 Depth=2
	s_mov_b32 s11, 0
	s_mov_b32 s27, exec_lo
                                        ; implicit-def: $sgpr26
	v_cmpx_lt_i16_e32 0x7f, v59
	s_xor_b32 s27, exec_lo, s27
	s_cbranch_execnz .LBB6_2941
; %bb.1856:                             ;   in Loop: Header=BB6_143 Depth=2
	s_or_saveexec_b32 s27, s27
	v_mov_b32_e32 v60, s26
	s_xor_b32 exec_lo, exec_lo, s27
	s_cbranch_execnz .LBB6_2944
.LBB6_1857:                             ;   in Loop: Header=BB6_143 Depth=2
	s_or_b32 exec_lo, exec_lo, s27
	s_and_saveexec_b32 s26, s11
	s_cbranch_execz .LBB6_1859
.LBB6_1858:                             ;   in Loop: Header=BB6_143 Depth=2
	v_bfe_u32 v60, v16, 24, 3
	v_bfe_u32 v63, v16, 27, 4
	s_delay_alu instid0(VALU_DEP_2) | instskip(NEXT) | instid1(VALU_DEP_2)
	v_clz_i32_u32_e32 v61, v60
	v_cmp_eq_u32_e32 vcc_lo, 0, v63
	s_delay_alu instid0(VALU_DEP_2) | instskip(NEXT) | instid1(VALU_DEP_1)
	v_min_u32_e32 v61, 32, v61
	v_subrev_nc_u32_e32 v62, 28, v61
	v_sub_nc_u32_e32 v61, 29, v61
	s_delay_alu instid0(VALU_DEP_1) | instskip(NEXT) | instid1(VALU_DEP_1)
	v_dual_cndmask_b32 v61, v63, v61 :: v_dual_lshlrev_b32 v62, v62, v59
	v_and_b32_e32 v62, 7, v62
	s_delay_alu instid0(VALU_DEP_2) | instskip(NEXT) | instid1(VALU_DEP_2)
	v_lshl_add_u32 v61, v61, 23, 0x3b800000
	v_cndmask_b32_e32 v60, v60, v62, vcc_lo
	v_and_b32_e32 v62, 0x80000000, v16
	s_delay_alu instid0(VALU_DEP_2) | instskip(NEXT) | instid1(VALU_DEP_1)
	v_lshlrev_b32_e32 v60, 20, v60
	v_or3_b32 v60, v62, v61, v60
.LBB6_1859:                             ;   in Loop: Header=BB6_143 Depth=2
	s_or_b32 exec_lo, exec_lo, s26
	s_mov_b32 s11, 0
	s_mov_b32 s27, exec_lo
                                        ; implicit-def: $sgpr26
	v_cmpx_lt_i16_e32 0x7f, v58
	s_xor_b32 s27, exec_lo, s27
	s_cbranch_execnz .LBB6_2945
; %bb.1860:                             ;   in Loop: Header=BB6_143 Depth=2
	s_or_saveexec_b32 s27, s27
	v_mov_b32_e32 v61, s26
	s_xor_b32 exec_lo, exec_lo, s27
	s_cbranch_execnz .LBB6_2948
.LBB6_1861:                             ;   in Loop: Header=BB6_143 Depth=2
	s_or_b32 exec_lo, exec_lo, s27
	s_and_saveexec_b32 s26, s11
	s_cbranch_execz .LBB6_1863
.LBB6_1862:                             ;   in Loop: Header=BB6_143 Depth=2
	v_bfe_u32 v61, v12, 24, 3
	v_bfe_u32 v72, v12, 27, 4
	s_delay_alu instid0(VALU_DEP_2) | instskip(NEXT) | instid1(VALU_DEP_2)
	v_clz_i32_u32_e32 v62, v61
	v_cmp_eq_u32_e32 vcc_lo, 0, v72
	s_delay_alu instid0(VALU_DEP_2) | instskip(NEXT) | instid1(VALU_DEP_1)
	v_min_u32_e32 v62, 32, v62
	v_subrev_nc_u32_e32 v63, 28, v62
	v_sub_nc_u32_e32 v62, 29, v62
	s_delay_alu instid0(VALU_DEP_2) | instskip(NEXT) | instid1(VALU_DEP_1)
	v_lshlrev_b32_e32 v63, v63, v58
	v_dual_cndmask_b32 v62, v72, v62 :: v_dual_and_b32 v63, 7, v63
	s_delay_alu instid0(VALU_DEP_1) | instskip(NEXT) | instid1(VALU_DEP_2)
	v_lshl_add_u32 v62, v62, 23, 0x3b800000
	v_cndmask_b32_e32 v61, v61, v63, vcc_lo
	v_and_b32_e32 v63, 0x80000000, v12
	s_delay_alu instid0(VALU_DEP_2) | instskip(NEXT) | instid1(VALU_DEP_1)
	v_lshlrev_b32_e32 v61, 20, v61
	v_or3_b32 v61, v63, v62, v61
.LBB6_1863:                             ;   in Loop: Header=BB6_143 Depth=2
	s_or_b32 exec_lo, exec_lo, s26
	s_delay_alu instid0(VALU_DEP_1) | instskip(SKIP_1) | instid1(VALU_DEP_1)
	v_dual_max_f32 v61, v61, v61 :: v_dual_max_f32 v60, v60, v60
	s_mov_b32 s11, 0
	v_max_f32_e32 v60, v60, v61
	s_branch .LBB6_1865
.LBB6_1864:                             ;   in Loop: Header=BB6_143 Depth=2
	s_mov_b32 s11, -1
                                        ; implicit-def: $vgpr60
.LBB6_1865:                             ;   in Loop: Header=BB6_143 Depth=2
	s_delay_alu instid0(SALU_CYCLE_1)
	s_and_b32 vcc_lo, exec_lo, s11
	s_cbranch_vccz .LBB6_1875
; %bb.1866:                             ;   in Loop: Header=BB6_143 Depth=2
	s_mov_b32 s11, 0
	s_mov_b32 s27, exec_lo
                                        ; implicit-def: $sgpr26
	v_cmpx_lt_i16_e32 0x7f, v59
	s_xor_b32 s27, exec_lo, s27
	s_cbranch_execnz .LBB6_2949
; %bb.1867:                             ;   in Loop: Header=BB6_143 Depth=2
	s_or_saveexec_b32 s27, s27
	v_mov_b32_e32 v60, s26
	s_xor_b32 exec_lo, exec_lo, s27
	s_cbranch_execnz .LBB6_2952
.LBB6_1868:                             ;   in Loop: Header=BB6_143 Depth=2
	s_or_b32 exec_lo, exec_lo, s27
	s_and_saveexec_b32 s26, s11
	s_cbranch_execz .LBB6_1870
.LBB6_1869:                             ;   in Loop: Header=BB6_143 Depth=2
	v_bfe_u32 v60, v16, 24, 3
	s_delay_alu instid0(VALU_DEP_1) | instskip(NEXT) | instid1(VALU_DEP_1)
	v_clz_i32_u32_e32 v61, v60
	v_min_u32_e32 v61, 32, v61
	s_delay_alu instid0(VALU_DEP_1) | instskip(SKIP_1) | instid1(VALU_DEP_2)
	v_subrev_nc_u32_e32 v62, 28, v61
	v_sub_nc_u32_e32 v61, 29, v61
	v_lshlrev_b32_e32 v59, v62, v59
	v_bfe_u32 v62, v16, 27, 4
	v_and_b32_e32 v16, 0x80000000, v16
	s_delay_alu instid0(VALU_DEP_3) | instskip(NEXT) | instid1(VALU_DEP_3)
	v_and_b32_e32 v59, 7, v59
	v_cmp_eq_u32_e32 vcc_lo, 0, v62
	v_cndmask_b32_e32 v61, v62, v61, vcc_lo
	s_delay_alu instid0(VALU_DEP_3) | instskip(NEXT) | instid1(VALU_DEP_2)
	v_cndmask_b32_e32 v59, v60, v59, vcc_lo
	v_lshl_add_u32 v60, v61, 23, 0x3b800000
	s_delay_alu instid0(VALU_DEP_2) | instskip(NEXT) | instid1(VALU_DEP_1)
	v_lshlrev_b32_e32 v59, 20, v59
	v_or3_b32 v60, v16, v60, v59
.LBB6_1870:                             ;   in Loop: Header=BB6_143 Depth=2
	s_or_b32 exec_lo, exec_lo, s26
	s_mov_b32 s11, 0
	s_mov_b32 s27, exec_lo
                                        ; implicit-def: $sgpr26
	v_cmpx_lt_i16_e32 0x7f, v58
	s_xor_b32 s27, exec_lo, s27
	s_cbranch_execnz .LBB6_2953
; %bb.1871:                             ;   in Loop: Header=BB6_143 Depth=2
	s_or_saveexec_b32 s27, s27
	v_mov_b32_e32 v16, s26
	s_xor_b32 exec_lo, exec_lo, s27
	s_cbranch_execnz .LBB6_2956
.LBB6_1872:                             ;   in Loop: Header=BB6_143 Depth=2
	s_or_b32 exec_lo, exec_lo, s27
	s_and_saveexec_b32 s26, s11
	s_cbranch_execz .LBB6_1874
.LBB6_1873:                             ;   in Loop: Header=BB6_143 Depth=2
	v_bfe_u32 v16, v12, 24, 3
	s_delay_alu instid0(VALU_DEP_1) | instskip(NEXT) | instid1(VALU_DEP_1)
	v_clz_i32_u32_e32 v59, v16
	v_min_u32_e32 v59, 32, v59
	s_delay_alu instid0(VALU_DEP_1) | instskip(SKIP_1) | instid1(VALU_DEP_2)
	v_subrev_nc_u32_e32 v61, 28, v59
	v_sub_nc_u32_e32 v59, 29, v59
	v_lshlrev_b32_e32 v58, v61, v58
	v_bfe_u32 v61, v12, 27, 4
	v_and_b32_e32 v12, 0x80000000, v12
	s_delay_alu instid0(VALU_DEP_2) | instskip(NEXT) | instid1(VALU_DEP_4)
	v_cmp_eq_u32_e32 vcc_lo, 0, v61
	v_dual_cndmask_b32 v59, v61, v59 :: v_dual_and_b32 v58, 7, v58
	s_delay_alu instid0(VALU_DEP_1) | instskip(NEXT) | instid1(VALU_DEP_2)
	v_cndmask_b32_e32 v16, v16, v58, vcc_lo
	v_lshl_add_u32 v58, v59, 23, 0x3b800000
	s_delay_alu instid0(VALU_DEP_2) | instskip(NEXT) | instid1(VALU_DEP_1)
	v_lshlrev_b32_e32 v16, 20, v16
	v_or3_b32 v16, v12, v58, v16
.LBB6_1874:                             ;   in Loop: Header=BB6_143 Depth=2
	s_or_b32 exec_lo, exec_lo, s26
	s_delay_alu instid0(VALU_DEP_1) | instskip(SKIP_1) | instid1(VALU_DEP_1)
	v_max_f32_e32 v12, v16, v16
	v_max_f32_e32 v16, v60, v60
	v_min_f32_e32 v60, v16, v12
.LBB6_1875:                             ;   in Loop: Header=BB6_143 Depth=2
	s_delay_alu instid0(VALU_DEP_1) | instskip(NEXT) | instid1(VALU_DEP_1)
	v_and_b32_e32 v12, 0x7f800000, v60
	v_cmp_ne_u32_e32 vcc_lo, 0x7f800000, v12
	v_mov_b32_e32 v12, 0x80
	s_and_saveexec_b32 s26, vcc_lo
	s_cbranch_execz .LBB6_1883
; %bb.1876:                             ;   in Loop: Header=BB6_143 Depth=2
	v_mov_b32_e32 v12, 0
	s_mov_b32 s27, exec_lo
	v_cmpx_ne_u32_e32 0, v60
	s_cbranch_execz .LBB6_1882
; %bb.1877:                             ;   in Loop: Header=BB6_143 Depth=2
	v_bfe_u32 v12, v60, 23, 8
	v_and_b32_e32 v16, 0x7fffff, v60
	s_delay_alu instid0(VALU_DEP_2) | instskip(SKIP_1) | instid1(VALU_DEP_3)
	v_sub_nc_u32_e32 v58, 0x78, v12
	v_cmp_gt_u32_e32 vcc_lo, 0x79, v12
	v_or_b32_e32 v59, 0x800000, v16
	s_delay_alu instid0(VALU_DEP_3) | instskip(SKIP_2) | instid1(VALU_DEP_3)
	v_cndmask_b32_e32 v58, 0, v58, vcc_lo
	v_cmp_eq_u32_e32 vcc_lo, 0, v12
	v_add_nc_u32_e32 v12, 0xffffff89, v12
	v_cndmask_b32_e64 v58, v58, 0x77, vcc_lo
	v_cndmask_b32_e32 v16, v59, v16, vcc_lo
	s_delay_alu instid0(VALU_DEP_3) | instskip(NEXT) | instid1(VALU_DEP_3)
	v_cndmask_b32_e64 v12, v12, 0xffffff8a, vcc_lo
	v_lshl_add_u32 v59, 0x100000, v58, -1
	s_delay_alu instid0(VALU_DEP_3) | instskip(SKIP_1) | instid1(VALU_DEP_4)
	v_lshrrev_b32_e32 v61, v58, v16
	v_lshlrev_b32_e64 v63, v58, 0x80000
	v_add_nc_u32_e32 v58, v58, v12
	s_delay_alu instid0(VALU_DEP_4) | instskip(NEXT) | instid1(VALU_DEP_4)
	v_and_b32_e32 v16, v59, v16
	v_bfe_u32 v62, v61, 20, 1
	s_delay_alu instid0(VALU_DEP_2) | instskip(NEXT) | instid1(VALU_DEP_2)
	v_cmp_eq_u32_e64 s11, v16, v63
	v_add_nc_u32_e32 v59, -1, v62
	s_delay_alu instid0(VALU_DEP_1) | instskip(SKIP_2) | instid1(VALU_DEP_2)
	v_cndmask_b32_e64 v16, 0, v59, s11
	v_lshrrev_b32_e32 v59, 23, v61
	s_mov_b32 s11, exec_lo
	v_add_nc_u32_e32 v16, v16, v61
	s_delay_alu instid0(VALU_DEP_2) | instskip(NEXT) | instid1(VALU_DEP_2)
	v_xor_b32_e32 v59, 1, v59
	v_and_b32_e32 v12, 0xfffff, v16
	s_delay_alu instid0(VALU_DEP_1) | instskip(NEXT) | instid1(VALU_DEP_3)
	v_add_nc_u32_e32 v16, v12, v61
                                        ; implicit-def: $vgpr12
	v_cmpx_ne_u32_e64 v58, v59
	s_xor_b32 s11, exec_lo, s11
; %bb.1878:                             ;   in Loop: Header=BB6_143 Depth=2
	s_delay_alu instid0(VALU_DEP_2) | instskip(SKIP_2) | instid1(VALU_DEP_2)
	v_cmp_lt_u32_e32 vcc_lo, 0xffffff, v16
	v_sub_nc_u32_e32 v12, v58, v59
	v_cndmask_b32_e64 v58, 0, 1, vcc_lo
	v_add_co_ci_u32_e32 v12, vcc_lo, 0, v12, vcc_lo
	s_delay_alu instid0(VALU_DEP_2)
	v_lshrrev_b32_e32 v16, v58, v16
; %bb.1879:                             ;   in Loop: Header=BB6_143 Depth=2
	s_and_not1_saveexec_b32 s11, s11
; %bb.1880:                             ;   in Loop: Header=BB6_143 Depth=2
	s_delay_alu instid0(VALU_DEP_1)
	v_bfe_u32 v12, v16, 23, 1
; %bb.1881:                             ;   in Loop: Header=BB6_143 Depth=2
	s_or_b32 exec_lo, exec_lo, s11
	v_lshrrev_b32_e32 v16, 20, v16
	s_delay_alu instid0(VALU_DEP_2) | instskip(SKIP_2) | instid1(VALU_DEP_4)
	v_cmp_gt_i32_e32 vcc_lo, 16, v12
	v_lshrrev_b32_e32 v58, 24, v60
	v_min_i32_e32 v59, 15, v12
	v_cndmask_b32_e32 v16, 7, v16, vcc_lo
	s_delay_alu instid0(VALU_DEP_3) | instskip(NEXT) | instid1(VALU_DEP_3)
	v_and_b32_e32 v58, 0x80, v58
	v_lshlrev_b32_e32 v59, 3, v59
	s_delay_alu instid0(VALU_DEP_3) | instskip(SKIP_1) | instid1(VALU_DEP_2)
	v_and_b32_e32 v60, 7, v16
	v_or_b32_e32 v12, v12, v16
	v_or3_b32 v16, v59, v58, v60
	s_delay_alu instid0(VALU_DEP_2) | instskip(NEXT) | instid1(VALU_DEP_2)
	v_cmp_ne_u32_e32 vcc_lo, 0, v12
	v_cndmask_b32_e32 v12, 0, v16, vcc_lo
.LBB6_1882:                             ;   in Loop: Header=BB6_143 Depth=2
	s_or_b32 exec_lo, exec_lo, s27
.LBB6_1883:                             ;   in Loop: Header=BB6_143 Depth=2
	s_delay_alu instid0(SALU_CYCLE_1) | instskip(NEXT) | instid1(SALU_CYCLE_1)
	s_or_b32 exec_lo, exec_lo, s26
	s_and_not1_b32 vcc_lo, exec_lo, s25
	s_cbranch_vccnz .LBB6_1893
; %bb.1884:                             ;   in Loop: Header=BB6_143 Depth=2
	v_and_b32_e32 v58, 0xff, v17
	s_mov_b32 s11, 0
	s_mov_b32 s27, exec_lo
                                        ; implicit-def: $sgpr26
	s_delay_alu instid0(VALU_DEP_1)
	v_cmpx_lt_i16_e32 0x7f, v58
	s_xor_b32 s27, exec_lo, s27
	s_cbranch_execnz .LBB6_2957
; %bb.1885:                             ;   in Loop: Header=BB6_143 Depth=2
	s_or_saveexec_b32 s27, s27
	v_mov_b32_e32 v16, s26
	s_xor_b32 exec_lo, exec_lo, s27
	s_cbranch_execnz .LBB6_2960
.LBB6_1886:                             ;   in Loop: Header=BB6_143 Depth=2
	s_or_b32 exec_lo, exec_lo, s27
	s_and_saveexec_b32 s26, s11
	s_cbranch_execz .LBB6_1888
.LBB6_1887:                             ;   in Loop: Header=BB6_143 Depth=2
	v_and_b32_e32 v16, 7, v17
	v_bfe_u32 v60, v17, 3, 4
	s_delay_alu instid0(VALU_DEP_2) | instskip(NEXT) | instid1(VALU_DEP_2)
	v_clz_i32_u32_e32 v58, v16
	v_cmp_eq_u32_e32 vcc_lo, 0, v60
	s_delay_alu instid0(VALU_DEP_2) | instskip(NEXT) | instid1(VALU_DEP_1)
	v_min_u32_e32 v58, 32, v58
	v_subrev_nc_u32_e32 v59, 28, v58
	v_sub_nc_u32_e32 v58, 29, v58
	s_delay_alu instid0(VALU_DEP_1) | instskip(NEXT) | instid1(VALU_DEP_1)
	v_dual_cndmask_b32 v58, v60, v58 :: v_dual_lshlrev_b32 v59, v59, v17
	v_and_b32_e32 v59, 7, v59
	v_lshlrev_b32_e32 v61, 24, v17
	s_delay_alu instid0(VALU_DEP_3) | instskip(NEXT) | instid1(VALU_DEP_2)
	v_lshl_add_u32 v58, v58, 23, 0x3b800000
	v_dual_cndmask_b32 v16, v16, v59 :: v_dual_and_b32 v59, 0x80000000, v61
	s_delay_alu instid0(VALU_DEP_1) | instskip(NEXT) | instid1(VALU_DEP_1)
	v_lshlrev_b32_e32 v16, 20, v16
	v_or3_b32 v16, v59, v58, v16
.LBB6_1888:                             ;   in Loop: Header=BB6_143 Depth=2
	s_or_b32 exec_lo, exec_lo, s26
	v_and_b32_e32 v59, 0xff, v13
	s_mov_b32 s11, 0
	s_mov_b32 s27, exec_lo
                                        ; implicit-def: $sgpr26
	s_delay_alu instid0(VALU_DEP_1)
	v_cmpx_lt_i16_e32 0x7f, v59
	s_xor_b32 s27, exec_lo, s27
	s_cbranch_execnz .LBB6_2961
; %bb.1889:                             ;   in Loop: Header=BB6_143 Depth=2
	s_or_saveexec_b32 s27, s27
	v_mov_b32_e32 v58, s26
	s_xor_b32 exec_lo, exec_lo, s27
	s_cbranch_execnz .LBB6_2964
.LBB6_1890:                             ;   in Loop: Header=BB6_143 Depth=2
	s_or_b32 exec_lo, exec_lo, s27
	s_and_saveexec_b32 s26, s11
	s_cbranch_execz .LBB6_1892
.LBB6_1891:                             ;   in Loop: Header=BB6_143 Depth=2
	v_bfe_u32 v61, v13, 3, 4
	v_lshlrev_b32_e32 v62, 24, v13
	s_delay_alu instid0(VALU_DEP_2) | instskip(SKIP_1) | instid1(VALU_DEP_1)
	v_cmp_eq_u32_e32 vcc_lo, 0, v61
	v_and_b32_e32 v58, 7, v13
	v_clz_i32_u32_e32 v59, v58
	s_delay_alu instid0(VALU_DEP_1) | instskip(NEXT) | instid1(VALU_DEP_1)
	v_min_u32_e32 v59, 32, v59
	v_subrev_nc_u32_e32 v60, 28, v59
	v_sub_nc_u32_e32 v59, 29, v59
	s_delay_alu instid0(VALU_DEP_1) | instskip(NEXT) | instid1(VALU_DEP_1)
	v_dual_cndmask_b32 v59, v61, v59 :: v_dual_lshlrev_b32 v60, v60, v13
	v_and_b32_e32 v60, 7, v60
	s_delay_alu instid0(VALU_DEP_2) | instskip(NEXT) | instid1(VALU_DEP_2)
	v_lshl_add_u32 v59, v59, 23, 0x3b800000
	v_cndmask_b32_e32 v58, v58, v60, vcc_lo
	v_and_b32_e32 v60, 0x80000000, v62
	s_delay_alu instid0(VALU_DEP_2) | instskip(NEXT) | instid1(VALU_DEP_1)
	v_lshlrev_b32_e32 v58, 20, v58
	v_or3_b32 v58, v60, v59, v58
.LBB6_1892:                             ;   in Loop: Header=BB6_143 Depth=2
	s_or_b32 exec_lo, exec_lo, s26
	s_delay_alu instid0(VALU_DEP_1) | instskip(SKIP_2) | instid1(VALU_DEP_1)
	v_max_f32_e32 v58, v58, v58
	v_max_f32_e32 v16, v16, v16
	s_mov_b32 s11, 0
	v_max_f32_e32 v58, v16, v58
	s_branch .LBB6_1894
.LBB6_1893:                             ;   in Loop: Header=BB6_143 Depth=2
	s_mov_b32 s11, -1
                                        ; implicit-def: $vgpr58
.LBB6_1894:                             ;   in Loop: Header=BB6_143 Depth=2
	s_delay_alu instid0(SALU_CYCLE_1)
	s_and_b32 vcc_lo, exec_lo, s11
	s_cbranch_vccz .LBB6_1904
; %bb.1895:                             ;   in Loop: Header=BB6_143 Depth=2
	v_and_b32_e32 v58, 0xff, v17
	s_mov_b32 s11, 0
	s_mov_b32 s27, exec_lo
                                        ; implicit-def: $sgpr26
	s_delay_alu instid0(VALU_DEP_1)
	v_cmpx_lt_i16_e32 0x7f, v58
	s_xor_b32 s27, exec_lo, s27
	s_cbranch_execnz .LBB6_2965
; %bb.1896:                             ;   in Loop: Header=BB6_143 Depth=2
	s_or_saveexec_b32 s27, s27
	v_mov_b32_e32 v16, s26
	s_xor_b32 exec_lo, exec_lo, s27
	s_cbranch_execnz .LBB6_2968
.LBB6_1897:                             ;   in Loop: Header=BB6_143 Depth=2
	s_or_b32 exec_lo, exec_lo, s27
	s_and_saveexec_b32 s26, s11
	s_cbranch_execz .LBB6_1899
.LBB6_1898:                             ;   in Loop: Header=BB6_143 Depth=2
	v_and_b32_e32 v16, 7, v17
	v_bfe_u32 v60, v17, 3, 4
	s_delay_alu instid0(VALU_DEP_2) | instskip(NEXT) | instid1(VALU_DEP_2)
	v_clz_i32_u32_e32 v58, v16
	v_cmp_eq_u32_e32 vcc_lo, 0, v60
	s_delay_alu instid0(VALU_DEP_2) | instskip(NEXT) | instid1(VALU_DEP_1)
	v_min_u32_e32 v58, 32, v58
	v_subrev_nc_u32_e32 v59, 28, v58
	v_sub_nc_u32_e32 v58, 29, v58
	s_delay_alu instid0(VALU_DEP_1) | instskip(NEXT) | instid1(VALU_DEP_1)
	v_dual_cndmask_b32 v58, v60, v58 :: v_dual_lshlrev_b32 v59, v59, v17
	v_and_b32_e32 v59, 7, v59
	v_lshlrev_b32_e32 v61, 24, v17
	s_delay_alu instid0(VALU_DEP_3) | instskip(NEXT) | instid1(VALU_DEP_2)
	v_lshl_add_u32 v58, v58, 23, 0x3b800000
	v_dual_cndmask_b32 v16, v16, v59 :: v_dual_and_b32 v59, 0x80000000, v61
	s_delay_alu instid0(VALU_DEP_1) | instskip(NEXT) | instid1(VALU_DEP_1)
	v_lshlrev_b32_e32 v16, 20, v16
	v_or3_b32 v16, v59, v58, v16
.LBB6_1899:                             ;   in Loop: Header=BB6_143 Depth=2
	s_or_b32 exec_lo, exec_lo, s26
	v_and_b32_e32 v59, 0xff, v13
	s_mov_b32 s11, 0
	s_mov_b32 s27, exec_lo
                                        ; implicit-def: $sgpr26
	s_delay_alu instid0(VALU_DEP_1)
	v_cmpx_lt_i16_e32 0x7f, v59
	s_xor_b32 s27, exec_lo, s27
	s_cbranch_execnz .LBB6_2969
; %bb.1900:                             ;   in Loop: Header=BB6_143 Depth=2
	s_or_saveexec_b32 s27, s27
	v_mov_b32_e32 v58, s26
	s_xor_b32 exec_lo, exec_lo, s27
	s_cbranch_execnz .LBB6_2972
.LBB6_1901:                             ;   in Loop: Header=BB6_143 Depth=2
	s_or_b32 exec_lo, exec_lo, s27
	s_and_saveexec_b32 s26, s11
	s_cbranch_execz .LBB6_1903
.LBB6_1902:                             ;   in Loop: Header=BB6_143 Depth=2
	v_bfe_u32 v61, v13, 3, 4
	v_lshlrev_b32_e32 v62, 24, v13
	s_delay_alu instid0(VALU_DEP_2) | instskip(SKIP_1) | instid1(VALU_DEP_1)
	v_cmp_eq_u32_e32 vcc_lo, 0, v61
	v_and_b32_e32 v58, 7, v13
	v_clz_i32_u32_e32 v59, v58
	s_delay_alu instid0(VALU_DEP_1) | instskip(NEXT) | instid1(VALU_DEP_1)
	v_min_u32_e32 v59, 32, v59
	v_subrev_nc_u32_e32 v60, 28, v59
	v_sub_nc_u32_e32 v59, 29, v59
	s_delay_alu instid0(VALU_DEP_1) | instskip(NEXT) | instid1(VALU_DEP_1)
	v_dual_cndmask_b32 v59, v61, v59 :: v_dual_lshlrev_b32 v60, v60, v13
	v_and_b32_e32 v60, 7, v60
	s_delay_alu instid0(VALU_DEP_2) | instskip(NEXT) | instid1(VALU_DEP_2)
	v_lshl_add_u32 v59, v59, 23, 0x3b800000
	v_cndmask_b32_e32 v58, v58, v60, vcc_lo
	v_and_b32_e32 v60, 0x80000000, v62
	s_delay_alu instid0(VALU_DEP_2) | instskip(NEXT) | instid1(VALU_DEP_1)
	v_lshlrev_b32_e32 v58, 20, v58
	v_or3_b32 v58, v60, v59, v58
.LBB6_1903:                             ;   in Loop: Header=BB6_143 Depth=2
	s_or_b32 exec_lo, exec_lo, s26
	s_delay_alu instid0(VALU_DEP_1) | instskip(SKIP_1) | instid1(VALU_DEP_1)
	v_max_f32_e32 v58, v58, v58
	v_max_f32_e32 v16, v16, v16
	v_min_f32_e32 v58, v16, v58
.LBB6_1904:                             ;   in Loop: Header=BB6_143 Depth=2
	s_delay_alu instid0(VALU_DEP_1) | instskip(NEXT) | instid1(VALU_DEP_1)
	v_and_b32_e32 v16, 0x7f800000, v58
	v_cmp_ne_u32_e32 vcc_lo, 0x7f800000, v16
	v_mov_b32_e32 v16, 0x80
	s_and_saveexec_b32 s26, vcc_lo
	s_cbranch_execz .LBB6_1912
; %bb.1905:                             ;   in Loop: Header=BB6_143 Depth=2
	v_mov_b32_e32 v16, 0
	s_mov_b32 s27, exec_lo
	v_cmpx_ne_u32_e32 0, v58
	s_cbranch_execz .LBB6_1911
; %bb.1906:                             ;   in Loop: Header=BB6_143 Depth=2
	v_bfe_u32 v16, v58, 23, 8
	s_delay_alu instid0(VALU_DEP_1) | instskip(SKIP_1) | instid1(VALU_DEP_2)
	v_sub_nc_u32_e32 v60, 0x78, v16
	v_cmp_gt_u32_e32 vcc_lo, 0x79, v16
	v_dual_cndmask_b32 v60, 0, v60 :: v_dual_and_b32 v59, 0x7fffff, v58
	s_delay_alu instid0(VALU_DEP_1) | instskip(SKIP_2) | instid1(VALU_DEP_4)
	v_or_b32_e32 v61, 0x800000, v59
	v_cmp_eq_u32_e32 vcc_lo, 0, v16
	v_add_nc_u32_e32 v16, 0xffffff89, v16
	v_cndmask_b32_e64 v60, v60, 0x77, vcc_lo
	s_delay_alu instid0(VALU_DEP_4) | instskip(NEXT) | instid1(VALU_DEP_3)
	v_cndmask_b32_e32 v59, v61, v59, vcc_lo
	v_cndmask_b32_e64 v16, v16, 0xffffff8a, vcc_lo
	s_delay_alu instid0(VALU_DEP_3) | instskip(NEXT) | instid1(VALU_DEP_3)
	v_lshl_add_u32 v61, 0x100000, v60, -1
	v_lshrrev_b32_e32 v62, v60, v59
	v_lshlrev_b32_e64 v72, v60, 0x80000
	s_delay_alu instid0(VALU_DEP_4) | instskip(NEXT) | instid1(VALU_DEP_4)
	v_add_nc_u32_e32 v60, v60, v16
	v_and_b32_e32 v59, v61, v59
	s_delay_alu instid0(VALU_DEP_4) | instskip(NEXT) | instid1(VALU_DEP_2)
	v_bfe_u32 v63, v62, 20, 1
	v_cmp_eq_u32_e64 s11, v59, v72
	s_delay_alu instid0(VALU_DEP_2) | instskip(NEXT) | instid1(VALU_DEP_1)
	v_add_nc_u32_e32 v61, -1, v63
	v_cndmask_b32_e64 v59, 0, v61, s11
	v_lshrrev_b32_e32 v61, 23, v62
	s_mov_b32 s11, exec_lo
	s_delay_alu instid0(VALU_DEP_2) | instskip(NEXT) | instid1(VALU_DEP_2)
	v_add_nc_u32_e32 v59, v59, v62
	v_xor_b32_e32 v61, 1, v61
	s_delay_alu instid0(VALU_DEP_2) | instskip(NEXT) | instid1(VALU_DEP_1)
	v_and_b32_e32 v16, 0xfffff, v59
	v_add_nc_u32_e32 v59, v16, v62
                                        ; implicit-def: $vgpr16
	s_delay_alu instid0(VALU_DEP_3)
	v_cmpx_ne_u32_e64 v60, v61
	s_xor_b32 s11, exec_lo, s11
; %bb.1907:                             ;   in Loop: Header=BB6_143 Depth=2
	s_delay_alu instid0(VALU_DEP_2) | instskip(SKIP_2) | instid1(VALU_DEP_2)
	v_cmp_lt_u32_e32 vcc_lo, 0xffffff, v59
	v_sub_nc_u32_e32 v16, v60, v61
	v_cndmask_b32_e64 v60, 0, 1, vcc_lo
	v_add_co_ci_u32_e32 v16, vcc_lo, 0, v16, vcc_lo
	s_delay_alu instid0(VALU_DEP_2)
	v_lshrrev_b32_e32 v59, v60, v59
; %bb.1908:                             ;   in Loop: Header=BB6_143 Depth=2
	s_and_not1_saveexec_b32 s11, s11
; %bb.1909:                             ;   in Loop: Header=BB6_143 Depth=2
	s_delay_alu instid0(VALU_DEP_1)
	v_bfe_u32 v16, v59, 23, 1
; %bb.1910:                             ;   in Loop: Header=BB6_143 Depth=2
	s_or_b32 exec_lo, exec_lo, s11
	v_lshrrev_b32_e32 v59, 20, v59
	s_delay_alu instid0(VALU_DEP_2) | instskip(SKIP_2) | instid1(VALU_DEP_2)
	v_cmp_gt_i32_e32 vcc_lo, 16, v16
	v_lshrrev_b32_e32 v58, 24, v58
	v_min_i32_e32 v60, 15, v16
	v_dual_cndmask_b32 v59, 7, v59 :: v_dual_and_b32 v58, 0x80, v58
	s_delay_alu instid0(VALU_DEP_2) | instskip(NEXT) | instid1(VALU_DEP_2)
	v_lshlrev_b32_e32 v60, 3, v60
	v_or_b32_e32 v16, v16, v59
	s_delay_alu instid0(VALU_DEP_1) | instskip(SKIP_1) | instid1(VALU_DEP_1)
	v_cmp_ne_u32_e32 vcc_lo, 0, v16
	v_and_b32_e32 v61, 7, v59
	v_or3_b32 v58, v60, v58, v61
	s_delay_alu instid0(VALU_DEP_1)
	v_cndmask_b32_e32 v16, 0, v58, vcc_lo
.LBB6_1911:                             ;   in Loop: Header=BB6_143 Depth=2
	s_or_b32 exec_lo, exec_lo, s27
.LBB6_1912:                             ;   in Loop: Header=BB6_143 Depth=2
	s_delay_alu instid0(SALU_CYCLE_1)
	s_or_b32 exec_lo, exec_lo, s26
	v_lshrrev_b16 v59, 8, v17
	v_lshrrev_b16 v58, 8, v13
	s_and_not1_b32 vcc_lo, exec_lo, s25
	s_cbranch_vccnz .LBB6_1922
; %bb.1913:                             ;   in Loop: Header=BB6_143 Depth=2
	s_mov_b32 s11, 0
	s_mov_b32 s27, exec_lo
                                        ; implicit-def: $sgpr26
	v_cmpx_lt_i16_e32 0x7f, v59
	s_xor_b32 s27, exec_lo, s27
	s_cbranch_execnz .LBB6_2973
; %bb.1914:                             ;   in Loop: Header=BB6_143 Depth=2
	s_or_saveexec_b32 s27, s27
	v_mov_b32_e32 v60, s26
	s_xor_b32 exec_lo, exec_lo, s27
	s_cbranch_execnz .LBB6_2976
.LBB6_1915:                             ;   in Loop: Header=BB6_143 Depth=2
	s_or_b32 exec_lo, exec_lo, s27
	s_and_saveexec_b32 s26, s11
	s_cbranch_execz .LBB6_1917
.LBB6_1916:                             ;   in Loop: Header=BB6_143 Depth=2
	v_and_b32_e32 v60, 0xffff, v59
	s_delay_alu instid0(VALU_DEP_1) | instskip(NEXT) | instid1(VALU_DEP_1)
	v_and_b32_e32 v61, 7, v60
	v_clz_i32_u32_e32 v62, v61
	s_delay_alu instid0(VALU_DEP_1) | instskip(NEXT) | instid1(VALU_DEP_1)
	v_min_u32_e32 v62, 32, v62
	v_subrev_nc_u32_e32 v63, 28, v62
	v_sub_nc_u32_e32 v62, 29, v62
	s_delay_alu instid0(VALU_DEP_2) | instskip(SKIP_1) | instid1(VALU_DEP_2)
	v_lshlrev_b32_e32 v63, v63, v60
	v_bfe_u32 v60, v60, 3, 4
	v_and_b32_e32 v63, 7, v63
	s_delay_alu instid0(VALU_DEP_2) | instskip(SKIP_1) | instid1(VALU_DEP_3)
	v_cmp_eq_u32_e32 vcc_lo, 0, v60
	v_cndmask_b32_e32 v60, v60, v62, vcc_lo
	v_dual_cndmask_b32 v61, v61, v63 :: v_dual_lshlrev_b32 v72, 16, v17
	s_delay_alu instid0(VALU_DEP_2) | instskip(NEXT) | instid1(VALU_DEP_2)
	v_lshl_add_u32 v60, v60, 23, 0x3b800000
	v_and_b32_e32 v62, 0x80000000, v72
	s_delay_alu instid0(VALU_DEP_3) | instskip(NEXT) | instid1(VALU_DEP_1)
	v_lshlrev_b32_e32 v61, 20, v61
	v_or3_b32 v60, v62, v60, v61
.LBB6_1917:                             ;   in Loop: Header=BB6_143 Depth=2
	s_or_b32 exec_lo, exec_lo, s26
	s_mov_b32 s11, 0
	s_mov_b32 s27, exec_lo
                                        ; implicit-def: $sgpr26
	v_cmpx_lt_i16_e32 0x7f, v58
	s_xor_b32 s27, exec_lo, s27
	s_cbranch_execnz .LBB6_2977
; %bb.1918:                             ;   in Loop: Header=BB6_143 Depth=2
	s_or_saveexec_b32 s27, s27
	v_mov_b32_e32 v61, s26
	s_xor_b32 exec_lo, exec_lo, s27
	s_cbranch_execnz .LBB6_2980
.LBB6_1919:                             ;   in Loop: Header=BB6_143 Depth=2
	s_or_b32 exec_lo, exec_lo, s27
	s_and_saveexec_b32 s26, s11
	s_cbranch_execz .LBB6_1921
.LBB6_1920:                             ;   in Loop: Header=BB6_143 Depth=2
	v_and_b32_e32 v61, 0xffff, v58
	v_lshlrev_b32_e32 v73, 16, v13
	s_delay_alu instid0(VALU_DEP_2) | instskip(NEXT) | instid1(VALU_DEP_1)
	v_and_b32_e32 v62, 7, v61
	v_clz_i32_u32_e32 v63, v62
	s_delay_alu instid0(VALU_DEP_1) | instskip(NEXT) | instid1(VALU_DEP_1)
	v_min_u32_e32 v63, 32, v63
	v_subrev_nc_u32_e32 v72, 28, v63
	v_sub_nc_u32_e32 v63, 29, v63
	s_delay_alu instid0(VALU_DEP_2) | instskip(SKIP_1) | instid1(VALU_DEP_2)
	v_lshlrev_b32_e32 v72, v72, v61
	v_bfe_u32 v61, v61, 3, 4
	v_and_b32_e32 v72, 7, v72
	s_delay_alu instid0(VALU_DEP_2) | instskip(NEXT) | instid1(VALU_DEP_2)
	v_cmp_eq_u32_e32 vcc_lo, 0, v61
	v_dual_cndmask_b32 v61, v61, v63 :: v_dual_cndmask_b32 v62, v62, v72
	v_and_b32_e32 v63, 0x80000000, v73
	s_delay_alu instid0(VALU_DEP_2) | instskip(NEXT) | instid1(VALU_DEP_3)
	v_lshl_add_u32 v61, v61, 23, 0x3b800000
	v_lshlrev_b32_e32 v62, 20, v62
	s_delay_alu instid0(VALU_DEP_1)
	v_or3_b32 v61, v63, v61, v62
.LBB6_1921:                             ;   in Loop: Header=BB6_143 Depth=2
	s_or_b32 exec_lo, exec_lo, s26
	s_delay_alu instid0(VALU_DEP_1) | instskip(SKIP_1) | instid1(VALU_DEP_1)
	v_dual_max_f32 v61, v61, v61 :: v_dual_max_f32 v60, v60, v60
	s_mov_b32 s11, 0
	v_max_f32_e32 v60, v60, v61
	s_branch .LBB6_1923
.LBB6_1922:                             ;   in Loop: Header=BB6_143 Depth=2
	s_mov_b32 s11, -1
                                        ; implicit-def: $vgpr60
.LBB6_1923:                             ;   in Loop: Header=BB6_143 Depth=2
	s_delay_alu instid0(SALU_CYCLE_1)
	s_and_b32 vcc_lo, exec_lo, s11
	s_cbranch_vccz .LBB6_1933
; %bb.1924:                             ;   in Loop: Header=BB6_143 Depth=2
	s_mov_b32 s11, 0
	s_mov_b32 s27, exec_lo
                                        ; implicit-def: $sgpr26
	v_cmpx_lt_i16_e32 0x7f, v59
	s_xor_b32 s27, exec_lo, s27
	s_cbranch_execnz .LBB6_2981
; %bb.1925:                             ;   in Loop: Header=BB6_143 Depth=2
	s_or_saveexec_b32 s27, s27
	v_mov_b32_e32 v60, s26
	s_xor_b32 exec_lo, exec_lo, s27
	s_cbranch_execnz .LBB6_2984
.LBB6_1926:                             ;   in Loop: Header=BB6_143 Depth=2
	s_or_b32 exec_lo, exec_lo, s27
	s_and_saveexec_b32 s26, s11
	s_cbranch_execz .LBB6_1928
.LBB6_1927:                             ;   in Loop: Header=BB6_143 Depth=2
	v_and_b32_e32 v59, 0xffff, v59
	v_lshlrev_b32_e32 v63, 16, v17
	s_delay_alu instid0(VALU_DEP_2) | instskip(NEXT) | instid1(VALU_DEP_1)
	v_and_b32_e32 v60, 7, v59
	v_clz_i32_u32_e32 v61, v60
	s_delay_alu instid0(VALU_DEP_1) | instskip(NEXT) | instid1(VALU_DEP_1)
	v_min_u32_e32 v61, 32, v61
	v_subrev_nc_u32_e32 v62, 28, v61
	v_sub_nc_u32_e32 v61, 29, v61
	s_delay_alu instid0(VALU_DEP_2) | instskip(SKIP_1) | instid1(VALU_DEP_2)
	v_lshlrev_b32_e32 v62, v62, v59
	v_bfe_u32 v59, v59, 3, 4
	v_and_b32_e32 v62, 7, v62
	s_delay_alu instid0(VALU_DEP_2) | instskip(NEXT) | instid1(VALU_DEP_2)
	v_cmp_eq_u32_e32 vcc_lo, 0, v59
	v_dual_cndmask_b32 v59, v59, v61 :: v_dual_cndmask_b32 v60, v60, v62
	v_and_b32_e32 v61, 0x80000000, v63
	s_delay_alu instid0(VALU_DEP_2) | instskip(NEXT) | instid1(VALU_DEP_3)
	v_lshl_add_u32 v59, v59, 23, 0x3b800000
	v_lshlrev_b32_e32 v60, 20, v60
	s_delay_alu instid0(VALU_DEP_1)
	v_or3_b32 v60, v61, v59, v60
.LBB6_1928:                             ;   in Loop: Header=BB6_143 Depth=2
	s_or_b32 exec_lo, exec_lo, s26
	s_mov_b32 s11, 0
	s_mov_b32 s27, exec_lo
                                        ; implicit-def: $sgpr26
	v_cmpx_lt_i16_e32 0x7f, v58
	s_xor_b32 s27, exec_lo, s27
	s_cbranch_execnz .LBB6_2985
; %bb.1929:                             ;   in Loop: Header=BB6_143 Depth=2
	s_or_saveexec_b32 s27, s27
	v_mov_b32_e32 v59, s26
	s_xor_b32 exec_lo, exec_lo, s27
	s_cbranch_execnz .LBB6_2988
.LBB6_1930:                             ;   in Loop: Header=BB6_143 Depth=2
	s_or_b32 exec_lo, exec_lo, s27
	s_and_saveexec_b32 s26, s11
	s_cbranch_execz .LBB6_1932
.LBB6_1931:                             ;   in Loop: Header=BB6_143 Depth=2
	v_and_b32_e32 v58, 0xffff, v58
	v_lshlrev_b32_e32 v63, 16, v13
	s_delay_alu instid0(VALU_DEP_2) | instskip(NEXT) | instid1(VALU_DEP_1)
	v_and_b32_e32 v59, 7, v58
	v_clz_i32_u32_e32 v61, v59
	s_delay_alu instid0(VALU_DEP_1) | instskip(NEXT) | instid1(VALU_DEP_1)
	v_min_u32_e32 v61, 32, v61
	v_subrev_nc_u32_e32 v62, 28, v61
	v_sub_nc_u32_e32 v61, 29, v61
	s_delay_alu instid0(VALU_DEP_2) | instskip(SKIP_1) | instid1(VALU_DEP_2)
	v_lshlrev_b32_e32 v62, v62, v58
	v_bfe_u32 v58, v58, 3, 4
	v_and_b32_e32 v62, 7, v62
	s_delay_alu instid0(VALU_DEP_2) | instskip(NEXT) | instid1(VALU_DEP_2)
	v_cmp_eq_u32_e32 vcc_lo, 0, v58
	v_dual_cndmask_b32 v58, v58, v61 :: v_dual_cndmask_b32 v59, v59, v62
	v_and_b32_e32 v61, 0x80000000, v63
	s_delay_alu instid0(VALU_DEP_2) | instskip(NEXT) | instid1(VALU_DEP_3)
	v_lshl_add_u32 v58, v58, 23, 0x3b800000
	v_lshlrev_b32_e32 v59, 20, v59
	s_delay_alu instid0(VALU_DEP_1)
	v_or3_b32 v59, v61, v58, v59
.LBB6_1932:                             ;   in Loop: Header=BB6_143 Depth=2
	s_or_b32 exec_lo, exec_lo, s26
	s_delay_alu instid0(VALU_DEP_1) | instskip(NEXT) | instid1(VALU_DEP_1)
	v_dual_max_f32 v58, v59, v59 :: v_dual_max_f32 v59, v60, v60
	v_min_f32_e32 v60, v59, v58
.LBB6_1933:                             ;   in Loop: Header=BB6_143 Depth=2
	s_delay_alu instid0(VALU_DEP_1) | instskip(NEXT) | instid1(VALU_DEP_1)
	v_and_b32_e32 v58, 0x7f800000, v60
	v_cmp_ne_u32_e32 vcc_lo, 0x7f800000, v58
	v_mov_b32_e32 v58, 0x80
	s_and_saveexec_b32 s26, vcc_lo
	s_cbranch_execz .LBB6_1941
; %bb.1934:                             ;   in Loop: Header=BB6_143 Depth=2
	v_mov_b32_e32 v58, 0
	s_mov_b32 s27, exec_lo
	v_cmpx_ne_u32_e32 0, v60
	s_cbranch_execz .LBB6_1940
; %bb.1935:                             ;   in Loop: Header=BB6_143 Depth=2
	v_bfe_u32 v58, v60, 23, 8
	v_and_b32_e32 v59, 0x7fffff, v60
	s_delay_alu instid0(VALU_DEP_2) | instskip(SKIP_1) | instid1(VALU_DEP_3)
	v_sub_nc_u32_e32 v61, 0x78, v58
	v_cmp_gt_u32_e32 vcc_lo, 0x79, v58
	v_or_b32_e32 v62, 0x800000, v59
	s_delay_alu instid0(VALU_DEP_3) | instskip(SKIP_2) | instid1(VALU_DEP_3)
	v_cndmask_b32_e32 v61, 0, v61, vcc_lo
	v_cmp_eq_u32_e32 vcc_lo, 0, v58
	v_add_nc_u32_e32 v58, 0xffffff89, v58
	v_cndmask_b32_e64 v61, v61, 0x77, vcc_lo
	v_cndmask_b32_e32 v59, v62, v59, vcc_lo
	s_delay_alu instid0(VALU_DEP_3) | instskip(NEXT) | instid1(VALU_DEP_3)
	v_cndmask_b32_e64 v58, v58, 0xffffff8a, vcc_lo
	v_lshl_add_u32 v62, 0x100000, v61, -1
	s_delay_alu instid0(VALU_DEP_3) | instskip(SKIP_1) | instid1(VALU_DEP_4)
	v_lshrrev_b32_e32 v63, v61, v59
	v_lshlrev_b32_e64 v73, v61, 0x80000
	v_add_nc_u32_e32 v61, v61, v58
	s_delay_alu instid0(VALU_DEP_4) | instskip(NEXT) | instid1(VALU_DEP_4)
	v_and_b32_e32 v59, v62, v59
	v_bfe_u32 v72, v63, 20, 1
	s_delay_alu instid0(VALU_DEP_2) | instskip(NEXT) | instid1(VALU_DEP_2)
	v_cmp_eq_u32_e64 s11, v59, v73
	v_add_nc_u32_e32 v62, -1, v72
	s_delay_alu instid0(VALU_DEP_1) | instskip(SKIP_2) | instid1(VALU_DEP_2)
	v_cndmask_b32_e64 v59, 0, v62, s11
	v_lshrrev_b32_e32 v62, 23, v63
	s_mov_b32 s11, exec_lo
	v_add_nc_u32_e32 v59, v59, v63
	s_delay_alu instid0(VALU_DEP_2) | instskip(NEXT) | instid1(VALU_DEP_2)
	v_xor_b32_e32 v62, 1, v62
	v_and_b32_e32 v58, 0xfffff, v59
	s_delay_alu instid0(VALU_DEP_1) | instskip(NEXT) | instid1(VALU_DEP_3)
	v_add_nc_u32_e32 v59, v58, v63
                                        ; implicit-def: $vgpr58
	v_cmpx_ne_u32_e64 v61, v62
	s_xor_b32 s11, exec_lo, s11
; %bb.1936:                             ;   in Loop: Header=BB6_143 Depth=2
	s_delay_alu instid0(VALU_DEP_2) | instskip(SKIP_2) | instid1(VALU_DEP_2)
	v_cmp_lt_u32_e32 vcc_lo, 0xffffff, v59
	v_sub_nc_u32_e32 v58, v61, v62
	v_cndmask_b32_e64 v61, 0, 1, vcc_lo
	v_add_co_ci_u32_e32 v58, vcc_lo, 0, v58, vcc_lo
	s_delay_alu instid0(VALU_DEP_2)
	v_lshrrev_b32_e32 v59, v61, v59
; %bb.1937:                             ;   in Loop: Header=BB6_143 Depth=2
	s_and_not1_saveexec_b32 s11, s11
; %bb.1938:                             ;   in Loop: Header=BB6_143 Depth=2
	s_delay_alu instid0(VALU_DEP_1)
	v_bfe_u32 v58, v59, 23, 1
; %bb.1939:                             ;   in Loop: Header=BB6_143 Depth=2
	s_or_b32 exec_lo, exec_lo, s11
	v_lshrrev_b32_e32 v59, 20, v59
	s_delay_alu instid0(VALU_DEP_2) | instskip(SKIP_2) | instid1(VALU_DEP_2)
	v_cmp_gt_i32_e32 vcc_lo, 16, v58
	v_lshrrev_b32_e32 v60, 24, v60
	v_min_i32_e32 v61, 15, v58
	v_dual_cndmask_b32 v59, 7, v59 :: v_dual_and_b32 v60, 0x80, v60
	s_delay_alu instid0(VALU_DEP_1) | instskip(SKIP_1) | instid1(VALU_DEP_2)
	v_or_b32_e32 v58, v58, v59
	v_and_b32_e32 v62, 7, v59
	v_cmp_ne_u32_e32 vcc_lo, 0, v58
	v_lshlrev_b32_e32 v61, 3, v61
	s_delay_alu instid0(VALU_DEP_1) | instskip(NEXT) | instid1(VALU_DEP_1)
	v_or3_b32 v59, v61, v60, v62
	v_cndmask_b32_e32 v58, 0, v59, vcc_lo
.LBB6_1940:                             ;   in Loop: Header=BB6_143 Depth=2
	s_or_b32 exec_lo, exec_lo, s27
.LBB6_1941:                             ;   in Loop: Header=BB6_143 Depth=2
	s_delay_alu instid0(SALU_CYCLE_1)
	s_or_b32 exec_lo, exec_lo, s26
	v_lshrrev_b32_e32 v60, 16, v17
	v_lshrrev_b32_e32 v59, 16, v13
	s_and_not1_b32 vcc_lo, exec_lo, s25
	s_cbranch_vccnz .LBB6_1951
; %bb.1942:                             ;   in Loop: Header=BB6_143 Depth=2
	s_delay_alu instid0(VALU_DEP_2) | instskip(SKIP_2) | instid1(VALU_DEP_1)
	v_and_b32_e32 v62, 0xff, v60
	s_mov_b32 s11, 0
	s_mov_b32 s27, exec_lo
                                        ; implicit-def: $sgpr26
	v_cmpx_lt_i16_e32 0x7f, v62
	s_xor_b32 s27, exec_lo, s27
	s_cbranch_execnz .LBB6_2989
; %bb.1943:                             ;   in Loop: Header=BB6_143 Depth=2
	s_or_saveexec_b32 s27, s27
	v_mov_b32_e32 v61, s26
	s_xor_b32 exec_lo, exec_lo, s27
	s_cbranch_execnz .LBB6_2992
.LBB6_1944:                             ;   in Loop: Header=BB6_143 Depth=2
	s_or_b32 exec_lo, exec_lo, s27
	s_and_saveexec_b32 s26, s11
	s_cbranch_execz .LBB6_1946
.LBB6_1945:                             ;   in Loop: Header=BB6_143 Depth=2
	v_bfe_u32 v61, v17, 16, 3
	v_bfe_u32 v72, v17, 19, 4
	v_lshlrev_b32_e32 v73, 24, v60
	s_delay_alu instid0(VALU_DEP_3) | instskip(NEXT) | instid1(VALU_DEP_3)
	v_clz_i32_u32_e32 v62, v61
	v_cmp_eq_u32_e32 vcc_lo, 0, v72
	s_delay_alu instid0(VALU_DEP_2) | instskip(NEXT) | instid1(VALU_DEP_1)
	v_min_u32_e32 v62, 32, v62
	v_subrev_nc_u32_e32 v63, 28, v62
	v_sub_nc_u32_e32 v62, 29, v62
	s_delay_alu instid0(VALU_DEP_1) | instskip(NEXT) | instid1(VALU_DEP_1)
	v_dual_cndmask_b32 v62, v72, v62 :: v_dual_lshlrev_b32 v63, v63, v60
	v_and_b32_e32 v63, 7, v63
	s_delay_alu instid0(VALU_DEP_2) | instskip(NEXT) | instid1(VALU_DEP_2)
	v_lshl_add_u32 v62, v62, 23, 0x3b800000
	v_cndmask_b32_e32 v61, v61, v63, vcc_lo
	v_and_b32_e32 v63, 0x80000000, v73
	s_delay_alu instid0(VALU_DEP_2) | instskip(NEXT) | instid1(VALU_DEP_1)
	v_lshlrev_b32_e32 v61, 20, v61
	v_or3_b32 v61, v63, v62, v61
.LBB6_1946:                             ;   in Loop: Header=BB6_143 Depth=2
	s_or_b32 exec_lo, exec_lo, s26
	v_and_b32_e32 v63, 0xff, v59
	s_mov_b32 s11, 0
	s_mov_b32 s27, exec_lo
                                        ; implicit-def: $sgpr26
	s_delay_alu instid0(VALU_DEP_1)
	v_cmpx_lt_i16_e32 0x7f, v63
	s_xor_b32 s27, exec_lo, s27
	s_cbranch_execnz .LBB6_2993
; %bb.1947:                             ;   in Loop: Header=BB6_143 Depth=2
	s_or_saveexec_b32 s27, s27
	v_mov_b32_e32 v62, s26
	s_xor_b32 exec_lo, exec_lo, s27
	s_cbranch_execnz .LBB6_2996
.LBB6_1948:                             ;   in Loop: Header=BB6_143 Depth=2
	s_or_b32 exec_lo, exec_lo, s27
	s_and_saveexec_b32 s26, s11
	s_cbranch_execz .LBB6_1950
.LBB6_1949:                             ;   in Loop: Header=BB6_143 Depth=2
	v_bfe_u32 v62, v13, 16, 3
	v_bfe_u32 v73, v13, 19, 4
	v_lshlrev_b32_e32 v74, 24, v59
	s_delay_alu instid0(VALU_DEP_3) | instskip(NEXT) | instid1(VALU_DEP_3)
	v_clz_i32_u32_e32 v63, v62
	v_cmp_eq_u32_e32 vcc_lo, 0, v73
	s_delay_alu instid0(VALU_DEP_2) | instskip(NEXT) | instid1(VALU_DEP_1)
	v_min_u32_e32 v63, 32, v63
	v_subrev_nc_u32_e32 v72, 28, v63
	v_sub_nc_u32_e32 v63, 29, v63
	s_delay_alu instid0(VALU_DEP_2) | instskip(NEXT) | instid1(VALU_DEP_1)
	v_lshlrev_b32_e32 v72, v72, v59
	v_dual_cndmask_b32 v63, v73, v63 :: v_dual_and_b32 v72, 7, v72
	s_delay_alu instid0(VALU_DEP_1) | instskip(NEXT) | instid1(VALU_DEP_2)
	v_lshl_add_u32 v63, v63, 23, 0x3b800000
	v_cndmask_b32_e32 v62, v62, v72, vcc_lo
	v_and_b32_e32 v72, 0x80000000, v74
	s_delay_alu instid0(VALU_DEP_2) | instskip(NEXT) | instid1(VALU_DEP_1)
	v_lshlrev_b32_e32 v62, 20, v62
	v_or3_b32 v62, v72, v63, v62
.LBB6_1950:                             ;   in Loop: Header=BB6_143 Depth=2
	s_or_b32 exec_lo, exec_lo, s26
	s_delay_alu instid0(VALU_DEP_1) | instskip(SKIP_1) | instid1(VALU_DEP_1)
	v_dual_max_f32 v62, v62, v62 :: v_dual_max_f32 v61, v61, v61
	s_mov_b32 s11, 0
	v_max_f32_e32 v61, v61, v62
	s_branch .LBB6_1952
.LBB6_1951:                             ;   in Loop: Header=BB6_143 Depth=2
	s_mov_b32 s11, -1
                                        ; implicit-def: $vgpr61
.LBB6_1952:                             ;   in Loop: Header=BB6_143 Depth=2
	s_delay_alu instid0(SALU_CYCLE_1)
	s_and_b32 vcc_lo, exec_lo, s11
	s_cbranch_vccz .LBB6_1962
; %bb.1953:                             ;   in Loop: Header=BB6_143 Depth=2
	v_and_b32_e32 v62, 0xff, v60
	s_mov_b32 s11, 0
	s_mov_b32 s27, exec_lo
                                        ; implicit-def: $sgpr26
	s_delay_alu instid0(VALU_DEP_1)
	v_cmpx_lt_i16_e32 0x7f, v62
	s_xor_b32 s27, exec_lo, s27
	s_cbranch_execnz .LBB6_2997
; %bb.1954:                             ;   in Loop: Header=BB6_143 Depth=2
	s_or_saveexec_b32 s27, s27
	v_mov_b32_e32 v61, s26
	s_xor_b32 exec_lo, exec_lo, s27
	s_cbranch_execnz .LBB6_3000
.LBB6_1955:                             ;   in Loop: Header=BB6_143 Depth=2
	s_or_b32 exec_lo, exec_lo, s27
	s_and_saveexec_b32 s26, s11
	s_cbranch_execz .LBB6_1957
.LBB6_1956:                             ;   in Loop: Header=BB6_143 Depth=2
	v_bfe_u32 v61, v17, 16, 3
	v_bfe_u32 v72, v17, 19, 4
	s_delay_alu instid0(VALU_DEP_2) | instskip(NEXT) | instid1(VALU_DEP_2)
	v_clz_i32_u32_e32 v62, v61
	v_cmp_eq_u32_e32 vcc_lo, 0, v72
	s_delay_alu instid0(VALU_DEP_2) | instskip(NEXT) | instid1(VALU_DEP_1)
	v_min_u32_e32 v62, 32, v62
	v_subrev_nc_u32_e32 v63, 28, v62
	v_sub_nc_u32_e32 v62, 29, v62
	s_delay_alu instid0(VALU_DEP_1) | instskip(NEXT) | instid1(VALU_DEP_1)
	v_dual_cndmask_b32 v62, v72, v62 :: v_dual_lshlrev_b32 v63, v63, v60
	v_and_b32_e32 v63, 7, v63
	v_lshlrev_b32_e32 v60, 24, v60
	s_delay_alu instid0(VALU_DEP_3) | instskip(NEXT) | instid1(VALU_DEP_2)
	v_lshl_add_u32 v62, v62, 23, 0x3b800000
	v_dual_cndmask_b32 v61, v61, v63 :: v_dual_and_b32 v60, 0x80000000, v60
	s_delay_alu instid0(VALU_DEP_1) | instskip(NEXT) | instid1(VALU_DEP_1)
	v_lshlrev_b32_e32 v61, 20, v61
	v_or3_b32 v61, v60, v62, v61
.LBB6_1957:                             ;   in Loop: Header=BB6_143 Depth=2
	s_or_b32 exec_lo, exec_lo, s26
	v_and_b32_e32 v62, 0xff, v59
	s_mov_b32 s11, 0
	s_mov_b32 s27, exec_lo
                                        ; implicit-def: $sgpr26
	s_delay_alu instid0(VALU_DEP_1)
	v_cmpx_lt_i16_e32 0x7f, v62
	s_xor_b32 s27, exec_lo, s27
	s_cbranch_execnz .LBB6_3001
; %bb.1958:                             ;   in Loop: Header=BB6_143 Depth=2
	s_or_saveexec_b32 s27, s27
	v_mov_b32_e32 v60, s26
	s_xor_b32 exec_lo, exec_lo, s27
	s_cbranch_execnz .LBB6_3004
.LBB6_1959:                             ;   in Loop: Header=BB6_143 Depth=2
	s_or_b32 exec_lo, exec_lo, s27
	s_and_saveexec_b32 s26, s11
	s_cbranch_execz .LBB6_1961
.LBB6_1960:                             ;   in Loop: Header=BB6_143 Depth=2
	v_bfe_u32 v60, v13, 16, 3
	v_bfe_u32 v72, v13, 19, 4
	s_delay_alu instid0(VALU_DEP_2) | instskip(NEXT) | instid1(VALU_DEP_2)
	v_clz_i32_u32_e32 v62, v60
	v_cmp_eq_u32_e32 vcc_lo, 0, v72
	s_delay_alu instid0(VALU_DEP_2) | instskip(NEXT) | instid1(VALU_DEP_1)
	v_min_u32_e32 v62, 32, v62
	v_subrev_nc_u32_e32 v63, 28, v62
	v_sub_nc_u32_e32 v62, 29, v62
	s_delay_alu instid0(VALU_DEP_1) | instskip(SKIP_1) | instid1(VALU_DEP_2)
	v_dual_cndmask_b32 v62, v72, v62 :: v_dual_lshlrev_b32 v63, v63, v59
	v_lshlrev_b32_e32 v59, 24, v59
	v_and_b32_e32 v63, 7, v63
	s_delay_alu instid0(VALU_DEP_3) | instskip(NEXT) | instid1(VALU_DEP_3)
	v_lshl_add_u32 v62, v62, 23, 0x3b800000
	v_and_b32_e32 v59, 0x80000000, v59
	s_delay_alu instid0(VALU_DEP_3) | instskip(NEXT) | instid1(VALU_DEP_1)
	v_cndmask_b32_e32 v60, v60, v63, vcc_lo
	v_lshlrev_b32_e32 v60, 20, v60
	s_delay_alu instid0(VALU_DEP_1)
	v_or3_b32 v60, v59, v62, v60
.LBB6_1961:                             ;   in Loop: Header=BB6_143 Depth=2
	s_or_b32 exec_lo, exec_lo, s26
	s_delay_alu instid0(VALU_DEP_1) | instskip(NEXT) | instid1(VALU_DEP_1)
	v_dual_max_f32 v59, v60, v60 :: v_dual_max_f32 v60, v61, v61
	v_min_f32_e32 v61, v60, v59
.LBB6_1962:                             ;   in Loop: Header=BB6_143 Depth=2
	s_delay_alu instid0(VALU_DEP_1) | instskip(NEXT) | instid1(VALU_DEP_1)
	v_and_b32_e32 v59, 0x7f800000, v61
	v_cmp_ne_u32_e32 vcc_lo, 0x7f800000, v59
	v_mov_b32_e32 v59, 0x80
	s_and_saveexec_b32 s26, vcc_lo
	s_cbranch_execz .LBB6_1970
; %bb.1963:                             ;   in Loop: Header=BB6_143 Depth=2
	v_mov_b32_e32 v59, 0
	s_mov_b32 s27, exec_lo
	v_cmpx_ne_u32_e32 0, v61
	s_cbranch_execz .LBB6_1969
; %bb.1964:                             ;   in Loop: Header=BB6_143 Depth=2
	v_bfe_u32 v59, v61, 23, 8
	v_and_b32_e32 v60, 0x7fffff, v61
	s_delay_alu instid0(VALU_DEP_2) | instskip(SKIP_1) | instid1(VALU_DEP_3)
	v_sub_nc_u32_e32 v62, 0x78, v59
	v_cmp_gt_u32_e32 vcc_lo, 0x79, v59
	v_or_b32_e32 v63, 0x800000, v60
	s_delay_alu instid0(VALU_DEP_3) | instskip(SKIP_2) | instid1(VALU_DEP_3)
	v_cndmask_b32_e32 v62, 0, v62, vcc_lo
	v_cmp_eq_u32_e32 vcc_lo, 0, v59
	v_add_nc_u32_e32 v59, 0xffffff89, v59
	v_cndmask_b32_e64 v62, v62, 0x77, vcc_lo
	v_cndmask_b32_e32 v60, v63, v60, vcc_lo
	s_delay_alu instid0(VALU_DEP_3) | instskip(NEXT) | instid1(VALU_DEP_3)
	v_cndmask_b32_e64 v59, v59, 0xffffff8a, vcc_lo
	v_lshl_add_u32 v63, 0x100000, v62, -1
	s_delay_alu instid0(VALU_DEP_3) | instskip(SKIP_1) | instid1(VALU_DEP_4)
	v_lshrrev_b32_e32 v72, v62, v60
	v_lshlrev_b32_e64 v74, v62, 0x80000
	v_add_nc_u32_e32 v62, v62, v59
	s_delay_alu instid0(VALU_DEP_4) | instskip(NEXT) | instid1(VALU_DEP_4)
	v_and_b32_e32 v60, v63, v60
	v_bfe_u32 v73, v72, 20, 1
	s_delay_alu instid0(VALU_DEP_2) | instskip(NEXT) | instid1(VALU_DEP_2)
	v_cmp_eq_u32_e64 s11, v60, v74
	v_add_nc_u32_e32 v63, -1, v73
	s_delay_alu instid0(VALU_DEP_1) | instskip(SKIP_2) | instid1(VALU_DEP_2)
	v_cndmask_b32_e64 v60, 0, v63, s11
	v_lshrrev_b32_e32 v63, 23, v72
	s_mov_b32 s11, exec_lo
	v_add_nc_u32_e32 v60, v60, v72
	s_delay_alu instid0(VALU_DEP_2) | instskip(NEXT) | instid1(VALU_DEP_2)
	v_xor_b32_e32 v63, 1, v63
	v_and_b32_e32 v59, 0xfffff, v60
	s_delay_alu instid0(VALU_DEP_1) | instskip(NEXT) | instid1(VALU_DEP_3)
	v_add_nc_u32_e32 v60, v59, v72
                                        ; implicit-def: $vgpr59
	v_cmpx_ne_u32_e64 v62, v63
	s_xor_b32 s11, exec_lo, s11
; %bb.1965:                             ;   in Loop: Header=BB6_143 Depth=2
	s_delay_alu instid0(VALU_DEP_2) | instskip(SKIP_2) | instid1(VALU_DEP_2)
	v_cmp_lt_u32_e32 vcc_lo, 0xffffff, v60
	v_sub_nc_u32_e32 v59, v62, v63
	v_cndmask_b32_e64 v62, 0, 1, vcc_lo
	v_add_co_ci_u32_e32 v59, vcc_lo, 0, v59, vcc_lo
	s_delay_alu instid0(VALU_DEP_2)
	v_lshrrev_b32_e32 v60, v62, v60
; %bb.1966:                             ;   in Loop: Header=BB6_143 Depth=2
	s_and_not1_saveexec_b32 s11, s11
; %bb.1967:                             ;   in Loop: Header=BB6_143 Depth=2
	s_delay_alu instid0(VALU_DEP_1)
	v_bfe_u32 v59, v60, 23, 1
; %bb.1968:                             ;   in Loop: Header=BB6_143 Depth=2
	s_or_b32 exec_lo, exec_lo, s11
	v_lshrrev_b32_e32 v60, 20, v60
	s_delay_alu instid0(VALU_DEP_2) | instskip(SKIP_2) | instid1(VALU_DEP_2)
	v_cmp_gt_i32_e32 vcc_lo, 16, v59
	v_lshrrev_b32_e32 v61, 24, v61
	v_min_i32_e32 v62, 15, v59
	v_dual_cndmask_b32 v60, 7, v60 :: v_dual_and_b32 v61, 0x80, v61
	s_delay_alu instid0(VALU_DEP_1) | instskip(SKIP_1) | instid1(VALU_DEP_2)
	v_or_b32_e32 v59, v59, v60
	v_and_b32_e32 v63, 7, v60
	v_cmp_ne_u32_e32 vcc_lo, 0, v59
	v_lshlrev_b32_e32 v62, 3, v62
	s_delay_alu instid0(VALU_DEP_1) | instskip(NEXT) | instid1(VALU_DEP_1)
	v_and_b32_e32 v62, 0xf8, v62
	v_or3_b32 v60, v62, v61, v63
	s_delay_alu instid0(VALU_DEP_1)
	v_cndmask_b32_e32 v59, 0, v60, vcc_lo
.LBB6_1969:                             ;   in Loop: Header=BB6_143 Depth=2
	s_or_b32 exec_lo, exec_lo, s27
.LBB6_1970:                             ;   in Loop: Header=BB6_143 Depth=2
	s_delay_alu instid0(SALU_CYCLE_1)
	s_or_b32 exec_lo, exec_lo, s26
	v_lshrrev_b32_e32 v61, 24, v17
	v_lshrrev_b32_e32 v60, 24, v13
	s_and_not1_b32 vcc_lo, exec_lo, s25
	s_cbranch_vccnz .LBB6_1980
; %bb.1971:                             ;   in Loop: Header=BB6_143 Depth=2
	s_mov_b32 s11, 0
	s_mov_b32 s27, exec_lo
                                        ; implicit-def: $sgpr26
	v_cmpx_lt_i16_e32 0x7f, v61
	s_xor_b32 s27, exec_lo, s27
	s_cbranch_execnz .LBB6_3005
; %bb.1972:                             ;   in Loop: Header=BB6_143 Depth=2
	s_or_saveexec_b32 s27, s27
	v_mov_b32_e32 v62, s26
	s_xor_b32 exec_lo, exec_lo, s27
	s_cbranch_execnz .LBB6_3008
.LBB6_1973:                             ;   in Loop: Header=BB6_143 Depth=2
	s_or_b32 exec_lo, exec_lo, s27
	s_and_saveexec_b32 s26, s11
	s_cbranch_execz .LBB6_1975
.LBB6_1974:                             ;   in Loop: Header=BB6_143 Depth=2
	v_bfe_u32 v62, v17, 24, 3
	v_bfe_u32 v73, v17, 27, 4
	s_delay_alu instid0(VALU_DEP_2) | instskip(NEXT) | instid1(VALU_DEP_2)
	v_clz_i32_u32_e32 v63, v62
	v_cmp_eq_u32_e32 vcc_lo, 0, v73
	s_delay_alu instid0(VALU_DEP_2) | instskip(NEXT) | instid1(VALU_DEP_1)
	v_min_u32_e32 v63, 32, v63
	v_subrev_nc_u32_e32 v72, 28, v63
	v_sub_nc_u32_e32 v63, 29, v63
	s_delay_alu instid0(VALU_DEP_1) | instskip(NEXT) | instid1(VALU_DEP_1)
	v_dual_cndmask_b32 v63, v73, v63 :: v_dual_lshlrev_b32 v72, v72, v61
	v_and_b32_e32 v72, 7, v72
	s_delay_alu instid0(VALU_DEP_2) | instskip(NEXT) | instid1(VALU_DEP_2)
	v_lshl_add_u32 v63, v63, 23, 0x3b800000
	v_cndmask_b32_e32 v62, v62, v72, vcc_lo
	v_and_b32_e32 v72, 0x80000000, v17
	s_delay_alu instid0(VALU_DEP_2) | instskip(NEXT) | instid1(VALU_DEP_1)
	v_lshlrev_b32_e32 v62, 20, v62
	v_or3_b32 v62, v72, v63, v62
.LBB6_1975:                             ;   in Loop: Header=BB6_143 Depth=2
	s_or_b32 exec_lo, exec_lo, s26
	s_mov_b32 s11, 0
	s_mov_b32 s27, exec_lo
                                        ; implicit-def: $sgpr26
	v_cmpx_lt_i16_e32 0x7f, v60
	s_xor_b32 s27, exec_lo, s27
	s_cbranch_execnz .LBB6_3009
; %bb.1976:                             ;   in Loop: Header=BB6_143 Depth=2
	s_or_saveexec_b32 s27, s27
	v_mov_b32_e32 v63, s26
	s_xor_b32 exec_lo, exec_lo, s27
	s_cbranch_execnz .LBB6_3012
.LBB6_1977:                             ;   in Loop: Header=BB6_143 Depth=2
	s_or_b32 exec_lo, exec_lo, s27
	s_and_saveexec_b32 s26, s11
	s_cbranch_execz .LBB6_1979
.LBB6_1978:                             ;   in Loop: Header=BB6_143 Depth=2
	v_bfe_u32 v63, v13, 24, 3
	v_bfe_u32 v74, v13, 27, 4
	s_delay_alu instid0(VALU_DEP_2) | instskip(NEXT) | instid1(VALU_DEP_2)
	v_clz_i32_u32_e32 v72, v63
	v_cmp_eq_u32_e32 vcc_lo, 0, v74
	s_delay_alu instid0(VALU_DEP_2) | instskip(NEXT) | instid1(VALU_DEP_1)
	v_min_u32_e32 v72, 32, v72
	v_subrev_nc_u32_e32 v73, 28, v72
	v_sub_nc_u32_e32 v72, 29, v72
	s_delay_alu instid0(VALU_DEP_2) | instskip(NEXT) | instid1(VALU_DEP_1)
	v_lshlrev_b32_e32 v73, v73, v60
	v_dual_cndmask_b32 v72, v74, v72 :: v_dual_and_b32 v73, 7, v73
	s_delay_alu instid0(VALU_DEP_1) | instskip(NEXT) | instid1(VALU_DEP_2)
	v_lshl_add_u32 v72, v72, 23, 0x3b800000
	v_cndmask_b32_e32 v63, v63, v73, vcc_lo
	v_and_b32_e32 v73, 0x80000000, v13
	s_delay_alu instid0(VALU_DEP_2) | instskip(NEXT) | instid1(VALU_DEP_1)
	v_lshlrev_b32_e32 v63, 20, v63
	v_or3_b32 v63, v73, v72, v63
.LBB6_1979:                             ;   in Loop: Header=BB6_143 Depth=2
	s_or_b32 exec_lo, exec_lo, s26
	s_delay_alu instid0(VALU_DEP_1) | instskip(SKIP_1) | instid1(VALU_DEP_1)
	v_dual_max_f32 v63, v63, v63 :: v_dual_max_f32 v62, v62, v62
	s_mov_b32 s11, 0
	v_max_f32_e32 v62, v62, v63
	s_branch .LBB6_1981
.LBB6_1980:                             ;   in Loop: Header=BB6_143 Depth=2
	s_mov_b32 s11, -1
                                        ; implicit-def: $vgpr62
.LBB6_1981:                             ;   in Loop: Header=BB6_143 Depth=2
	s_delay_alu instid0(SALU_CYCLE_1)
	s_and_b32 vcc_lo, exec_lo, s11
	s_cbranch_vccz .LBB6_1991
; %bb.1982:                             ;   in Loop: Header=BB6_143 Depth=2
	s_mov_b32 s11, 0
	s_mov_b32 s27, exec_lo
                                        ; implicit-def: $sgpr26
	v_cmpx_lt_i16_e32 0x7f, v61
	s_xor_b32 s27, exec_lo, s27
	s_cbranch_execnz .LBB6_3013
; %bb.1983:                             ;   in Loop: Header=BB6_143 Depth=2
	s_or_saveexec_b32 s27, s27
	v_mov_b32_e32 v62, s26
	s_xor_b32 exec_lo, exec_lo, s27
	s_cbranch_execnz .LBB6_3016
.LBB6_1984:                             ;   in Loop: Header=BB6_143 Depth=2
	s_or_b32 exec_lo, exec_lo, s27
	s_and_saveexec_b32 s26, s11
	s_cbranch_execz .LBB6_1986
.LBB6_1985:                             ;   in Loop: Header=BB6_143 Depth=2
	v_bfe_u32 v62, v17, 24, 3
	s_delay_alu instid0(VALU_DEP_1) | instskip(NEXT) | instid1(VALU_DEP_1)
	v_clz_i32_u32_e32 v63, v62
	v_min_u32_e32 v63, 32, v63
	s_delay_alu instid0(VALU_DEP_1) | instskip(SKIP_1) | instid1(VALU_DEP_2)
	v_subrev_nc_u32_e32 v72, 28, v63
	v_sub_nc_u32_e32 v63, 29, v63
	v_lshlrev_b32_e32 v61, v72, v61
	v_bfe_u32 v72, v17, 27, 4
	v_and_b32_e32 v17, 0x80000000, v17
	s_delay_alu instid0(VALU_DEP_3) | instskip(NEXT) | instid1(VALU_DEP_3)
	v_and_b32_e32 v61, 7, v61
	v_cmp_eq_u32_e32 vcc_lo, 0, v72
	v_cndmask_b32_e32 v63, v72, v63, vcc_lo
	s_delay_alu instid0(VALU_DEP_3) | instskip(NEXT) | instid1(VALU_DEP_2)
	v_cndmask_b32_e32 v61, v62, v61, vcc_lo
	v_lshl_add_u32 v62, v63, 23, 0x3b800000
	s_delay_alu instid0(VALU_DEP_2) | instskip(NEXT) | instid1(VALU_DEP_1)
	v_lshlrev_b32_e32 v61, 20, v61
	v_or3_b32 v62, v17, v62, v61
.LBB6_1986:                             ;   in Loop: Header=BB6_143 Depth=2
	s_or_b32 exec_lo, exec_lo, s26
	s_mov_b32 s11, 0
	s_mov_b32 s27, exec_lo
                                        ; implicit-def: $sgpr26
	v_cmpx_lt_i16_e32 0x7f, v60
	s_xor_b32 s27, exec_lo, s27
	s_cbranch_execnz .LBB6_3017
; %bb.1987:                             ;   in Loop: Header=BB6_143 Depth=2
	s_or_saveexec_b32 s27, s27
	v_mov_b32_e32 v17, s26
	s_xor_b32 exec_lo, exec_lo, s27
	s_cbranch_execnz .LBB6_3020
.LBB6_1988:                             ;   in Loop: Header=BB6_143 Depth=2
	s_or_b32 exec_lo, exec_lo, s27
	s_and_saveexec_b32 s26, s11
	s_cbranch_execz .LBB6_1990
.LBB6_1989:                             ;   in Loop: Header=BB6_143 Depth=2
	v_bfe_u32 v17, v13, 24, 3
	s_delay_alu instid0(VALU_DEP_1) | instskip(NEXT) | instid1(VALU_DEP_1)
	v_clz_i32_u32_e32 v61, v17
	v_min_u32_e32 v61, 32, v61
	s_delay_alu instid0(VALU_DEP_1) | instskip(SKIP_1) | instid1(VALU_DEP_2)
	v_subrev_nc_u32_e32 v63, 28, v61
	v_sub_nc_u32_e32 v61, 29, v61
	v_lshlrev_b32_e32 v60, v63, v60
	v_bfe_u32 v63, v13, 27, 4
	v_and_b32_e32 v13, 0x80000000, v13
	s_delay_alu instid0(VALU_DEP_2) | instskip(NEXT) | instid1(VALU_DEP_4)
	v_cmp_eq_u32_e32 vcc_lo, 0, v63
	v_dual_cndmask_b32 v61, v63, v61 :: v_dual_and_b32 v60, 7, v60
	s_delay_alu instid0(VALU_DEP_1) | instskip(NEXT) | instid1(VALU_DEP_2)
	v_cndmask_b32_e32 v17, v17, v60, vcc_lo
	v_lshl_add_u32 v60, v61, 23, 0x3b800000
	s_delay_alu instid0(VALU_DEP_2) | instskip(NEXT) | instid1(VALU_DEP_1)
	v_lshlrev_b32_e32 v17, 20, v17
	v_or3_b32 v17, v13, v60, v17
.LBB6_1990:                             ;   in Loop: Header=BB6_143 Depth=2
	s_or_b32 exec_lo, exec_lo, s26
	s_delay_alu instid0(VALU_DEP_1) | instskip(SKIP_1) | instid1(VALU_DEP_1)
	v_max_f32_e32 v13, v17, v17
	v_max_f32_e32 v17, v62, v62
	v_min_f32_e32 v62, v17, v13
.LBB6_1991:                             ;   in Loop: Header=BB6_143 Depth=2
	s_delay_alu instid0(VALU_DEP_1) | instskip(NEXT) | instid1(VALU_DEP_1)
	v_and_b32_e32 v13, 0x7f800000, v62
	v_cmp_ne_u32_e32 vcc_lo, 0x7f800000, v13
	v_mov_b32_e32 v13, 0x8000
	s_and_saveexec_b32 s26, vcc_lo
	s_cbranch_execz .LBB6_142
; %bb.1992:                             ;   in Loop: Header=BB6_143 Depth=2
	v_mov_b32_e32 v13, 0
	s_mov_b32 s27, exec_lo
	v_cmpx_ne_u32_e32 0, v62
	s_cbranch_execz .LBB6_141
; %bb.1993:                             ;   in Loop: Header=BB6_143 Depth=2
	v_bfe_u32 v13, v62, 23, 8
	s_delay_alu instid0(VALU_DEP_1) | instskip(SKIP_1) | instid1(VALU_DEP_2)
	v_sub_nc_u32_e32 v60, 0x78, v13
	v_cmp_gt_u32_e32 vcc_lo, 0x79, v13
	v_dual_cndmask_b32 v60, 0, v60 :: v_dual_and_b32 v17, 0x7fffff, v62
	s_delay_alu instid0(VALU_DEP_1) | instskip(SKIP_2) | instid1(VALU_DEP_4)
	v_or_b32_e32 v61, 0x800000, v17
	v_cmp_eq_u32_e32 vcc_lo, 0, v13
	v_add_nc_u32_e32 v13, 0xffffff89, v13
	v_cndmask_b32_e64 v60, v60, 0x77, vcc_lo
	s_delay_alu instid0(VALU_DEP_4) | instskip(NEXT) | instid1(VALU_DEP_3)
	v_cndmask_b32_e32 v17, v61, v17, vcc_lo
	v_cndmask_b32_e64 v13, v13, 0xffffff8a, vcc_lo
	s_delay_alu instid0(VALU_DEP_3) | instskip(NEXT) | instid1(VALU_DEP_3)
	v_lshl_add_u32 v61, 0x100000, v60, -1
	v_lshrrev_b32_e32 v63, v60, v17
	v_lshlrev_b32_e64 v73, v60, 0x80000
	s_delay_alu instid0(VALU_DEP_4) | instskip(NEXT) | instid1(VALU_DEP_4)
	v_add_nc_u32_e32 v60, v60, v13
	v_and_b32_e32 v17, v61, v17
	s_delay_alu instid0(VALU_DEP_4) | instskip(NEXT) | instid1(VALU_DEP_2)
	v_bfe_u32 v72, v63, 20, 1
	v_cmp_eq_u32_e64 s11, v17, v73
	s_delay_alu instid0(VALU_DEP_2) | instskip(NEXT) | instid1(VALU_DEP_1)
	v_add_nc_u32_e32 v61, -1, v72
	v_cndmask_b32_e64 v17, 0, v61, s11
	v_lshrrev_b32_e32 v61, 23, v63
	s_mov_b32 s11, exec_lo
	s_delay_alu instid0(VALU_DEP_2) | instskip(NEXT) | instid1(VALU_DEP_2)
	v_add_nc_u32_e32 v17, v17, v63
	v_xor_b32_e32 v61, 1, v61
	s_delay_alu instid0(VALU_DEP_2) | instskip(NEXT) | instid1(VALU_DEP_1)
	v_and_b32_e32 v13, 0xfffff, v17
	v_add_nc_u32_e32 v17, v13, v63
                                        ; implicit-def: $vgpr13
	s_delay_alu instid0(VALU_DEP_3)
	v_cmpx_ne_u32_e64 v60, v61
	s_xor_b32 s11, exec_lo, s11
; %bb.1994:                             ;   in Loop: Header=BB6_143 Depth=2
	s_delay_alu instid0(VALU_DEP_2) | instskip(SKIP_2) | instid1(VALU_DEP_2)
	v_cmp_lt_u32_e32 vcc_lo, 0xffffff, v17
	v_sub_nc_u32_e32 v13, v60, v61
	v_cndmask_b32_e64 v60, 0, 1, vcc_lo
	v_add_co_ci_u32_e32 v13, vcc_lo, 0, v13, vcc_lo
	s_delay_alu instid0(VALU_DEP_2)
	v_lshrrev_b32_e32 v17, v60, v17
; %bb.1995:                             ;   in Loop: Header=BB6_143 Depth=2
	s_and_not1_saveexec_b32 s11, s11
	s_cbranch_execz .LBB6_140
; %bb.1996:                             ;   in Loop: Header=BB6_143 Depth=2
	s_delay_alu instid0(VALU_DEP_1)
	v_bfe_u32 v13, v17, 23, 1
	s_branch .LBB6_140
.LBB6_1997:                             ;   in Loop: Header=BB6_143 Depth=2
	s_mov_b32 s11, -1
	s_mov_b32 s28, exec_lo
                                        ; implicit-def: $sgpr26
	v_cmpx_eq_u16_e64 0x80, v148
; %bb.1998:                             ;   in Loop: Header=BB6_143 Depth=2
	s_mov_b32 s26, 0x7f800001
	s_xor_b32 s11, exec_lo, -1
; %bb.1999:                             ;   in Loop: Header=BB6_143 Depth=2
	s_or_b32 exec_lo, exec_lo, s28
	s_delay_alu instid0(SALU_CYCLE_1)
	s_and_b32 s11, s11, exec_lo
                                        ; implicit-def: $vgpr148
	s_or_saveexec_b32 s27, s27
	v_mov_b32_e32 v147, s26
	s_xor_b32 exec_lo, exec_lo, s27
	s_cbranch_execz .LBB6_146
.LBB6_2000:                             ;   in Loop: Header=BB6_143 Depth=2
	v_cmp_ne_u16_e64 vcc_lo, 0, v148
	v_mov_b32_e32 v147, 0
	s_and_not1_b32 s11, s11, exec_lo
	s_delay_alu instid0(VALU_DEP_2) | instskip(NEXT) | instid1(SALU_CYCLE_1)
	s_and_b32 s26, vcc_lo, exec_lo
	s_or_b32 s11, s11, s26
	s_or_b32 exec_lo, exec_lo, s27
	s_and_saveexec_b32 s26, s11
	s_cbranch_execnz .LBB6_147
	s_branch .LBB6_148
.LBB6_2001:                             ;   in Loop: Header=BB6_143 Depth=2
	s_mov_b32 s11, -1
	s_mov_b32 s28, exec_lo
                                        ; implicit-def: $sgpr26
	v_cmpx_eq_u16_e64 0x80, v149
; %bb.2002:                             ;   in Loop: Header=BB6_143 Depth=2
	s_mov_b32 s26, 0x7f800001
	s_xor_b32 s11, exec_lo, -1
; %bb.2003:                             ;   in Loop: Header=BB6_143 Depth=2
	s_or_b32 exec_lo, exec_lo, s28
	s_delay_alu instid0(SALU_CYCLE_1)
	s_and_b32 s11, s11, exec_lo
                                        ; implicit-def: $vgpr149
	s_or_saveexec_b32 s27, s27
	v_mov_b32_e32 v148, s26
	s_xor_b32 exec_lo, exec_lo, s27
	s_cbranch_execz .LBB6_150
.LBB6_2004:                             ;   in Loop: Header=BB6_143 Depth=2
	v_cmp_ne_u16_e64 vcc_lo, 0, v149
	v_mov_b32_e32 v148, 0
	s_and_not1_b32 s11, s11, exec_lo
	s_delay_alu instid0(VALU_DEP_2) | instskip(NEXT) | instid1(SALU_CYCLE_1)
	s_and_b32 s26, vcc_lo, exec_lo
	s_or_b32 s11, s11, s26
	s_or_b32 exec_lo, exec_lo, s27
	s_and_saveexec_b32 s26, s11
	s_cbranch_execnz .LBB6_151
	s_branch .LBB6_152
.LBB6_2005:                             ;   in Loop: Header=BB6_143 Depth=2
	s_mov_b32 s11, -1
	s_mov_b32 s28, exec_lo
                                        ; implicit-def: $sgpr26
	v_cmpx_eq_u16_e64 0x80, v148
; %bb.2006:                             ;   in Loop: Header=BB6_143 Depth=2
	s_mov_b32 s26, 0x7f800001
	s_xor_b32 s11, exec_lo, -1
; %bb.2007:                             ;   in Loop: Header=BB6_143 Depth=2
	s_or_b32 exec_lo, exec_lo, s28
	s_delay_alu instid0(SALU_CYCLE_1)
	s_and_b32 s11, s11, exec_lo
                                        ; implicit-def: $vgpr148
	s_or_saveexec_b32 s27, s27
	v_mov_b32_e32 v147, s26
	s_xor_b32 exec_lo, exec_lo, s27
	s_cbranch_execz .LBB6_157
.LBB6_2008:                             ;   in Loop: Header=BB6_143 Depth=2
	v_cmp_ne_u16_e64 vcc_lo, 0, v148
	v_mov_b32_e32 v147, 0
	s_and_not1_b32 s11, s11, exec_lo
	s_delay_alu instid0(VALU_DEP_2) | instskip(NEXT) | instid1(SALU_CYCLE_1)
	s_and_b32 s26, vcc_lo, exec_lo
	s_or_b32 s11, s11, s26
	s_or_b32 exec_lo, exec_lo, s27
	s_and_saveexec_b32 s26, s11
	s_cbranch_execnz .LBB6_158
	s_branch .LBB6_159
.LBB6_2009:                             ;   in Loop: Header=BB6_143 Depth=2
	s_mov_b32 s11, -1
	s_mov_b32 s28, exec_lo
                                        ; implicit-def: $sgpr26
	v_cmpx_eq_u16_e64 0x80, v149
; %bb.2010:                             ;   in Loop: Header=BB6_143 Depth=2
	s_mov_b32 s26, 0x7f800001
	s_xor_b32 s11, exec_lo, -1
; %bb.2011:                             ;   in Loop: Header=BB6_143 Depth=2
	s_or_b32 exec_lo, exec_lo, s28
	s_delay_alu instid0(SALU_CYCLE_1)
	s_and_b32 s11, s11, exec_lo
                                        ; implicit-def: $vgpr149
	s_or_saveexec_b32 s27, s27
	v_mov_b32_e32 v148, s26
	s_xor_b32 exec_lo, exec_lo, s27
	s_cbranch_execz .LBB6_161
.LBB6_2012:                             ;   in Loop: Header=BB6_143 Depth=2
	v_cmp_ne_u16_e64 vcc_lo, 0, v149
	v_mov_b32_e32 v148, 0
	s_and_not1_b32 s11, s11, exec_lo
	s_delay_alu instid0(VALU_DEP_2) | instskip(NEXT) | instid1(SALU_CYCLE_1)
	s_and_b32 s26, vcc_lo, exec_lo
	s_or_b32 s11, s11, s26
	s_or_b32 exec_lo, exec_lo, s27
	s_and_saveexec_b32 s26, s11
	s_cbranch_execnz .LBB6_162
	s_branch .LBB6_163
.LBB6_2013:                             ;   in Loop: Header=BB6_143 Depth=2
	s_mov_b32 s11, -1
	s_mov_b32 s28, exec_lo
                                        ; implicit-def: $sgpr26
	v_cmpx_eq_u16_e64 0x80, v149
; %bb.2014:                             ;   in Loop: Header=BB6_143 Depth=2
	s_mov_b32 s26, 0x7f800001
	s_xor_b32 s11, exec_lo, -1
; %bb.2015:                             ;   in Loop: Header=BB6_143 Depth=2
	s_or_b32 exec_lo, exec_lo, s28
	s_delay_alu instid0(SALU_CYCLE_1)
	s_and_b32 s11, s11, exec_lo
	s_or_saveexec_b32 s27, s27
	v_mov_b32_e32 v150, s26
	s_xor_b32 exec_lo, exec_lo, s27
	s_cbranch_execz .LBB6_175
.LBB6_2016:                             ;   in Loop: Header=BB6_143 Depth=2
	v_cmp_ne_u16_e64 vcc_lo, 0, v149
	v_mov_b32_e32 v150, 0
	s_and_not1_b32 s11, s11, exec_lo
	s_delay_alu instid0(VALU_DEP_2) | instskip(NEXT) | instid1(SALU_CYCLE_1)
	s_and_b32 s26, vcc_lo, exec_lo
	s_or_b32 s11, s11, s26
	s_or_b32 exec_lo, exec_lo, s27
	s_and_saveexec_b32 s26, s11
	s_cbranch_execnz .LBB6_176
	s_branch .LBB6_177
.LBB6_2017:                             ;   in Loop: Header=BB6_143 Depth=2
	s_mov_b32 s11, -1
	s_mov_b32 s28, exec_lo
                                        ; implicit-def: $sgpr26
	v_cmpx_eq_u16_e64 0x80, v148
; %bb.2018:                             ;   in Loop: Header=BB6_143 Depth=2
	s_mov_b32 s26, 0x7f800001
	s_xor_b32 s11, exec_lo, -1
; %bb.2019:                             ;   in Loop: Header=BB6_143 Depth=2
	s_or_b32 exec_lo, exec_lo, s28
	s_delay_alu instid0(SALU_CYCLE_1)
	s_and_b32 s11, s11, exec_lo
	s_or_saveexec_b32 s27, s27
	v_mov_b32_e32 v151, s26
	s_xor_b32 exec_lo, exec_lo, s27
	s_cbranch_execz .LBB6_179
.LBB6_2020:                             ;   in Loop: Header=BB6_143 Depth=2
	v_cmp_ne_u16_e64 vcc_lo, 0, v148
	v_mov_b32_e32 v151, 0
	s_and_not1_b32 s11, s11, exec_lo
	s_delay_alu instid0(VALU_DEP_2) | instskip(NEXT) | instid1(SALU_CYCLE_1)
	s_and_b32 s26, vcc_lo, exec_lo
	s_or_b32 s11, s11, s26
	s_or_b32 exec_lo, exec_lo, s27
	s_and_saveexec_b32 s26, s11
	s_cbranch_execnz .LBB6_180
	s_branch .LBB6_181
.LBB6_2021:                             ;   in Loop: Header=BB6_143 Depth=2
	s_mov_b32 s11, -1
	s_mov_b32 s28, exec_lo
                                        ; implicit-def: $sgpr26
	v_cmpx_eq_u16_e64 0x80, v149
; %bb.2022:                             ;   in Loop: Header=BB6_143 Depth=2
	s_mov_b32 s26, 0x7f800001
	s_xor_b32 s11, exec_lo, -1
; %bb.2023:                             ;   in Loop: Header=BB6_143 Depth=2
	s_or_b32 exec_lo, exec_lo, s28
	s_delay_alu instid0(SALU_CYCLE_1)
	s_and_b32 s11, s11, exec_lo
	s_or_saveexec_b32 s27, s27
	v_mov_b32_e32 v150, s26
	s_xor_b32 exec_lo, exec_lo, s27
	s_cbranch_execz .LBB6_186
.LBB6_2024:                             ;   in Loop: Header=BB6_143 Depth=2
	v_cmp_ne_u16_e64 vcc_lo, 0, v149
	v_mov_b32_e32 v150, 0
	s_and_not1_b32 s11, s11, exec_lo
	s_delay_alu instid0(VALU_DEP_2) | instskip(NEXT) | instid1(SALU_CYCLE_1)
	s_and_b32 s26, vcc_lo, exec_lo
	s_or_b32 s11, s11, s26
	s_or_b32 exec_lo, exec_lo, s27
	s_and_saveexec_b32 s26, s11
	s_cbranch_execnz .LBB6_187
	s_branch .LBB6_188
.LBB6_2025:                             ;   in Loop: Header=BB6_143 Depth=2
	s_mov_b32 s11, -1
	s_mov_b32 s28, exec_lo
                                        ; implicit-def: $sgpr26
	v_cmpx_eq_u16_e64 0x80, v148
; %bb.2026:                             ;   in Loop: Header=BB6_143 Depth=2
	s_mov_b32 s26, 0x7f800001
	s_xor_b32 s11, exec_lo, -1
; %bb.2027:                             ;   in Loop: Header=BB6_143 Depth=2
	s_or_b32 exec_lo, exec_lo, s28
	s_delay_alu instid0(SALU_CYCLE_1)
	s_and_b32 s11, s11, exec_lo
	s_or_saveexec_b32 s27, s27
	v_mov_b32_e32 v149, s26
	s_xor_b32 exec_lo, exec_lo, s27
	s_cbranch_execz .LBB6_190
.LBB6_2028:                             ;   in Loop: Header=BB6_143 Depth=2
	v_cmp_ne_u16_e64 vcc_lo, 0, v148
	v_mov_b32_e32 v149, 0
	s_and_not1_b32 s11, s11, exec_lo
	s_delay_alu instid0(VALU_DEP_2) | instskip(NEXT) | instid1(SALU_CYCLE_1)
	s_and_b32 s26, vcc_lo, exec_lo
	s_or_b32 s11, s11, s26
	s_or_b32 exec_lo, exec_lo, s27
	s_and_saveexec_b32 s26, s11
	s_cbranch_execnz .LBB6_191
	s_branch .LBB6_192
.LBB6_2029:                             ;   in Loop: Header=BB6_143 Depth=2
	s_mov_b32 s11, -1
	s_mov_b32 s28, exec_lo
                                        ; implicit-def: $sgpr26
	v_cmpx_eq_u16_e64 0x80, v160
; %bb.2030:                             ;   in Loop: Header=BB6_143 Depth=2
	s_mov_b32 s26, 0x7f800001
	s_xor_b32 s11, exec_lo, -1
; %bb.2031:                             ;   in Loop: Header=BB6_143 Depth=2
	s_or_b32 exec_lo, exec_lo, s28
	s_delay_alu instid0(SALU_CYCLE_1)
	s_and_b32 s11, s11, exec_lo
                                        ; implicit-def: $vgpr160
	s_or_saveexec_b32 s27, s27
	v_mov_b32_e32 v151, s26
	s_xor_b32 exec_lo, exec_lo, s27
	s_cbranch_execz .LBB6_204
.LBB6_2032:                             ;   in Loop: Header=BB6_143 Depth=2
	v_cmp_ne_u16_e64 vcc_lo, 0, v160
	v_mov_b32_e32 v151, 0
	s_and_not1_b32 s11, s11, exec_lo
	s_delay_alu instid0(VALU_DEP_2) | instskip(NEXT) | instid1(SALU_CYCLE_1)
	s_and_b32 s26, vcc_lo, exec_lo
	s_or_b32 s11, s11, s26
	s_or_b32 exec_lo, exec_lo, s27
	s_and_saveexec_b32 s26, s11
	s_cbranch_execnz .LBB6_205
	s_branch .LBB6_206
.LBB6_2033:                             ;   in Loop: Header=BB6_143 Depth=2
	s_mov_b32 s11, -1
	s_mov_b32 s28, exec_lo
                                        ; implicit-def: $sgpr26
	v_cmpx_eq_u16_e64 0x80, v161
; %bb.2034:                             ;   in Loop: Header=BB6_143 Depth=2
	s_mov_b32 s26, 0x7f800001
	s_xor_b32 s11, exec_lo, -1
; %bb.2035:                             ;   in Loop: Header=BB6_143 Depth=2
	s_or_b32 exec_lo, exec_lo, s28
	s_delay_alu instid0(SALU_CYCLE_1)
	s_and_b32 s11, s11, exec_lo
                                        ; implicit-def: $vgpr161
	s_or_saveexec_b32 s27, s27
	v_mov_b32_e32 v160, s26
	s_xor_b32 exec_lo, exec_lo, s27
	s_cbranch_execz .LBB6_208
.LBB6_2036:                             ;   in Loop: Header=BB6_143 Depth=2
	v_cmp_ne_u16_e64 vcc_lo, 0, v161
	v_mov_b32_e32 v160, 0
	s_and_not1_b32 s11, s11, exec_lo
	s_delay_alu instid0(VALU_DEP_2) | instskip(NEXT) | instid1(SALU_CYCLE_1)
	s_and_b32 s26, vcc_lo, exec_lo
	s_or_b32 s11, s11, s26
	s_or_b32 exec_lo, exec_lo, s27
	s_and_saveexec_b32 s26, s11
	s_cbranch_execnz .LBB6_209
	s_branch .LBB6_210
.LBB6_2037:                             ;   in Loop: Header=BB6_143 Depth=2
	s_mov_b32 s11, -1
	s_mov_b32 s28, exec_lo
                                        ; implicit-def: $sgpr26
	v_cmpx_eq_u16_e64 0x80, v160
; %bb.2038:                             ;   in Loop: Header=BB6_143 Depth=2
	s_mov_b32 s26, 0x7f800001
	s_xor_b32 s11, exec_lo, -1
; %bb.2039:                             ;   in Loop: Header=BB6_143 Depth=2
	s_or_b32 exec_lo, exec_lo, s28
	s_delay_alu instid0(SALU_CYCLE_1)
	s_and_b32 s11, s11, exec_lo
                                        ; implicit-def: $vgpr160
	s_or_saveexec_b32 s27, s27
	v_mov_b32_e32 v151, s26
	s_xor_b32 exec_lo, exec_lo, s27
	s_cbranch_execz .LBB6_215
.LBB6_2040:                             ;   in Loop: Header=BB6_143 Depth=2
	v_cmp_ne_u16_e64 vcc_lo, 0, v160
	v_mov_b32_e32 v151, 0
	s_and_not1_b32 s11, s11, exec_lo
	s_delay_alu instid0(VALU_DEP_2) | instskip(NEXT) | instid1(SALU_CYCLE_1)
	s_and_b32 s26, vcc_lo, exec_lo
	s_or_b32 s11, s11, s26
	s_or_b32 exec_lo, exec_lo, s27
	s_and_saveexec_b32 s26, s11
	s_cbranch_execnz .LBB6_216
	s_branch .LBB6_217
.LBB6_2041:                             ;   in Loop: Header=BB6_143 Depth=2
	s_mov_b32 s11, -1
	s_mov_b32 s28, exec_lo
                                        ; implicit-def: $sgpr26
	v_cmpx_eq_u16_e64 0x80, v160
; %bb.2042:                             ;   in Loop: Header=BB6_143 Depth=2
	s_mov_b32 s26, 0x7f800001
	s_xor_b32 s11, exec_lo, -1
; %bb.2043:                             ;   in Loop: Header=BB6_143 Depth=2
	s_or_b32 exec_lo, exec_lo, s28
	s_delay_alu instid0(SALU_CYCLE_1)
	s_and_b32 s11, s11, exec_lo
                                        ; implicit-def: $vgpr160
	s_or_saveexec_b32 s27, s27
	v_mov_b32_e32 v150, s26
	s_xor_b32 exec_lo, exec_lo, s27
	s_cbranch_execz .LBB6_219
.LBB6_2044:                             ;   in Loop: Header=BB6_143 Depth=2
	v_cmp_ne_u16_e64 vcc_lo, 0, v160
	v_mov_b32_e32 v150, 0
	s_and_not1_b32 s11, s11, exec_lo
	s_delay_alu instid0(VALU_DEP_2) | instskip(NEXT) | instid1(SALU_CYCLE_1)
	s_and_b32 s26, vcc_lo, exec_lo
	s_or_b32 s11, s11, s26
	s_or_b32 exec_lo, exec_lo, s27
	s_and_saveexec_b32 s26, s11
	s_cbranch_execnz .LBB6_220
	s_branch .LBB6_221
.LBB6_2045:                             ;   in Loop: Header=BB6_143 Depth=2
	s_mov_b32 s11, -1
	s_mov_b32 s28, exec_lo
                                        ; implicit-def: $sgpr26
	v_cmpx_eq_u16_e64 0x80, v151
; %bb.2046:                             ;   in Loop: Header=BB6_143 Depth=2
	s_mov_b32 s26, 0x7f800001
	s_xor_b32 s11, exec_lo, -1
; %bb.2047:                             ;   in Loop: Header=BB6_143 Depth=2
	s_or_b32 exec_lo, exec_lo, s28
	s_delay_alu instid0(SALU_CYCLE_1)
	s_and_b32 s11, s11, exec_lo
	s_or_saveexec_b32 s27, s27
	v_mov_b32_e32 v160, s26
	s_xor_b32 exec_lo, exec_lo, s27
	s_cbranch_execz .LBB6_233
.LBB6_2048:                             ;   in Loop: Header=BB6_143 Depth=2
	v_cmp_ne_u16_e64 vcc_lo, 0, v151
	v_mov_b32_e32 v160, 0
	s_and_not1_b32 s11, s11, exec_lo
	s_delay_alu instid0(VALU_DEP_2) | instskip(NEXT) | instid1(SALU_CYCLE_1)
	s_and_b32 s26, vcc_lo, exec_lo
	s_or_b32 s11, s11, s26
	s_or_b32 exec_lo, exec_lo, s27
	s_and_saveexec_b32 s26, s11
	s_cbranch_execnz .LBB6_234
	s_branch .LBB6_235
.LBB6_2049:                             ;   in Loop: Header=BB6_143 Depth=2
	s_mov_b32 s11, -1
	s_mov_b32 s28, exec_lo
                                        ; implicit-def: $sgpr26
	v_cmpx_eq_u16_e64 0x80, v150
; %bb.2050:                             ;   in Loop: Header=BB6_143 Depth=2
	s_mov_b32 s26, 0x7f800001
	s_xor_b32 s11, exec_lo, -1
; %bb.2051:                             ;   in Loop: Header=BB6_143 Depth=2
	s_or_b32 exec_lo, exec_lo, s28
	s_delay_alu instid0(SALU_CYCLE_1)
	s_and_b32 s11, s11, exec_lo
	s_or_saveexec_b32 s27, s27
	v_mov_b32_e32 v161, s26
	s_xor_b32 exec_lo, exec_lo, s27
	s_cbranch_execz .LBB6_237
.LBB6_2052:                             ;   in Loop: Header=BB6_143 Depth=2
	v_cmp_ne_u16_e64 vcc_lo, 0, v150
	v_mov_b32_e32 v161, 0
	s_and_not1_b32 s11, s11, exec_lo
	s_delay_alu instid0(VALU_DEP_2) | instskip(NEXT) | instid1(SALU_CYCLE_1)
	s_and_b32 s26, vcc_lo, exec_lo
	s_or_b32 s11, s11, s26
	s_or_b32 exec_lo, exec_lo, s27
	s_and_saveexec_b32 s26, s11
	s_cbranch_execnz .LBB6_238
	s_branch .LBB6_239
.LBB6_2053:                             ;   in Loop: Header=BB6_143 Depth=2
	s_mov_b32 s11, -1
	s_mov_b32 s28, exec_lo
                                        ; implicit-def: $sgpr26
	v_cmpx_eq_u16_e64 0x80, v151
; %bb.2054:                             ;   in Loop: Header=BB6_143 Depth=2
	s_mov_b32 s26, 0x7f800001
	s_xor_b32 s11, exec_lo, -1
; %bb.2055:                             ;   in Loop: Header=BB6_143 Depth=2
	s_or_b32 exec_lo, exec_lo, s28
	s_delay_alu instid0(SALU_CYCLE_1)
	s_and_b32 s11, s11, exec_lo
	s_or_saveexec_b32 s27, s27
	v_mov_b32_e32 v160, s26
	s_xor_b32 exec_lo, exec_lo, s27
	s_cbranch_execz .LBB6_244
.LBB6_2056:                             ;   in Loop: Header=BB6_143 Depth=2
	v_cmp_ne_u16_e64 vcc_lo, 0, v151
	v_mov_b32_e32 v160, 0
	s_and_not1_b32 s11, s11, exec_lo
	s_delay_alu instid0(VALU_DEP_2) | instskip(NEXT) | instid1(SALU_CYCLE_1)
	s_and_b32 s26, vcc_lo, exec_lo
	s_or_b32 s11, s11, s26
	s_or_b32 exec_lo, exec_lo, s27
	s_and_saveexec_b32 s26, s11
	s_cbranch_execnz .LBB6_245
	s_branch .LBB6_246
.LBB6_2057:                             ;   in Loop: Header=BB6_143 Depth=2
	s_mov_b32 s11, -1
	s_mov_b32 s28, exec_lo
                                        ; implicit-def: $sgpr26
	v_cmpx_eq_u16_e64 0x80, v150
; %bb.2058:                             ;   in Loop: Header=BB6_143 Depth=2
	s_mov_b32 s26, 0x7f800001
	s_xor_b32 s11, exec_lo, -1
; %bb.2059:                             ;   in Loop: Header=BB6_143 Depth=2
	s_or_b32 exec_lo, exec_lo, s28
	s_delay_alu instid0(SALU_CYCLE_1)
	s_and_b32 s11, s11, exec_lo
	s_or_saveexec_b32 s27, s27
	v_mov_b32_e32 v48, s26
	s_xor_b32 exec_lo, exec_lo, s27
	s_cbranch_execz .LBB6_248
.LBB6_2060:                             ;   in Loop: Header=BB6_143 Depth=2
	v_cmp_ne_u16_e64 vcc_lo, 0, v150
	v_mov_b32_e32 v48, 0
	s_and_not1_b32 s11, s11, exec_lo
	s_delay_alu instid0(VALU_DEP_2) | instskip(NEXT) | instid1(SALU_CYCLE_1)
	s_and_b32 s26, vcc_lo, exec_lo
	s_or_b32 s11, s11, s26
	s_or_b32 exec_lo, exec_lo, s27
	s_and_saveexec_b32 s26, s11
	s_cbranch_execnz .LBB6_249
	s_branch .LBB6_250
.LBB6_2061:                             ;   in Loop: Header=BB6_143 Depth=2
	s_mov_b32 s11, -1
	s_mov_b32 s28, exec_lo
                                        ; implicit-def: $sgpr26
	v_cmpx_eq_u16_e64 0x80, v150
; %bb.2062:                             ;   in Loop: Header=BB6_143 Depth=2
	s_mov_b32 s26, 0x7f800001
	s_xor_b32 s11, exec_lo, -1
; %bb.2063:                             ;   in Loop: Header=BB6_143 Depth=2
	s_or_b32 exec_lo, exec_lo, s28
	s_delay_alu instid0(SALU_CYCLE_1)
	s_and_b32 s11, s11, exec_lo
                                        ; implicit-def: $vgpr150
	s_or_saveexec_b32 s27, s27
	v_mov_b32_e32 v48, s26
	s_xor_b32 exec_lo, exec_lo, s27
	s_cbranch_execz .LBB6_262
.LBB6_2064:                             ;   in Loop: Header=BB6_143 Depth=2
	v_cmp_ne_u16_e64 vcc_lo, 0, v150
	v_mov_b32_e32 v48, 0
	s_and_not1_b32 s11, s11, exec_lo
	s_delay_alu instid0(VALU_DEP_2) | instskip(NEXT) | instid1(SALU_CYCLE_1)
	s_and_b32 s26, vcc_lo, exec_lo
	s_or_b32 s11, s11, s26
	s_or_b32 exec_lo, exec_lo, s27
	s_and_saveexec_b32 s26, s11
	s_cbranch_execnz .LBB6_263
	s_branch .LBB6_264
.LBB6_2065:                             ;   in Loop: Header=BB6_143 Depth=2
	s_mov_b32 s11, -1
	s_mov_b32 s28, exec_lo
                                        ; implicit-def: $sgpr26
	v_cmpx_eq_u16_e64 0x80, v151
; %bb.2066:                             ;   in Loop: Header=BB6_143 Depth=2
	s_mov_b32 s26, 0x7f800001
	s_xor_b32 s11, exec_lo, -1
; %bb.2067:                             ;   in Loop: Header=BB6_143 Depth=2
	s_or_b32 exec_lo, exec_lo, s28
	s_delay_alu instid0(SALU_CYCLE_1)
	s_and_b32 s11, s11, exec_lo
                                        ; implicit-def: $vgpr151
	s_or_saveexec_b32 s27, s27
	v_mov_b32_e32 v150, s26
	s_xor_b32 exec_lo, exec_lo, s27
	s_cbranch_execz .LBB6_266
.LBB6_2068:                             ;   in Loop: Header=BB6_143 Depth=2
	v_cmp_ne_u16_e64 vcc_lo, 0, v151
	v_mov_b32_e32 v150, 0
	s_and_not1_b32 s11, s11, exec_lo
	s_delay_alu instid0(VALU_DEP_2) | instskip(NEXT) | instid1(SALU_CYCLE_1)
	s_and_b32 s26, vcc_lo, exec_lo
	s_or_b32 s11, s11, s26
	s_or_b32 exec_lo, exec_lo, s27
	s_and_saveexec_b32 s26, s11
	s_cbranch_execnz .LBB6_267
	s_branch .LBB6_268
.LBB6_2069:                             ;   in Loop: Header=BB6_143 Depth=2
	s_mov_b32 s11, -1
	s_mov_b32 s28, exec_lo
                                        ; implicit-def: $sgpr26
	v_cmpx_eq_u16_e64 0x80, v150
; %bb.2070:                             ;   in Loop: Header=BB6_143 Depth=2
	s_mov_b32 s26, 0x7f800001
	s_xor_b32 s11, exec_lo, -1
; %bb.2071:                             ;   in Loop: Header=BB6_143 Depth=2
	s_or_b32 exec_lo, exec_lo, s28
	s_delay_alu instid0(SALU_CYCLE_1)
	s_and_b32 s11, s11, exec_lo
                                        ; implicit-def: $vgpr150
	s_or_saveexec_b32 s27, s27
	v_mov_b32_e32 v48, s26
	s_xor_b32 exec_lo, exec_lo, s27
	s_cbranch_execz .LBB6_273
.LBB6_2072:                             ;   in Loop: Header=BB6_143 Depth=2
	v_cmp_ne_u16_e64 vcc_lo, 0, v150
	v_mov_b32_e32 v48, 0
	s_and_not1_b32 s11, s11, exec_lo
	s_delay_alu instid0(VALU_DEP_2) | instskip(NEXT) | instid1(SALU_CYCLE_1)
	s_and_b32 s26, vcc_lo, exec_lo
	s_or_b32 s11, s11, s26
	s_or_b32 exec_lo, exec_lo, s27
	s_and_saveexec_b32 s26, s11
	s_cbranch_execnz .LBB6_274
	s_branch .LBB6_275
.LBB6_2073:                             ;   in Loop: Header=BB6_143 Depth=2
	s_mov_b32 s11, -1
	s_mov_b32 s28, exec_lo
                                        ; implicit-def: $sgpr26
	v_cmpx_eq_u16_e64 0x80, v151
; %bb.2074:                             ;   in Loop: Header=BB6_143 Depth=2
	s_mov_b32 s26, 0x7f800001
	s_xor_b32 s11, exec_lo, -1
; %bb.2075:                             ;   in Loop: Header=BB6_143 Depth=2
	s_or_b32 exec_lo, exec_lo, s28
	s_delay_alu instid0(SALU_CYCLE_1)
	s_and_b32 s11, s11, exec_lo
                                        ; implicit-def: $vgpr151
	s_or_saveexec_b32 s27, s27
	v_mov_b32_e32 v150, s26
	s_xor_b32 exec_lo, exec_lo, s27
	s_cbranch_execz .LBB6_277
.LBB6_2076:                             ;   in Loop: Header=BB6_143 Depth=2
	v_cmp_ne_u16_e64 vcc_lo, 0, v151
	v_mov_b32_e32 v150, 0
	s_and_not1_b32 s11, s11, exec_lo
	s_delay_alu instid0(VALU_DEP_2) | instskip(NEXT) | instid1(SALU_CYCLE_1)
	s_and_b32 s26, vcc_lo, exec_lo
	s_or_b32 s11, s11, s26
	s_or_b32 exec_lo, exec_lo, s27
	s_and_saveexec_b32 s26, s11
	s_cbranch_execnz .LBB6_278
	s_branch .LBB6_279
.LBB6_2077:                             ;   in Loop: Header=BB6_143 Depth=2
	s_mov_b32 s11, -1
	s_mov_b32 s28, exec_lo
                                        ; implicit-def: $sgpr26
	v_cmpx_eq_u16_e64 0x80, v151
; %bb.2078:                             ;   in Loop: Header=BB6_143 Depth=2
	s_mov_b32 s26, 0x7f800001
	s_xor_b32 s11, exec_lo, -1
; %bb.2079:                             ;   in Loop: Header=BB6_143 Depth=2
	s_or_b32 exec_lo, exec_lo, s28
	s_delay_alu instid0(SALU_CYCLE_1)
	s_and_b32 s11, s11, exec_lo
	s_or_saveexec_b32 s27, s27
	v_mov_b32_e32 v160, s26
	s_xor_b32 exec_lo, exec_lo, s27
	s_cbranch_execz .LBB6_291
.LBB6_2080:                             ;   in Loop: Header=BB6_143 Depth=2
	v_cmp_ne_u16_e64 vcc_lo, 0, v151
	v_mov_b32_e32 v160, 0
	s_and_not1_b32 s11, s11, exec_lo
	s_delay_alu instid0(VALU_DEP_2) | instskip(NEXT) | instid1(SALU_CYCLE_1)
	s_and_b32 s26, vcc_lo, exec_lo
	s_or_b32 s11, s11, s26
	s_or_b32 exec_lo, exec_lo, s27
	s_and_saveexec_b32 s26, s11
	s_cbranch_execnz .LBB6_292
	s_branch .LBB6_293
.LBB6_2081:                             ;   in Loop: Header=BB6_143 Depth=2
	s_mov_b32 s11, -1
	s_mov_b32 s28, exec_lo
                                        ; implicit-def: $sgpr26
	v_cmpx_eq_u16_e64 0x80, v150
; %bb.2082:                             ;   in Loop: Header=BB6_143 Depth=2
	s_mov_b32 s26, 0x7f800001
	s_xor_b32 s11, exec_lo, -1
; %bb.2083:                             ;   in Loop: Header=BB6_143 Depth=2
	s_or_b32 exec_lo, exec_lo, s28
	s_delay_alu instid0(SALU_CYCLE_1)
	s_and_b32 s11, s11, exec_lo
	s_or_saveexec_b32 s27, s27
	v_mov_b32_e32 v161, s26
	s_xor_b32 exec_lo, exec_lo, s27
	s_cbranch_execz .LBB6_295
.LBB6_2084:                             ;   in Loop: Header=BB6_143 Depth=2
	v_cmp_ne_u16_e64 vcc_lo, 0, v150
	v_mov_b32_e32 v161, 0
	s_and_not1_b32 s11, s11, exec_lo
	s_delay_alu instid0(VALU_DEP_2) | instskip(NEXT) | instid1(SALU_CYCLE_1)
	s_and_b32 s26, vcc_lo, exec_lo
	s_or_b32 s11, s11, s26
	s_or_b32 exec_lo, exec_lo, s27
	s_and_saveexec_b32 s26, s11
	s_cbranch_execnz .LBB6_296
	s_branch .LBB6_297
.LBB6_2085:                             ;   in Loop: Header=BB6_143 Depth=2
	s_mov_b32 s11, -1
	s_mov_b32 s28, exec_lo
                                        ; implicit-def: $sgpr26
	v_cmpx_eq_u16_e64 0x80, v151
; %bb.2086:                             ;   in Loop: Header=BB6_143 Depth=2
	s_mov_b32 s26, 0x7f800001
	s_xor_b32 s11, exec_lo, -1
; %bb.2087:                             ;   in Loop: Header=BB6_143 Depth=2
	s_or_b32 exec_lo, exec_lo, s28
	s_delay_alu instid0(SALU_CYCLE_1)
	s_and_b32 s11, s11, exec_lo
	s_or_saveexec_b32 s27, s27
	v_mov_b32_e32 v160, s26
	s_xor_b32 exec_lo, exec_lo, s27
	s_cbranch_execz .LBB6_302
.LBB6_2088:                             ;   in Loop: Header=BB6_143 Depth=2
	v_cmp_ne_u16_e64 vcc_lo, 0, v151
	v_mov_b32_e32 v160, 0
	s_and_not1_b32 s11, s11, exec_lo
	s_delay_alu instid0(VALU_DEP_2) | instskip(NEXT) | instid1(SALU_CYCLE_1)
	s_and_b32 s26, vcc_lo, exec_lo
	s_or_b32 s11, s11, s26
	s_or_b32 exec_lo, exec_lo, s27
	s_and_saveexec_b32 s26, s11
	s_cbranch_execnz .LBB6_303
	s_branch .LBB6_304
.LBB6_2089:                             ;   in Loop: Header=BB6_143 Depth=2
	s_mov_b32 s11, -1
	s_mov_b32 s28, exec_lo
                                        ; implicit-def: $sgpr26
	v_cmpx_eq_u16_e64 0x80, v150
; %bb.2090:                             ;   in Loop: Header=BB6_143 Depth=2
	s_mov_b32 s26, 0x7f800001
	s_xor_b32 s11, exec_lo, -1
; %bb.2091:                             ;   in Loop: Header=BB6_143 Depth=2
	s_or_b32 exec_lo, exec_lo, s28
	s_delay_alu instid0(SALU_CYCLE_1)
	s_and_b32 s11, s11, exec_lo
	s_or_saveexec_b32 s27, s27
	v_mov_b32_e32 v151, s26
	s_xor_b32 exec_lo, exec_lo, s27
	s_cbranch_execz .LBB6_306
.LBB6_2092:                             ;   in Loop: Header=BB6_143 Depth=2
	v_cmp_ne_u16_e64 vcc_lo, 0, v150
	v_mov_b32_e32 v151, 0
	s_and_not1_b32 s11, s11, exec_lo
	s_delay_alu instid0(VALU_DEP_2) | instskip(NEXT) | instid1(SALU_CYCLE_1)
	s_and_b32 s26, vcc_lo, exec_lo
	s_or_b32 s11, s11, s26
	s_or_b32 exec_lo, exec_lo, s27
	s_and_saveexec_b32 s26, s11
	s_cbranch_execnz .LBB6_307
	s_branch .LBB6_308
.LBB6_2093:                             ;   in Loop: Header=BB6_143 Depth=2
	s_mov_b32 s11, -1
	s_mov_b32 s28, exec_lo
                                        ; implicit-def: $sgpr26
	v_cmpx_eq_u16_e64 0x80, v162
; %bb.2094:                             ;   in Loop: Header=BB6_143 Depth=2
	s_mov_b32 s26, 0x7f800001
	s_xor_b32 s11, exec_lo, -1
; %bb.2095:                             ;   in Loop: Header=BB6_143 Depth=2
	s_or_b32 exec_lo, exec_lo, s28
	s_delay_alu instid0(SALU_CYCLE_1)
	s_and_b32 s11, s11, exec_lo
                                        ; implicit-def: $vgpr162
	s_or_saveexec_b32 s27, s27
	v_mov_b32_e32 v161, s26
	s_xor_b32 exec_lo, exec_lo, s27
	s_cbranch_execz .LBB6_320
.LBB6_2096:                             ;   in Loop: Header=BB6_143 Depth=2
	v_cmp_ne_u16_e64 vcc_lo, 0, v162
	v_mov_b32_e32 v161, 0
	s_and_not1_b32 s11, s11, exec_lo
	s_delay_alu instid0(VALU_DEP_2) | instskip(NEXT) | instid1(SALU_CYCLE_1)
	s_and_b32 s26, vcc_lo, exec_lo
	s_or_b32 s11, s11, s26
	s_or_b32 exec_lo, exec_lo, s27
	s_and_saveexec_b32 s26, s11
	s_cbranch_execnz .LBB6_321
	s_branch .LBB6_322
.LBB6_2097:                             ;   in Loop: Header=BB6_143 Depth=2
	s_mov_b32 s11, -1
	s_mov_b32 s28, exec_lo
                                        ; implicit-def: $sgpr26
	v_cmpx_eq_u16_e64 0x80, v163
; %bb.2098:                             ;   in Loop: Header=BB6_143 Depth=2
	s_mov_b32 s26, 0x7f800001
	s_xor_b32 s11, exec_lo, -1
; %bb.2099:                             ;   in Loop: Header=BB6_143 Depth=2
	s_or_b32 exec_lo, exec_lo, s28
	s_delay_alu instid0(SALU_CYCLE_1)
	s_and_b32 s11, s11, exec_lo
                                        ; implicit-def: $vgpr163
	s_or_saveexec_b32 s27, s27
	v_mov_b32_e32 v162, s26
	s_xor_b32 exec_lo, exec_lo, s27
	s_cbranch_execz .LBB6_324
.LBB6_2100:                             ;   in Loop: Header=BB6_143 Depth=2
	v_cmp_ne_u16_e64 vcc_lo, 0, v163
	v_mov_b32_e32 v162, 0
	s_and_not1_b32 s11, s11, exec_lo
	s_delay_alu instid0(VALU_DEP_2) | instskip(NEXT) | instid1(SALU_CYCLE_1)
	s_and_b32 s26, vcc_lo, exec_lo
	s_or_b32 s11, s11, s26
	s_or_b32 exec_lo, exec_lo, s27
	s_and_saveexec_b32 s26, s11
	s_cbranch_execnz .LBB6_325
	s_branch .LBB6_326
.LBB6_2101:                             ;   in Loop: Header=BB6_143 Depth=2
	s_mov_b32 s11, -1
	s_mov_b32 s28, exec_lo
                                        ; implicit-def: $sgpr26
	v_cmpx_eq_u16_e64 0x80, v162
; %bb.2102:                             ;   in Loop: Header=BB6_143 Depth=2
	s_mov_b32 s26, 0x7f800001
	s_xor_b32 s11, exec_lo, -1
; %bb.2103:                             ;   in Loop: Header=BB6_143 Depth=2
	s_or_b32 exec_lo, exec_lo, s28
	s_delay_alu instid0(SALU_CYCLE_1)
	s_and_b32 s11, s11, exec_lo
                                        ; implicit-def: $vgpr162
	s_or_saveexec_b32 s27, s27
	v_mov_b32_e32 v161, s26
	s_xor_b32 exec_lo, exec_lo, s27
	s_cbranch_execz .LBB6_331
.LBB6_2104:                             ;   in Loop: Header=BB6_143 Depth=2
	v_cmp_ne_u16_e64 vcc_lo, 0, v162
	v_mov_b32_e32 v161, 0
	s_and_not1_b32 s11, s11, exec_lo
	s_delay_alu instid0(VALU_DEP_2) | instskip(NEXT) | instid1(SALU_CYCLE_1)
	s_and_b32 s26, vcc_lo, exec_lo
	s_or_b32 s11, s11, s26
	s_or_b32 exec_lo, exec_lo, s27
	s_and_saveexec_b32 s26, s11
	s_cbranch_execnz .LBB6_332
	s_branch .LBB6_333
.LBB6_2105:                             ;   in Loop: Header=BB6_143 Depth=2
	s_mov_b32 s11, -1
	s_mov_b32 s28, exec_lo
                                        ; implicit-def: $sgpr26
	v_cmpx_eq_u16_e64 0x80, v162
; %bb.2106:                             ;   in Loop: Header=BB6_143 Depth=2
	s_mov_b32 s26, 0x7f800001
	s_xor_b32 s11, exec_lo, -1
; %bb.2107:                             ;   in Loop: Header=BB6_143 Depth=2
	s_or_b32 exec_lo, exec_lo, s28
	s_delay_alu instid0(SALU_CYCLE_1)
	s_and_b32 s11, s11, exec_lo
                                        ; implicit-def: $vgpr162
	s_or_saveexec_b32 s27, s27
	v_mov_b32_e32 v160, s26
	s_xor_b32 exec_lo, exec_lo, s27
	s_cbranch_execz .LBB6_335
.LBB6_2108:                             ;   in Loop: Header=BB6_143 Depth=2
	v_cmp_ne_u16_e64 vcc_lo, 0, v162
	v_mov_b32_e32 v160, 0
	s_and_not1_b32 s11, s11, exec_lo
	s_delay_alu instid0(VALU_DEP_2) | instskip(NEXT) | instid1(SALU_CYCLE_1)
	s_and_b32 s26, vcc_lo, exec_lo
	s_or_b32 s11, s11, s26
	s_or_b32 exec_lo, exec_lo, s27
	s_and_saveexec_b32 s26, s11
	s_cbranch_execnz .LBB6_336
	s_branch .LBB6_337
.LBB6_2109:                             ;   in Loop: Header=BB6_143 Depth=2
	s_mov_b32 s11, -1
	s_mov_b32 s28, exec_lo
                                        ; implicit-def: $sgpr26
	v_cmpx_eq_u16_e64 0x80, v161
; %bb.2110:                             ;   in Loop: Header=BB6_143 Depth=2
	s_mov_b32 s26, 0x7f800001
	s_xor_b32 s11, exec_lo, -1
; %bb.2111:                             ;   in Loop: Header=BB6_143 Depth=2
	s_or_b32 exec_lo, exec_lo, s28
	s_delay_alu instid0(SALU_CYCLE_1)
	s_and_b32 s11, s11, exec_lo
	s_or_saveexec_b32 s27, s27
	v_mov_b32_e32 v162, s26
	s_xor_b32 exec_lo, exec_lo, s27
	s_cbranch_execz .LBB6_349
.LBB6_2112:                             ;   in Loop: Header=BB6_143 Depth=2
	v_cmp_ne_u16_e64 vcc_lo, 0, v161
	v_mov_b32_e32 v162, 0
	s_and_not1_b32 s11, s11, exec_lo
	s_delay_alu instid0(VALU_DEP_2) | instskip(NEXT) | instid1(SALU_CYCLE_1)
	s_and_b32 s26, vcc_lo, exec_lo
	s_or_b32 s11, s11, s26
	s_or_b32 exec_lo, exec_lo, s27
	s_and_saveexec_b32 s26, s11
	s_cbranch_execnz .LBB6_350
	s_branch .LBB6_351
.LBB6_2113:                             ;   in Loop: Header=BB6_143 Depth=2
	s_mov_b32 s11, -1
	s_mov_b32 s28, exec_lo
                                        ; implicit-def: $sgpr26
	v_cmpx_eq_u16_e64 0x80, v160
; %bb.2114:                             ;   in Loop: Header=BB6_143 Depth=2
	s_mov_b32 s26, 0x7f800001
	s_xor_b32 s11, exec_lo, -1
; %bb.2115:                             ;   in Loop: Header=BB6_143 Depth=2
	s_or_b32 exec_lo, exec_lo, s28
	s_delay_alu instid0(SALU_CYCLE_1)
	s_and_b32 s11, s11, exec_lo
	s_or_saveexec_b32 s27, s27
	v_mov_b32_e32 v163, s26
	s_xor_b32 exec_lo, exec_lo, s27
	s_cbranch_execz .LBB6_353
.LBB6_2116:                             ;   in Loop: Header=BB6_143 Depth=2
	v_cmp_ne_u16_e64 vcc_lo, 0, v160
	v_mov_b32_e32 v163, 0
	s_and_not1_b32 s11, s11, exec_lo
	s_delay_alu instid0(VALU_DEP_2) | instskip(NEXT) | instid1(SALU_CYCLE_1)
	s_and_b32 s26, vcc_lo, exec_lo
	s_or_b32 s11, s11, s26
	s_or_b32 exec_lo, exec_lo, s27
	s_and_saveexec_b32 s26, s11
	s_cbranch_execnz .LBB6_354
	s_branch .LBB6_355
.LBB6_2117:                             ;   in Loop: Header=BB6_143 Depth=2
	s_mov_b32 s11, -1
	s_mov_b32 s28, exec_lo
                                        ; implicit-def: $sgpr26
	v_cmpx_eq_u16_e64 0x80, v161
; %bb.2118:                             ;   in Loop: Header=BB6_143 Depth=2
	s_mov_b32 s26, 0x7f800001
	s_xor_b32 s11, exec_lo, -1
; %bb.2119:                             ;   in Loop: Header=BB6_143 Depth=2
	s_or_b32 exec_lo, exec_lo, s28
	s_delay_alu instid0(SALU_CYCLE_1)
	s_and_b32 s11, s11, exec_lo
	s_or_saveexec_b32 s27, s27
	v_mov_b32_e32 v162, s26
	s_xor_b32 exec_lo, exec_lo, s27
	s_cbranch_execz .LBB6_360
.LBB6_2120:                             ;   in Loop: Header=BB6_143 Depth=2
	v_cmp_ne_u16_e64 vcc_lo, 0, v161
	v_mov_b32_e32 v162, 0
	s_and_not1_b32 s11, s11, exec_lo
	s_delay_alu instid0(VALU_DEP_2) | instskip(NEXT) | instid1(SALU_CYCLE_1)
	s_and_b32 s26, vcc_lo, exec_lo
	s_or_b32 s11, s11, s26
	s_or_b32 exec_lo, exec_lo, s27
	s_and_saveexec_b32 s26, s11
	s_cbranch_execnz .LBB6_361
	s_branch .LBB6_362
.LBB6_2121:                             ;   in Loop: Header=BB6_143 Depth=2
	s_mov_b32 s11, -1
	s_mov_b32 s28, exec_lo
                                        ; implicit-def: $sgpr26
	v_cmpx_eq_u16_e64 0x80, v160
; %bb.2122:                             ;   in Loop: Header=BB6_143 Depth=2
	s_mov_b32 s26, 0x7f800001
	s_xor_b32 s11, exec_lo, -1
; %bb.2123:                             ;   in Loop: Header=BB6_143 Depth=2
	s_or_b32 exec_lo, exec_lo, s28
	s_delay_alu instid0(SALU_CYCLE_1)
	s_and_b32 s11, s11, exec_lo
	s_or_saveexec_b32 s27, s27
	v_mov_b32_e32 v49, s26
	s_xor_b32 exec_lo, exec_lo, s27
	s_cbranch_execz .LBB6_364
.LBB6_2124:                             ;   in Loop: Header=BB6_143 Depth=2
	v_cmp_ne_u16_e64 vcc_lo, 0, v160
	v_mov_b32_e32 v49, 0
	s_and_not1_b32 s11, s11, exec_lo
	s_delay_alu instid0(VALU_DEP_2) | instskip(NEXT) | instid1(SALU_CYCLE_1)
	s_and_b32 s26, vcc_lo, exec_lo
	s_or_b32 s11, s11, s26
	s_or_b32 exec_lo, exec_lo, s27
	s_and_saveexec_b32 s26, s11
	s_cbranch_execnz .LBB6_365
	s_branch .LBB6_366
.LBB6_2125:                             ;   in Loop: Header=BB6_143 Depth=2
	s_mov_b32 s11, -1
	s_mov_b32 s28, exec_lo
                                        ; implicit-def: $sgpr26
	v_cmpx_eq_u16_e64 0x80, v160
; %bb.2126:                             ;   in Loop: Header=BB6_143 Depth=2
	s_mov_b32 s26, 0x7f800001
	s_xor_b32 s11, exec_lo, -1
; %bb.2127:                             ;   in Loop: Header=BB6_143 Depth=2
	s_or_b32 exec_lo, exec_lo, s28
	s_delay_alu instid0(SALU_CYCLE_1)
	s_and_b32 s11, s11, exec_lo
                                        ; implicit-def: $vgpr160
	s_or_saveexec_b32 s27, s27
	v_mov_b32_e32 v49, s26
	s_xor_b32 exec_lo, exec_lo, s27
	s_cbranch_execz .LBB6_378
.LBB6_2128:                             ;   in Loop: Header=BB6_143 Depth=2
	v_cmp_ne_u16_e64 vcc_lo, 0, v160
	v_mov_b32_e32 v49, 0
	s_and_not1_b32 s11, s11, exec_lo
	s_delay_alu instid0(VALU_DEP_2) | instskip(NEXT) | instid1(SALU_CYCLE_1)
	s_and_b32 s26, vcc_lo, exec_lo
	s_or_b32 s11, s11, s26
	s_or_b32 exec_lo, exec_lo, s27
	s_and_saveexec_b32 s26, s11
	s_cbranch_execnz .LBB6_379
	s_branch .LBB6_380
.LBB6_2129:                             ;   in Loop: Header=BB6_143 Depth=2
	s_mov_b32 s11, -1
	s_mov_b32 s28, exec_lo
                                        ; implicit-def: $sgpr26
	v_cmpx_eq_u16_e64 0x80, v161
; %bb.2130:                             ;   in Loop: Header=BB6_143 Depth=2
	s_mov_b32 s26, 0x7f800001
	s_xor_b32 s11, exec_lo, -1
; %bb.2131:                             ;   in Loop: Header=BB6_143 Depth=2
	s_or_b32 exec_lo, exec_lo, s28
	s_delay_alu instid0(SALU_CYCLE_1)
	s_and_b32 s11, s11, exec_lo
                                        ; implicit-def: $vgpr161
	s_or_saveexec_b32 s27, s27
	v_mov_b32_e32 v160, s26
	s_xor_b32 exec_lo, exec_lo, s27
	s_cbranch_execz .LBB6_382
.LBB6_2132:                             ;   in Loop: Header=BB6_143 Depth=2
	v_cmp_ne_u16_e64 vcc_lo, 0, v161
	v_mov_b32_e32 v160, 0
	s_and_not1_b32 s11, s11, exec_lo
	s_delay_alu instid0(VALU_DEP_2) | instskip(NEXT) | instid1(SALU_CYCLE_1)
	s_and_b32 s26, vcc_lo, exec_lo
	s_or_b32 s11, s11, s26
	s_or_b32 exec_lo, exec_lo, s27
	s_and_saveexec_b32 s26, s11
	s_cbranch_execnz .LBB6_383
	s_branch .LBB6_384
.LBB6_2133:                             ;   in Loop: Header=BB6_143 Depth=2
	s_mov_b32 s11, -1
	s_mov_b32 s28, exec_lo
                                        ; implicit-def: $sgpr26
	v_cmpx_eq_u16_e64 0x80, v160
; %bb.2134:                             ;   in Loop: Header=BB6_143 Depth=2
	s_mov_b32 s26, 0x7f800001
	s_xor_b32 s11, exec_lo, -1
; %bb.2135:                             ;   in Loop: Header=BB6_143 Depth=2
	s_or_b32 exec_lo, exec_lo, s28
	s_delay_alu instid0(SALU_CYCLE_1)
	s_and_b32 s11, s11, exec_lo
                                        ; implicit-def: $vgpr160
	s_or_saveexec_b32 s27, s27
	v_mov_b32_e32 v49, s26
	s_xor_b32 exec_lo, exec_lo, s27
	s_cbranch_execz .LBB6_389
.LBB6_2136:                             ;   in Loop: Header=BB6_143 Depth=2
	v_cmp_ne_u16_e64 vcc_lo, 0, v160
	v_mov_b32_e32 v49, 0
	s_and_not1_b32 s11, s11, exec_lo
	s_delay_alu instid0(VALU_DEP_2) | instskip(NEXT) | instid1(SALU_CYCLE_1)
	s_and_b32 s26, vcc_lo, exec_lo
	s_or_b32 s11, s11, s26
	s_or_b32 exec_lo, exec_lo, s27
	s_and_saveexec_b32 s26, s11
	s_cbranch_execnz .LBB6_390
	s_branch .LBB6_391
.LBB6_2137:                             ;   in Loop: Header=BB6_143 Depth=2
	s_mov_b32 s11, -1
	s_mov_b32 s28, exec_lo
                                        ; implicit-def: $sgpr26
	v_cmpx_eq_u16_e64 0x80, v161
; %bb.2138:                             ;   in Loop: Header=BB6_143 Depth=2
	s_mov_b32 s26, 0x7f800001
	s_xor_b32 s11, exec_lo, -1
; %bb.2139:                             ;   in Loop: Header=BB6_143 Depth=2
	s_or_b32 exec_lo, exec_lo, s28
	s_delay_alu instid0(SALU_CYCLE_1)
	s_and_b32 s11, s11, exec_lo
                                        ; implicit-def: $vgpr161
	s_or_saveexec_b32 s27, s27
	v_mov_b32_e32 v160, s26
	s_xor_b32 exec_lo, exec_lo, s27
	s_cbranch_execz .LBB6_393
.LBB6_2140:                             ;   in Loop: Header=BB6_143 Depth=2
	v_cmp_ne_u16_e64 vcc_lo, 0, v161
	v_mov_b32_e32 v160, 0
	s_and_not1_b32 s11, s11, exec_lo
	s_delay_alu instid0(VALU_DEP_2) | instskip(NEXT) | instid1(SALU_CYCLE_1)
	s_and_b32 s26, vcc_lo, exec_lo
	s_or_b32 s11, s11, s26
	s_or_b32 exec_lo, exec_lo, s27
	s_and_saveexec_b32 s26, s11
	s_cbranch_execnz .LBB6_394
	s_branch .LBB6_395
.LBB6_2141:                             ;   in Loop: Header=BB6_143 Depth=2
	s_mov_b32 s11, -1
	s_mov_b32 s28, exec_lo
                                        ; implicit-def: $sgpr26
	v_cmpx_eq_u16_e64 0x80, v161
; %bb.2142:                             ;   in Loop: Header=BB6_143 Depth=2
	s_mov_b32 s26, 0x7f800001
	s_xor_b32 s11, exec_lo, -1
; %bb.2143:                             ;   in Loop: Header=BB6_143 Depth=2
	s_or_b32 exec_lo, exec_lo, s28
	s_delay_alu instid0(SALU_CYCLE_1)
	s_and_b32 s11, s11, exec_lo
	s_or_saveexec_b32 s27, s27
	v_mov_b32_e32 v162, s26
	s_xor_b32 exec_lo, exec_lo, s27
	s_cbranch_execz .LBB6_407
.LBB6_2144:                             ;   in Loop: Header=BB6_143 Depth=2
	v_cmp_ne_u16_e64 vcc_lo, 0, v161
	v_mov_b32_e32 v162, 0
	s_and_not1_b32 s11, s11, exec_lo
	s_delay_alu instid0(VALU_DEP_2) | instskip(NEXT) | instid1(SALU_CYCLE_1)
	s_and_b32 s26, vcc_lo, exec_lo
	s_or_b32 s11, s11, s26
	s_or_b32 exec_lo, exec_lo, s27
	s_and_saveexec_b32 s26, s11
	s_cbranch_execnz .LBB6_408
	s_branch .LBB6_409
.LBB6_2145:                             ;   in Loop: Header=BB6_143 Depth=2
	s_mov_b32 s11, -1
	s_mov_b32 s28, exec_lo
                                        ; implicit-def: $sgpr26
	v_cmpx_eq_u16_e64 0x80, v160
; %bb.2146:                             ;   in Loop: Header=BB6_143 Depth=2
	s_mov_b32 s26, 0x7f800001
	s_xor_b32 s11, exec_lo, -1
; %bb.2147:                             ;   in Loop: Header=BB6_143 Depth=2
	s_or_b32 exec_lo, exec_lo, s28
	s_delay_alu instid0(SALU_CYCLE_1)
	s_and_b32 s11, s11, exec_lo
	s_or_saveexec_b32 s27, s27
	v_mov_b32_e32 v163, s26
	s_xor_b32 exec_lo, exec_lo, s27
	s_cbranch_execz .LBB6_411
.LBB6_2148:                             ;   in Loop: Header=BB6_143 Depth=2
	v_cmp_ne_u16_e64 vcc_lo, 0, v160
	v_mov_b32_e32 v163, 0
	s_and_not1_b32 s11, s11, exec_lo
	s_delay_alu instid0(VALU_DEP_2) | instskip(NEXT) | instid1(SALU_CYCLE_1)
	s_and_b32 s26, vcc_lo, exec_lo
	s_or_b32 s11, s11, s26
	s_or_b32 exec_lo, exec_lo, s27
	s_and_saveexec_b32 s26, s11
	s_cbranch_execnz .LBB6_412
	s_branch .LBB6_413
.LBB6_2149:                             ;   in Loop: Header=BB6_143 Depth=2
	s_mov_b32 s11, -1
	s_mov_b32 s28, exec_lo
                                        ; implicit-def: $sgpr26
	v_cmpx_eq_u16_e64 0x80, v161
; %bb.2150:                             ;   in Loop: Header=BB6_143 Depth=2
	s_mov_b32 s26, 0x7f800001
	s_xor_b32 s11, exec_lo, -1
; %bb.2151:                             ;   in Loop: Header=BB6_143 Depth=2
	s_or_b32 exec_lo, exec_lo, s28
	s_delay_alu instid0(SALU_CYCLE_1)
	s_and_b32 s11, s11, exec_lo
	s_or_saveexec_b32 s27, s27
	v_mov_b32_e32 v162, s26
	s_xor_b32 exec_lo, exec_lo, s27
	s_cbranch_execz .LBB6_418
.LBB6_2152:                             ;   in Loop: Header=BB6_143 Depth=2
	v_cmp_ne_u16_e64 vcc_lo, 0, v161
	v_mov_b32_e32 v162, 0
	s_and_not1_b32 s11, s11, exec_lo
	s_delay_alu instid0(VALU_DEP_2) | instskip(NEXT) | instid1(SALU_CYCLE_1)
	s_and_b32 s26, vcc_lo, exec_lo
	s_or_b32 s11, s11, s26
	s_or_b32 exec_lo, exec_lo, s27
	s_and_saveexec_b32 s26, s11
	s_cbranch_execnz .LBB6_419
	s_branch .LBB6_420
.LBB6_2153:                             ;   in Loop: Header=BB6_143 Depth=2
	s_mov_b32 s11, -1
	s_mov_b32 s28, exec_lo
                                        ; implicit-def: $sgpr26
	v_cmpx_eq_u16_e64 0x80, v160
; %bb.2154:                             ;   in Loop: Header=BB6_143 Depth=2
	s_mov_b32 s26, 0x7f800001
	s_xor_b32 s11, exec_lo, -1
; %bb.2155:                             ;   in Loop: Header=BB6_143 Depth=2
	s_or_b32 exec_lo, exec_lo, s28
	s_delay_alu instid0(SALU_CYCLE_1)
	s_and_b32 s11, s11, exec_lo
	s_or_saveexec_b32 s27, s27
	v_mov_b32_e32 v161, s26
	s_xor_b32 exec_lo, exec_lo, s27
	s_cbranch_execz .LBB6_422
.LBB6_2156:                             ;   in Loop: Header=BB6_143 Depth=2
	v_cmp_ne_u16_e64 vcc_lo, 0, v160
	v_mov_b32_e32 v161, 0
	s_and_not1_b32 s11, s11, exec_lo
	s_delay_alu instid0(VALU_DEP_2) | instskip(NEXT) | instid1(SALU_CYCLE_1)
	s_and_b32 s26, vcc_lo, exec_lo
	s_or_b32 s11, s11, s26
	s_or_b32 exec_lo, exec_lo, s27
	s_and_saveexec_b32 s26, s11
	s_cbranch_execnz .LBB6_423
	s_branch .LBB6_424
.LBB6_2157:                             ;   in Loop: Header=BB6_143 Depth=2
	s_mov_b32 s11, -1
	s_mov_b32 s28, exec_lo
                                        ; implicit-def: $sgpr26
	v_cmpx_eq_u16_e64 0x80, v164
; %bb.2158:                             ;   in Loop: Header=BB6_143 Depth=2
	s_mov_b32 s26, 0x7f800001
	s_xor_b32 s11, exec_lo, -1
; %bb.2159:                             ;   in Loop: Header=BB6_143 Depth=2
	s_or_b32 exec_lo, exec_lo, s28
	s_delay_alu instid0(SALU_CYCLE_1)
	s_and_b32 s11, s11, exec_lo
                                        ; implicit-def: $vgpr164
	s_or_saveexec_b32 s27, s27
	v_mov_b32_e32 v163, s26
	s_xor_b32 exec_lo, exec_lo, s27
	s_cbranch_execz .LBB6_436
.LBB6_2160:                             ;   in Loop: Header=BB6_143 Depth=2
	v_cmp_ne_u16_e64 vcc_lo, 0, v164
	v_mov_b32_e32 v163, 0
	s_and_not1_b32 s11, s11, exec_lo
	s_delay_alu instid0(VALU_DEP_2) | instskip(NEXT) | instid1(SALU_CYCLE_1)
	s_and_b32 s26, vcc_lo, exec_lo
	s_or_b32 s11, s11, s26
	s_or_b32 exec_lo, exec_lo, s27
	s_and_saveexec_b32 s26, s11
	s_cbranch_execnz .LBB6_437
	s_branch .LBB6_438
.LBB6_2161:                             ;   in Loop: Header=BB6_143 Depth=2
	s_mov_b32 s11, -1
	s_mov_b32 s28, exec_lo
                                        ; implicit-def: $sgpr26
	v_cmpx_eq_u16_e64 0x80, v165
; %bb.2162:                             ;   in Loop: Header=BB6_143 Depth=2
	s_mov_b32 s26, 0x7f800001
	s_xor_b32 s11, exec_lo, -1
; %bb.2163:                             ;   in Loop: Header=BB6_143 Depth=2
	s_or_b32 exec_lo, exec_lo, s28
	s_delay_alu instid0(SALU_CYCLE_1)
	s_and_b32 s11, s11, exec_lo
                                        ; implicit-def: $vgpr165
	s_or_saveexec_b32 s27, s27
	v_mov_b32_e32 v164, s26
	s_xor_b32 exec_lo, exec_lo, s27
	s_cbranch_execz .LBB6_440
.LBB6_2164:                             ;   in Loop: Header=BB6_143 Depth=2
	v_cmp_ne_u16_e64 vcc_lo, 0, v165
	v_mov_b32_e32 v164, 0
	s_and_not1_b32 s11, s11, exec_lo
	s_delay_alu instid0(VALU_DEP_2) | instskip(NEXT) | instid1(SALU_CYCLE_1)
	s_and_b32 s26, vcc_lo, exec_lo
	s_or_b32 s11, s11, s26
	s_or_b32 exec_lo, exec_lo, s27
	s_and_saveexec_b32 s26, s11
	s_cbranch_execnz .LBB6_441
	s_branch .LBB6_442
.LBB6_2165:                             ;   in Loop: Header=BB6_143 Depth=2
	s_mov_b32 s11, -1
	s_mov_b32 s28, exec_lo
                                        ; implicit-def: $sgpr26
	v_cmpx_eq_u16_e64 0x80, v164
; %bb.2166:                             ;   in Loop: Header=BB6_143 Depth=2
	s_mov_b32 s26, 0x7f800001
	s_xor_b32 s11, exec_lo, -1
; %bb.2167:                             ;   in Loop: Header=BB6_143 Depth=2
	s_or_b32 exec_lo, exec_lo, s28
	s_delay_alu instid0(SALU_CYCLE_1)
	s_and_b32 s11, s11, exec_lo
                                        ; implicit-def: $vgpr164
	s_or_saveexec_b32 s27, s27
	v_mov_b32_e32 v163, s26
	s_xor_b32 exec_lo, exec_lo, s27
	s_cbranch_execz .LBB6_447
.LBB6_2168:                             ;   in Loop: Header=BB6_143 Depth=2
	v_cmp_ne_u16_e64 vcc_lo, 0, v164
	v_mov_b32_e32 v163, 0
	s_and_not1_b32 s11, s11, exec_lo
	s_delay_alu instid0(VALU_DEP_2) | instskip(NEXT) | instid1(SALU_CYCLE_1)
	s_and_b32 s26, vcc_lo, exec_lo
	s_or_b32 s11, s11, s26
	s_or_b32 exec_lo, exec_lo, s27
	s_and_saveexec_b32 s26, s11
	s_cbranch_execnz .LBB6_448
	s_branch .LBB6_449
.LBB6_2169:                             ;   in Loop: Header=BB6_143 Depth=2
	s_mov_b32 s11, -1
	s_mov_b32 s28, exec_lo
                                        ; implicit-def: $sgpr26
	v_cmpx_eq_u16_e64 0x80, v164
; %bb.2170:                             ;   in Loop: Header=BB6_143 Depth=2
	s_mov_b32 s26, 0x7f800001
	s_xor_b32 s11, exec_lo, -1
; %bb.2171:                             ;   in Loop: Header=BB6_143 Depth=2
	s_or_b32 exec_lo, exec_lo, s28
	s_delay_alu instid0(SALU_CYCLE_1)
	s_and_b32 s11, s11, exec_lo
                                        ; implicit-def: $vgpr164
	s_or_saveexec_b32 s27, s27
	v_mov_b32_e32 v162, s26
	s_xor_b32 exec_lo, exec_lo, s27
	s_cbranch_execz .LBB6_451
.LBB6_2172:                             ;   in Loop: Header=BB6_143 Depth=2
	v_cmp_ne_u16_e64 vcc_lo, 0, v164
	v_mov_b32_e32 v162, 0
	s_and_not1_b32 s11, s11, exec_lo
	s_delay_alu instid0(VALU_DEP_2) | instskip(NEXT) | instid1(SALU_CYCLE_1)
	s_and_b32 s26, vcc_lo, exec_lo
	s_or_b32 s11, s11, s26
	s_or_b32 exec_lo, exec_lo, s27
	s_and_saveexec_b32 s26, s11
	s_cbranch_execnz .LBB6_452
	s_branch .LBB6_453
.LBB6_2173:                             ;   in Loop: Header=BB6_143 Depth=2
	s_mov_b32 s11, -1
	s_mov_b32 s28, exec_lo
                                        ; implicit-def: $sgpr26
	v_cmpx_eq_u16_e64 0x80, v163
; %bb.2174:                             ;   in Loop: Header=BB6_143 Depth=2
	s_mov_b32 s26, 0x7f800001
	s_xor_b32 s11, exec_lo, -1
; %bb.2175:                             ;   in Loop: Header=BB6_143 Depth=2
	s_or_b32 exec_lo, exec_lo, s28
	s_delay_alu instid0(SALU_CYCLE_1)
	s_and_b32 s11, s11, exec_lo
	s_or_saveexec_b32 s27, s27
	v_mov_b32_e32 v164, s26
	s_xor_b32 exec_lo, exec_lo, s27
	s_cbranch_execz .LBB6_465
.LBB6_2176:                             ;   in Loop: Header=BB6_143 Depth=2
	v_cmp_ne_u16_e64 vcc_lo, 0, v163
	v_mov_b32_e32 v164, 0
	s_and_not1_b32 s11, s11, exec_lo
	s_delay_alu instid0(VALU_DEP_2) | instskip(NEXT) | instid1(SALU_CYCLE_1)
	s_and_b32 s26, vcc_lo, exec_lo
	s_or_b32 s11, s11, s26
	s_or_b32 exec_lo, exec_lo, s27
	s_and_saveexec_b32 s26, s11
	s_cbranch_execnz .LBB6_466
	s_branch .LBB6_467
.LBB6_2177:                             ;   in Loop: Header=BB6_143 Depth=2
	s_mov_b32 s11, -1
	s_mov_b32 s28, exec_lo
                                        ; implicit-def: $sgpr26
	v_cmpx_eq_u16_e64 0x80, v162
; %bb.2178:                             ;   in Loop: Header=BB6_143 Depth=2
	s_mov_b32 s26, 0x7f800001
	s_xor_b32 s11, exec_lo, -1
; %bb.2179:                             ;   in Loop: Header=BB6_143 Depth=2
	s_or_b32 exec_lo, exec_lo, s28
	s_delay_alu instid0(SALU_CYCLE_1)
	s_and_b32 s11, s11, exec_lo
	s_or_saveexec_b32 s27, s27
	v_mov_b32_e32 v165, s26
	s_xor_b32 exec_lo, exec_lo, s27
	s_cbranch_execz .LBB6_469
.LBB6_2180:                             ;   in Loop: Header=BB6_143 Depth=2
	v_cmp_ne_u16_e64 vcc_lo, 0, v162
	v_mov_b32_e32 v165, 0
	s_and_not1_b32 s11, s11, exec_lo
	s_delay_alu instid0(VALU_DEP_2) | instskip(NEXT) | instid1(SALU_CYCLE_1)
	s_and_b32 s26, vcc_lo, exec_lo
	s_or_b32 s11, s11, s26
	s_or_b32 exec_lo, exec_lo, s27
	s_and_saveexec_b32 s26, s11
	s_cbranch_execnz .LBB6_470
	s_branch .LBB6_471
.LBB6_2181:                             ;   in Loop: Header=BB6_143 Depth=2
	s_mov_b32 s11, -1
	s_mov_b32 s28, exec_lo
                                        ; implicit-def: $sgpr26
	v_cmpx_eq_u16_e64 0x80, v163
; %bb.2182:                             ;   in Loop: Header=BB6_143 Depth=2
	s_mov_b32 s26, 0x7f800001
	s_xor_b32 s11, exec_lo, -1
; %bb.2183:                             ;   in Loop: Header=BB6_143 Depth=2
	s_or_b32 exec_lo, exec_lo, s28
	s_delay_alu instid0(SALU_CYCLE_1)
	s_and_b32 s11, s11, exec_lo
	s_or_saveexec_b32 s27, s27
	v_mov_b32_e32 v164, s26
	s_xor_b32 exec_lo, exec_lo, s27
	s_cbranch_execz .LBB6_476
.LBB6_2184:                             ;   in Loop: Header=BB6_143 Depth=2
	v_cmp_ne_u16_e64 vcc_lo, 0, v163
	v_mov_b32_e32 v164, 0
	s_and_not1_b32 s11, s11, exec_lo
	s_delay_alu instid0(VALU_DEP_2) | instskip(NEXT) | instid1(SALU_CYCLE_1)
	s_and_b32 s26, vcc_lo, exec_lo
	s_or_b32 s11, s11, s26
	s_or_b32 exec_lo, exec_lo, s27
	s_and_saveexec_b32 s26, s11
	s_cbranch_execnz .LBB6_477
	s_branch .LBB6_478
.LBB6_2185:                             ;   in Loop: Header=BB6_143 Depth=2
	s_mov_b32 s11, -1
	s_mov_b32 s28, exec_lo
                                        ; implicit-def: $sgpr26
	v_cmpx_eq_u16_e64 0x80, v162
; %bb.2186:                             ;   in Loop: Header=BB6_143 Depth=2
	s_mov_b32 s26, 0x7f800001
	s_xor_b32 s11, exec_lo, -1
; %bb.2187:                             ;   in Loop: Header=BB6_143 Depth=2
	s_or_b32 exec_lo, exec_lo, s28
	s_delay_alu instid0(SALU_CYCLE_1)
	s_and_b32 s11, s11, exec_lo
	s_or_saveexec_b32 s27, s27
	v_mov_b32_e32 v50, s26
	s_xor_b32 exec_lo, exec_lo, s27
	s_cbranch_execz .LBB6_480
.LBB6_2188:                             ;   in Loop: Header=BB6_143 Depth=2
	v_cmp_ne_u16_e64 vcc_lo, 0, v162
	v_mov_b32_e32 v50, 0
	s_and_not1_b32 s11, s11, exec_lo
	s_delay_alu instid0(VALU_DEP_2) | instskip(NEXT) | instid1(SALU_CYCLE_1)
	s_and_b32 s26, vcc_lo, exec_lo
	s_or_b32 s11, s11, s26
	s_or_b32 exec_lo, exec_lo, s27
	s_and_saveexec_b32 s26, s11
	s_cbranch_execnz .LBB6_481
	s_branch .LBB6_482
.LBB6_2189:                             ;   in Loop: Header=BB6_143 Depth=2
	s_mov_b32 s11, -1
	s_mov_b32 s28, exec_lo
                                        ; implicit-def: $sgpr26
	v_cmpx_eq_u16_e64 0x80, v162
; %bb.2190:                             ;   in Loop: Header=BB6_143 Depth=2
	s_mov_b32 s26, 0x7f800001
	s_xor_b32 s11, exec_lo, -1
; %bb.2191:                             ;   in Loop: Header=BB6_143 Depth=2
	s_or_b32 exec_lo, exec_lo, s28
	s_delay_alu instid0(SALU_CYCLE_1)
	s_and_b32 s11, s11, exec_lo
                                        ; implicit-def: $vgpr162
	s_or_saveexec_b32 s27, s27
	v_mov_b32_e32 v50, s26
	s_xor_b32 exec_lo, exec_lo, s27
	s_cbranch_execz .LBB6_494
.LBB6_2192:                             ;   in Loop: Header=BB6_143 Depth=2
	v_cmp_ne_u16_e64 vcc_lo, 0, v162
	v_mov_b32_e32 v50, 0
	s_and_not1_b32 s11, s11, exec_lo
	s_delay_alu instid0(VALU_DEP_2) | instskip(NEXT) | instid1(SALU_CYCLE_1)
	s_and_b32 s26, vcc_lo, exec_lo
	s_or_b32 s11, s11, s26
	s_or_b32 exec_lo, exec_lo, s27
	s_and_saveexec_b32 s26, s11
	s_cbranch_execnz .LBB6_495
	s_branch .LBB6_496
.LBB6_2193:                             ;   in Loop: Header=BB6_143 Depth=2
	s_mov_b32 s11, -1
	s_mov_b32 s28, exec_lo
                                        ; implicit-def: $sgpr26
	v_cmpx_eq_u16_e64 0x80, v163
; %bb.2194:                             ;   in Loop: Header=BB6_143 Depth=2
	s_mov_b32 s26, 0x7f800001
	s_xor_b32 s11, exec_lo, -1
; %bb.2195:                             ;   in Loop: Header=BB6_143 Depth=2
	s_or_b32 exec_lo, exec_lo, s28
	s_delay_alu instid0(SALU_CYCLE_1)
	s_and_b32 s11, s11, exec_lo
                                        ; implicit-def: $vgpr163
	s_or_saveexec_b32 s27, s27
	v_mov_b32_e32 v162, s26
	s_xor_b32 exec_lo, exec_lo, s27
	s_cbranch_execz .LBB6_498
.LBB6_2196:                             ;   in Loop: Header=BB6_143 Depth=2
	v_cmp_ne_u16_e64 vcc_lo, 0, v163
	v_mov_b32_e32 v162, 0
	s_and_not1_b32 s11, s11, exec_lo
	s_delay_alu instid0(VALU_DEP_2) | instskip(NEXT) | instid1(SALU_CYCLE_1)
	s_and_b32 s26, vcc_lo, exec_lo
	s_or_b32 s11, s11, s26
	s_or_b32 exec_lo, exec_lo, s27
	s_and_saveexec_b32 s26, s11
	s_cbranch_execnz .LBB6_499
	s_branch .LBB6_500
.LBB6_2197:                             ;   in Loop: Header=BB6_143 Depth=2
	s_mov_b32 s11, -1
	s_mov_b32 s28, exec_lo
                                        ; implicit-def: $sgpr26
	v_cmpx_eq_u16_e64 0x80, v162
; %bb.2198:                             ;   in Loop: Header=BB6_143 Depth=2
	s_mov_b32 s26, 0x7f800001
	s_xor_b32 s11, exec_lo, -1
; %bb.2199:                             ;   in Loop: Header=BB6_143 Depth=2
	s_or_b32 exec_lo, exec_lo, s28
	s_delay_alu instid0(SALU_CYCLE_1)
	s_and_b32 s11, s11, exec_lo
                                        ; implicit-def: $vgpr162
	s_or_saveexec_b32 s27, s27
	v_mov_b32_e32 v50, s26
	s_xor_b32 exec_lo, exec_lo, s27
	s_cbranch_execz .LBB6_505
.LBB6_2200:                             ;   in Loop: Header=BB6_143 Depth=2
	v_cmp_ne_u16_e64 vcc_lo, 0, v162
	v_mov_b32_e32 v50, 0
	s_and_not1_b32 s11, s11, exec_lo
	s_delay_alu instid0(VALU_DEP_2) | instskip(NEXT) | instid1(SALU_CYCLE_1)
	s_and_b32 s26, vcc_lo, exec_lo
	s_or_b32 s11, s11, s26
	s_or_b32 exec_lo, exec_lo, s27
	s_and_saveexec_b32 s26, s11
	s_cbranch_execnz .LBB6_506
	s_branch .LBB6_507
.LBB6_2201:                             ;   in Loop: Header=BB6_143 Depth=2
	s_mov_b32 s11, -1
	s_mov_b32 s28, exec_lo
                                        ; implicit-def: $sgpr26
	v_cmpx_eq_u16_e64 0x80, v163
; %bb.2202:                             ;   in Loop: Header=BB6_143 Depth=2
	s_mov_b32 s26, 0x7f800001
	s_xor_b32 s11, exec_lo, -1
; %bb.2203:                             ;   in Loop: Header=BB6_143 Depth=2
	s_or_b32 exec_lo, exec_lo, s28
	s_delay_alu instid0(SALU_CYCLE_1)
	s_and_b32 s11, s11, exec_lo
                                        ; implicit-def: $vgpr163
	s_or_saveexec_b32 s27, s27
	v_mov_b32_e32 v162, s26
	s_xor_b32 exec_lo, exec_lo, s27
	s_cbranch_execz .LBB6_509
.LBB6_2204:                             ;   in Loop: Header=BB6_143 Depth=2
	v_cmp_ne_u16_e64 vcc_lo, 0, v163
	v_mov_b32_e32 v162, 0
	s_and_not1_b32 s11, s11, exec_lo
	s_delay_alu instid0(VALU_DEP_2) | instskip(NEXT) | instid1(SALU_CYCLE_1)
	s_and_b32 s26, vcc_lo, exec_lo
	s_or_b32 s11, s11, s26
	s_or_b32 exec_lo, exec_lo, s27
	s_and_saveexec_b32 s26, s11
	s_cbranch_execnz .LBB6_510
	s_branch .LBB6_511
.LBB6_2205:                             ;   in Loop: Header=BB6_143 Depth=2
	s_mov_b32 s11, -1
	s_mov_b32 s28, exec_lo
                                        ; implicit-def: $sgpr26
	v_cmpx_eq_u16_e64 0x80, v163
; %bb.2206:                             ;   in Loop: Header=BB6_143 Depth=2
	s_mov_b32 s26, 0x7f800001
	s_xor_b32 s11, exec_lo, -1
; %bb.2207:                             ;   in Loop: Header=BB6_143 Depth=2
	s_or_b32 exec_lo, exec_lo, s28
	s_delay_alu instid0(SALU_CYCLE_1)
	s_and_b32 s11, s11, exec_lo
	s_or_saveexec_b32 s27, s27
	v_mov_b32_e32 v164, s26
	s_xor_b32 exec_lo, exec_lo, s27
	s_cbranch_execz .LBB6_523
.LBB6_2208:                             ;   in Loop: Header=BB6_143 Depth=2
	v_cmp_ne_u16_e64 vcc_lo, 0, v163
	v_mov_b32_e32 v164, 0
	s_and_not1_b32 s11, s11, exec_lo
	s_delay_alu instid0(VALU_DEP_2) | instskip(NEXT) | instid1(SALU_CYCLE_1)
	s_and_b32 s26, vcc_lo, exec_lo
	s_or_b32 s11, s11, s26
	s_or_b32 exec_lo, exec_lo, s27
	s_and_saveexec_b32 s26, s11
	s_cbranch_execnz .LBB6_524
	s_branch .LBB6_525
.LBB6_2209:                             ;   in Loop: Header=BB6_143 Depth=2
	s_mov_b32 s11, -1
	s_mov_b32 s28, exec_lo
                                        ; implicit-def: $sgpr26
	v_cmpx_eq_u16_e64 0x80, v162
; %bb.2210:                             ;   in Loop: Header=BB6_143 Depth=2
	s_mov_b32 s26, 0x7f800001
	s_xor_b32 s11, exec_lo, -1
; %bb.2211:                             ;   in Loop: Header=BB6_143 Depth=2
	s_or_b32 exec_lo, exec_lo, s28
	s_delay_alu instid0(SALU_CYCLE_1)
	s_and_b32 s11, s11, exec_lo
	s_or_saveexec_b32 s27, s27
	v_mov_b32_e32 v165, s26
	s_xor_b32 exec_lo, exec_lo, s27
	s_cbranch_execz .LBB6_527
.LBB6_2212:                             ;   in Loop: Header=BB6_143 Depth=2
	v_cmp_ne_u16_e64 vcc_lo, 0, v162
	v_mov_b32_e32 v165, 0
	s_and_not1_b32 s11, s11, exec_lo
	s_delay_alu instid0(VALU_DEP_2) | instskip(NEXT) | instid1(SALU_CYCLE_1)
	s_and_b32 s26, vcc_lo, exec_lo
	s_or_b32 s11, s11, s26
	s_or_b32 exec_lo, exec_lo, s27
	s_and_saveexec_b32 s26, s11
	s_cbranch_execnz .LBB6_528
	s_branch .LBB6_529
.LBB6_2213:                             ;   in Loop: Header=BB6_143 Depth=2
	s_mov_b32 s11, -1
	s_mov_b32 s28, exec_lo
                                        ; implicit-def: $sgpr26
	v_cmpx_eq_u16_e64 0x80, v163
; %bb.2214:                             ;   in Loop: Header=BB6_143 Depth=2
	s_mov_b32 s26, 0x7f800001
	s_xor_b32 s11, exec_lo, -1
; %bb.2215:                             ;   in Loop: Header=BB6_143 Depth=2
	s_or_b32 exec_lo, exec_lo, s28
	s_delay_alu instid0(SALU_CYCLE_1)
	s_and_b32 s11, s11, exec_lo
	s_or_saveexec_b32 s27, s27
	v_mov_b32_e32 v164, s26
	s_xor_b32 exec_lo, exec_lo, s27
	s_cbranch_execz .LBB6_534
.LBB6_2216:                             ;   in Loop: Header=BB6_143 Depth=2
	v_cmp_ne_u16_e64 vcc_lo, 0, v163
	v_mov_b32_e32 v164, 0
	s_and_not1_b32 s11, s11, exec_lo
	s_delay_alu instid0(VALU_DEP_2) | instskip(NEXT) | instid1(SALU_CYCLE_1)
	s_and_b32 s26, vcc_lo, exec_lo
	s_or_b32 s11, s11, s26
	s_or_b32 exec_lo, exec_lo, s27
	s_and_saveexec_b32 s26, s11
	s_cbranch_execnz .LBB6_535
	s_branch .LBB6_536
.LBB6_2217:                             ;   in Loop: Header=BB6_143 Depth=2
	s_mov_b32 s11, -1
	s_mov_b32 s28, exec_lo
                                        ; implicit-def: $sgpr26
	v_cmpx_eq_u16_e64 0x80, v162
; %bb.2218:                             ;   in Loop: Header=BB6_143 Depth=2
	s_mov_b32 s26, 0x7f800001
	s_xor_b32 s11, exec_lo, -1
; %bb.2219:                             ;   in Loop: Header=BB6_143 Depth=2
	s_or_b32 exec_lo, exec_lo, s28
	s_delay_alu instid0(SALU_CYCLE_1)
	s_and_b32 s11, s11, exec_lo
	s_or_saveexec_b32 s27, s27
	v_mov_b32_e32 v163, s26
	s_xor_b32 exec_lo, exec_lo, s27
	s_cbranch_execz .LBB6_538
.LBB6_2220:                             ;   in Loop: Header=BB6_143 Depth=2
	v_cmp_ne_u16_e64 vcc_lo, 0, v162
	v_mov_b32_e32 v163, 0
	s_and_not1_b32 s11, s11, exec_lo
	s_delay_alu instid0(VALU_DEP_2) | instskip(NEXT) | instid1(SALU_CYCLE_1)
	s_and_b32 s26, vcc_lo, exec_lo
	s_or_b32 s11, s11, s26
	s_or_b32 exec_lo, exec_lo, s27
	s_and_saveexec_b32 s26, s11
	s_cbranch_execnz .LBB6_539
	s_branch .LBB6_540
.LBB6_2221:                             ;   in Loop: Header=BB6_143 Depth=2
	s_mov_b32 s11, -1
	s_mov_b32 s28, exec_lo
                                        ; implicit-def: $sgpr26
	v_cmpx_eq_u16_e64 0x80, v166
; %bb.2222:                             ;   in Loop: Header=BB6_143 Depth=2
	s_mov_b32 s26, 0x7f800001
	s_xor_b32 s11, exec_lo, -1
; %bb.2223:                             ;   in Loop: Header=BB6_143 Depth=2
	s_or_b32 exec_lo, exec_lo, s28
	s_delay_alu instid0(SALU_CYCLE_1)
	s_and_b32 s11, s11, exec_lo
                                        ; implicit-def: $vgpr166
	s_or_saveexec_b32 s27, s27
	v_mov_b32_e32 v165, s26
	s_xor_b32 exec_lo, exec_lo, s27
	s_cbranch_execz .LBB6_552
.LBB6_2224:                             ;   in Loop: Header=BB6_143 Depth=2
	v_cmp_ne_u16_e64 vcc_lo, 0, v166
	v_mov_b32_e32 v165, 0
	s_and_not1_b32 s11, s11, exec_lo
	s_delay_alu instid0(VALU_DEP_2) | instskip(NEXT) | instid1(SALU_CYCLE_1)
	s_and_b32 s26, vcc_lo, exec_lo
	s_or_b32 s11, s11, s26
	s_or_b32 exec_lo, exec_lo, s27
	s_and_saveexec_b32 s26, s11
	s_cbranch_execnz .LBB6_553
	s_branch .LBB6_554
.LBB6_2225:                             ;   in Loop: Header=BB6_143 Depth=2
	s_mov_b32 s11, -1
	s_mov_b32 s28, exec_lo
                                        ; implicit-def: $sgpr26
	v_cmpx_eq_u16_e64 0x80, v167
; %bb.2226:                             ;   in Loop: Header=BB6_143 Depth=2
	s_mov_b32 s26, 0x7f800001
	s_xor_b32 s11, exec_lo, -1
; %bb.2227:                             ;   in Loop: Header=BB6_143 Depth=2
	s_or_b32 exec_lo, exec_lo, s28
	s_delay_alu instid0(SALU_CYCLE_1)
	s_and_b32 s11, s11, exec_lo
                                        ; implicit-def: $vgpr167
	s_or_saveexec_b32 s27, s27
	v_mov_b32_e32 v166, s26
	s_xor_b32 exec_lo, exec_lo, s27
	s_cbranch_execz .LBB6_556
.LBB6_2228:                             ;   in Loop: Header=BB6_143 Depth=2
	v_cmp_ne_u16_e64 vcc_lo, 0, v167
	v_mov_b32_e32 v166, 0
	s_and_not1_b32 s11, s11, exec_lo
	s_delay_alu instid0(VALU_DEP_2) | instskip(NEXT) | instid1(SALU_CYCLE_1)
	s_and_b32 s26, vcc_lo, exec_lo
	s_or_b32 s11, s11, s26
	s_or_b32 exec_lo, exec_lo, s27
	s_and_saveexec_b32 s26, s11
	s_cbranch_execnz .LBB6_557
	s_branch .LBB6_558
.LBB6_2229:                             ;   in Loop: Header=BB6_143 Depth=2
	s_mov_b32 s11, -1
	s_mov_b32 s28, exec_lo
                                        ; implicit-def: $sgpr26
	v_cmpx_eq_u16_e64 0x80, v166
; %bb.2230:                             ;   in Loop: Header=BB6_143 Depth=2
	s_mov_b32 s26, 0x7f800001
	s_xor_b32 s11, exec_lo, -1
; %bb.2231:                             ;   in Loop: Header=BB6_143 Depth=2
	s_or_b32 exec_lo, exec_lo, s28
	s_delay_alu instid0(SALU_CYCLE_1)
	s_and_b32 s11, s11, exec_lo
                                        ; implicit-def: $vgpr166
	s_or_saveexec_b32 s27, s27
	v_mov_b32_e32 v165, s26
	s_xor_b32 exec_lo, exec_lo, s27
	s_cbranch_execz .LBB6_563
.LBB6_2232:                             ;   in Loop: Header=BB6_143 Depth=2
	v_cmp_ne_u16_e64 vcc_lo, 0, v166
	v_mov_b32_e32 v165, 0
	s_and_not1_b32 s11, s11, exec_lo
	s_delay_alu instid0(VALU_DEP_2) | instskip(NEXT) | instid1(SALU_CYCLE_1)
	s_and_b32 s26, vcc_lo, exec_lo
	s_or_b32 s11, s11, s26
	s_or_b32 exec_lo, exec_lo, s27
	s_and_saveexec_b32 s26, s11
	s_cbranch_execnz .LBB6_564
	s_branch .LBB6_565
.LBB6_2233:                             ;   in Loop: Header=BB6_143 Depth=2
	s_mov_b32 s11, -1
	s_mov_b32 s28, exec_lo
                                        ; implicit-def: $sgpr26
	v_cmpx_eq_u16_e64 0x80, v166
; %bb.2234:                             ;   in Loop: Header=BB6_143 Depth=2
	s_mov_b32 s26, 0x7f800001
	s_xor_b32 s11, exec_lo, -1
; %bb.2235:                             ;   in Loop: Header=BB6_143 Depth=2
	s_or_b32 exec_lo, exec_lo, s28
	s_delay_alu instid0(SALU_CYCLE_1)
	s_and_b32 s11, s11, exec_lo
                                        ; implicit-def: $vgpr166
	s_or_saveexec_b32 s27, s27
	v_mov_b32_e32 v164, s26
	s_xor_b32 exec_lo, exec_lo, s27
	s_cbranch_execz .LBB6_567
.LBB6_2236:                             ;   in Loop: Header=BB6_143 Depth=2
	v_cmp_ne_u16_e64 vcc_lo, 0, v166
	v_mov_b32_e32 v164, 0
	s_and_not1_b32 s11, s11, exec_lo
	s_delay_alu instid0(VALU_DEP_2) | instskip(NEXT) | instid1(SALU_CYCLE_1)
	s_and_b32 s26, vcc_lo, exec_lo
	s_or_b32 s11, s11, s26
	s_or_b32 exec_lo, exec_lo, s27
	s_and_saveexec_b32 s26, s11
	s_cbranch_execnz .LBB6_568
	s_branch .LBB6_569
.LBB6_2237:                             ;   in Loop: Header=BB6_143 Depth=2
	s_mov_b32 s11, -1
	s_mov_b32 s28, exec_lo
                                        ; implicit-def: $sgpr26
	v_cmpx_eq_u16_e64 0x80, v165
; %bb.2238:                             ;   in Loop: Header=BB6_143 Depth=2
	s_mov_b32 s26, 0x7f800001
	s_xor_b32 s11, exec_lo, -1
; %bb.2239:                             ;   in Loop: Header=BB6_143 Depth=2
	s_or_b32 exec_lo, exec_lo, s28
	s_delay_alu instid0(SALU_CYCLE_1)
	s_and_b32 s11, s11, exec_lo
	s_or_saveexec_b32 s27, s27
	v_mov_b32_e32 v166, s26
	s_xor_b32 exec_lo, exec_lo, s27
	s_cbranch_execz .LBB6_581
.LBB6_2240:                             ;   in Loop: Header=BB6_143 Depth=2
	v_cmp_ne_u16_e64 vcc_lo, 0, v165
	v_mov_b32_e32 v166, 0
	s_and_not1_b32 s11, s11, exec_lo
	s_delay_alu instid0(VALU_DEP_2) | instskip(NEXT) | instid1(SALU_CYCLE_1)
	s_and_b32 s26, vcc_lo, exec_lo
	s_or_b32 s11, s11, s26
	s_or_b32 exec_lo, exec_lo, s27
	s_and_saveexec_b32 s26, s11
	s_cbranch_execnz .LBB6_582
	s_branch .LBB6_583
.LBB6_2241:                             ;   in Loop: Header=BB6_143 Depth=2
	s_mov_b32 s11, -1
	s_mov_b32 s28, exec_lo
                                        ; implicit-def: $sgpr26
	v_cmpx_eq_u16_e64 0x80, v164
; %bb.2242:                             ;   in Loop: Header=BB6_143 Depth=2
	s_mov_b32 s26, 0x7f800001
	s_xor_b32 s11, exec_lo, -1
; %bb.2243:                             ;   in Loop: Header=BB6_143 Depth=2
	s_or_b32 exec_lo, exec_lo, s28
	s_delay_alu instid0(SALU_CYCLE_1)
	s_and_b32 s11, s11, exec_lo
	s_or_saveexec_b32 s27, s27
	v_mov_b32_e32 v167, s26
	s_xor_b32 exec_lo, exec_lo, s27
	s_cbranch_execz .LBB6_585
.LBB6_2244:                             ;   in Loop: Header=BB6_143 Depth=2
	v_cmp_ne_u16_e64 vcc_lo, 0, v164
	v_mov_b32_e32 v167, 0
	s_and_not1_b32 s11, s11, exec_lo
	s_delay_alu instid0(VALU_DEP_2) | instskip(NEXT) | instid1(SALU_CYCLE_1)
	s_and_b32 s26, vcc_lo, exec_lo
	s_or_b32 s11, s11, s26
	s_or_b32 exec_lo, exec_lo, s27
	s_and_saveexec_b32 s26, s11
	s_cbranch_execnz .LBB6_586
	s_branch .LBB6_587
.LBB6_2245:                             ;   in Loop: Header=BB6_143 Depth=2
	s_mov_b32 s11, -1
	s_mov_b32 s28, exec_lo
                                        ; implicit-def: $sgpr26
	v_cmpx_eq_u16_e64 0x80, v165
; %bb.2246:                             ;   in Loop: Header=BB6_143 Depth=2
	s_mov_b32 s26, 0x7f800001
	s_xor_b32 s11, exec_lo, -1
; %bb.2247:                             ;   in Loop: Header=BB6_143 Depth=2
	s_or_b32 exec_lo, exec_lo, s28
	s_delay_alu instid0(SALU_CYCLE_1)
	s_and_b32 s11, s11, exec_lo
	s_or_saveexec_b32 s27, s27
	v_mov_b32_e32 v166, s26
	s_xor_b32 exec_lo, exec_lo, s27
	s_cbranch_execz .LBB6_592
.LBB6_2248:                             ;   in Loop: Header=BB6_143 Depth=2
	v_cmp_ne_u16_e64 vcc_lo, 0, v165
	v_mov_b32_e32 v166, 0
	s_and_not1_b32 s11, s11, exec_lo
	s_delay_alu instid0(VALU_DEP_2) | instskip(NEXT) | instid1(SALU_CYCLE_1)
	s_and_b32 s26, vcc_lo, exec_lo
	s_or_b32 s11, s11, s26
	s_or_b32 exec_lo, exec_lo, s27
	s_and_saveexec_b32 s26, s11
	s_cbranch_execnz .LBB6_593
	s_branch .LBB6_594
.LBB6_2249:                             ;   in Loop: Header=BB6_143 Depth=2
	s_mov_b32 s11, -1
	s_mov_b32 s28, exec_lo
                                        ; implicit-def: $sgpr26
	v_cmpx_eq_u16_e64 0x80, v164
; %bb.2250:                             ;   in Loop: Header=BB6_143 Depth=2
	s_mov_b32 s26, 0x7f800001
	s_xor_b32 s11, exec_lo, -1
; %bb.2251:                             ;   in Loop: Header=BB6_143 Depth=2
	s_or_b32 exec_lo, exec_lo, s28
	s_delay_alu instid0(SALU_CYCLE_1)
	s_and_b32 s11, s11, exec_lo
	s_or_saveexec_b32 s27, s27
	v_mov_b32_e32 v51, s26
	s_xor_b32 exec_lo, exec_lo, s27
	s_cbranch_execz .LBB6_596
.LBB6_2252:                             ;   in Loop: Header=BB6_143 Depth=2
	v_cmp_ne_u16_e64 vcc_lo, 0, v164
	v_mov_b32_e32 v51, 0
	s_and_not1_b32 s11, s11, exec_lo
	s_delay_alu instid0(VALU_DEP_2) | instskip(NEXT) | instid1(SALU_CYCLE_1)
	s_and_b32 s26, vcc_lo, exec_lo
	s_or_b32 s11, s11, s26
	s_or_b32 exec_lo, exec_lo, s27
	s_and_saveexec_b32 s26, s11
	s_cbranch_execnz .LBB6_597
	s_branch .LBB6_598
.LBB6_2253:                             ;   in Loop: Header=BB6_143 Depth=2
	s_mov_b32 s11, -1
	s_mov_b32 s28, exec_lo
                                        ; implicit-def: $sgpr26
	v_cmpx_eq_u16_e64 0x80, v164
; %bb.2254:                             ;   in Loop: Header=BB6_143 Depth=2
	s_mov_b32 s26, 0x7f800001
	s_xor_b32 s11, exec_lo, -1
; %bb.2255:                             ;   in Loop: Header=BB6_143 Depth=2
	s_or_b32 exec_lo, exec_lo, s28
	s_delay_alu instid0(SALU_CYCLE_1)
	s_and_b32 s11, s11, exec_lo
                                        ; implicit-def: $vgpr164
	s_or_saveexec_b32 s27, s27
	v_mov_b32_e32 v51, s26
	s_xor_b32 exec_lo, exec_lo, s27
	s_cbranch_execz .LBB6_610
.LBB6_2256:                             ;   in Loop: Header=BB6_143 Depth=2
	v_cmp_ne_u16_e64 vcc_lo, 0, v164
	v_mov_b32_e32 v51, 0
	s_and_not1_b32 s11, s11, exec_lo
	s_delay_alu instid0(VALU_DEP_2) | instskip(NEXT) | instid1(SALU_CYCLE_1)
	s_and_b32 s26, vcc_lo, exec_lo
	s_or_b32 s11, s11, s26
	s_or_b32 exec_lo, exec_lo, s27
	s_and_saveexec_b32 s26, s11
	s_cbranch_execnz .LBB6_611
	s_branch .LBB6_612
.LBB6_2257:                             ;   in Loop: Header=BB6_143 Depth=2
	s_mov_b32 s11, -1
	s_mov_b32 s28, exec_lo
                                        ; implicit-def: $sgpr26
	v_cmpx_eq_u16_e64 0x80, v165
; %bb.2258:                             ;   in Loop: Header=BB6_143 Depth=2
	s_mov_b32 s26, 0x7f800001
	s_xor_b32 s11, exec_lo, -1
; %bb.2259:                             ;   in Loop: Header=BB6_143 Depth=2
	s_or_b32 exec_lo, exec_lo, s28
	s_delay_alu instid0(SALU_CYCLE_1)
	s_and_b32 s11, s11, exec_lo
                                        ; implicit-def: $vgpr165
	s_or_saveexec_b32 s27, s27
	v_mov_b32_e32 v164, s26
	s_xor_b32 exec_lo, exec_lo, s27
	s_cbranch_execz .LBB6_614
.LBB6_2260:                             ;   in Loop: Header=BB6_143 Depth=2
	v_cmp_ne_u16_e64 vcc_lo, 0, v165
	v_mov_b32_e32 v164, 0
	s_and_not1_b32 s11, s11, exec_lo
	s_delay_alu instid0(VALU_DEP_2) | instskip(NEXT) | instid1(SALU_CYCLE_1)
	s_and_b32 s26, vcc_lo, exec_lo
	s_or_b32 s11, s11, s26
	s_or_b32 exec_lo, exec_lo, s27
	s_and_saveexec_b32 s26, s11
	s_cbranch_execnz .LBB6_615
	s_branch .LBB6_616
.LBB6_2261:                             ;   in Loop: Header=BB6_143 Depth=2
	s_mov_b32 s11, -1
	s_mov_b32 s28, exec_lo
                                        ; implicit-def: $sgpr26
	v_cmpx_eq_u16_e64 0x80, v164
; %bb.2262:                             ;   in Loop: Header=BB6_143 Depth=2
	s_mov_b32 s26, 0x7f800001
	s_xor_b32 s11, exec_lo, -1
; %bb.2263:                             ;   in Loop: Header=BB6_143 Depth=2
	s_or_b32 exec_lo, exec_lo, s28
	s_delay_alu instid0(SALU_CYCLE_1)
	s_and_b32 s11, s11, exec_lo
                                        ; implicit-def: $vgpr164
	s_or_saveexec_b32 s27, s27
	v_mov_b32_e32 v51, s26
	s_xor_b32 exec_lo, exec_lo, s27
	s_cbranch_execz .LBB6_621
.LBB6_2264:                             ;   in Loop: Header=BB6_143 Depth=2
	v_cmp_ne_u16_e64 vcc_lo, 0, v164
	v_mov_b32_e32 v51, 0
	s_and_not1_b32 s11, s11, exec_lo
	s_delay_alu instid0(VALU_DEP_2) | instskip(NEXT) | instid1(SALU_CYCLE_1)
	s_and_b32 s26, vcc_lo, exec_lo
	s_or_b32 s11, s11, s26
	s_or_b32 exec_lo, exec_lo, s27
	s_and_saveexec_b32 s26, s11
	s_cbranch_execnz .LBB6_622
	s_branch .LBB6_623
.LBB6_2265:                             ;   in Loop: Header=BB6_143 Depth=2
	s_mov_b32 s11, -1
	s_mov_b32 s28, exec_lo
                                        ; implicit-def: $sgpr26
	v_cmpx_eq_u16_e64 0x80, v165
; %bb.2266:                             ;   in Loop: Header=BB6_143 Depth=2
	s_mov_b32 s26, 0x7f800001
	s_xor_b32 s11, exec_lo, -1
; %bb.2267:                             ;   in Loop: Header=BB6_143 Depth=2
	s_or_b32 exec_lo, exec_lo, s28
	s_delay_alu instid0(SALU_CYCLE_1)
	s_and_b32 s11, s11, exec_lo
                                        ; implicit-def: $vgpr165
	s_or_saveexec_b32 s27, s27
	v_mov_b32_e32 v164, s26
	s_xor_b32 exec_lo, exec_lo, s27
	s_cbranch_execz .LBB6_625
.LBB6_2268:                             ;   in Loop: Header=BB6_143 Depth=2
	v_cmp_ne_u16_e64 vcc_lo, 0, v165
	v_mov_b32_e32 v164, 0
	s_and_not1_b32 s11, s11, exec_lo
	s_delay_alu instid0(VALU_DEP_2) | instskip(NEXT) | instid1(SALU_CYCLE_1)
	s_and_b32 s26, vcc_lo, exec_lo
	s_or_b32 s11, s11, s26
	s_or_b32 exec_lo, exec_lo, s27
	s_and_saveexec_b32 s26, s11
	s_cbranch_execnz .LBB6_626
	s_branch .LBB6_627
.LBB6_2269:                             ;   in Loop: Header=BB6_143 Depth=2
	s_mov_b32 s11, -1
	s_mov_b32 s28, exec_lo
                                        ; implicit-def: $sgpr26
	v_cmpx_eq_u16_e64 0x80, v165
; %bb.2270:                             ;   in Loop: Header=BB6_143 Depth=2
	s_mov_b32 s26, 0x7f800001
	s_xor_b32 s11, exec_lo, -1
; %bb.2271:                             ;   in Loop: Header=BB6_143 Depth=2
	s_or_b32 exec_lo, exec_lo, s28
	s_delay_alu instid0(SALU_CYCLE_1)
	s_and_b32 s11, s11, exec_lo
	s_or_saveexec_b32 s27, s27
	v_mov_b32_e32 v166, s26
	s_xor_b32 exec_lo, exec_lo, s27
	s_cbranch_execz .LBB6_639
.LBB6_2272:                             ;   in Loop: Header=BB6_143 Depth=2
	v_cmp_ne_u16_e64 vcc_lo, 0, v165
	v_mov_b32_e32 v166, 0
	s_and_not1_b32 s11, s11, exec_lo
	s_delay_alu instid0(VALU_DEP_2) | instskip(NEXT) | instid1(SALU_CYCLE_1)
	s_and_b32 s26, vcc_lo, exec_lo
	s_or_b32 s11, s11, s26
	s_or_b32 exec_lo, exec_lo, s27
	s_and_saveexec_b32 s26, s11
	s_cbranch_execnz .LBB6_640
	s_branch .LBB6_641
.LBB6_2273:                             ;   in Loop: Header=BB6_143 Depth=2
	s_mov_b32 s11, -1
	s_mov_b32 s28, exec_lo
                                        ; implicit-def: $sgpr26
	v_cmpx_eq_u16_e64 0x80, v164
; %bb.2274:                             ;   in Loop: Header=BB6_143 Depth=2
	s_mov_b32 s26, 0x7f800001
	s_xor_b32 s11, exec_lo, -1
; %bb.2275:                             ;   in Loop: Header=BB6_143 Depth=2
	s_or_b32 exec_lo, exec_lo, s28
	s_delay_alu instid0(SALU_CYCLE_1)
	s_and_b32 s11, s11, exec_lo
	s_or_saveexec_b32 s27, s27
	v_mov_b32_e32 v167, s26
	s_xor_b32 exec_lo, exec_lo, s27
	s_cbranch_execz .LBB6_643
.LBB6_2276:                             ;   in Loop: Header=BB6_143 Depth=2
	v_cmp_ne_u16_e64 vcc_lo, 0, v164
	v_mov_b32_e32 v167, 0
	s_and_not1_b32 s11, s11, exec_lo
	s_delay_alu instid0(VALU_DEP_2) | instskip(NEXT) | instid1(SALU_CYCLE_1)
	s_and_b32 s26, vcc_lo, exec_lo
	s_or_b32 s11, s11, s26
	s_or_b32 exec_lo, exec_lo, s27
	s_and_saveexec_b32 s26, s11
	s_cbranch_execnz .LBB6_644
	s_branch .LBB6_645
.LBB6_2277:                             ;   in Loop: Header=BB6_143 Depth=2
	s_mov_b32 s11, -1
	s_mov_b32 s28, exec_lo
                                        ; implicit-def: $sgpr26
	v_cmpx_eq_u16_e64 0x80, v165
; %bb.2278:                             ;   in Loop: Header=BB6_143 Depth=2
	s_mov_b32 s26, 0x7f800001
	s_xor_b32 s11, exec_lo, -1
; %bb.2279:                             ;   in Loop: Header=BB6_143 Depth=2
	s_or_b32 exec_lo, exec_lo, s28
	s_delay_alu instid0(SALU_CYCLE_1)
	s_and_b32 s11, s11, exec_lo
	s_or_saveexec_b32 s27, s27
	v_mov_b32_e32 v166, s26
	s_xor_b32 exec_lo, exec_lo, s27
	s_cbranch_execz .LBB6_650
.LBB6_2280:                             ;   in Loop: Header=BB6_143 Depth=2
	v_cmp_ne_u16_e64 vcc_lo, 0, v165
	v_mov_b32_e32 v166, 0
	s_and_not1_b32 s11, s11, exec_lo
	s_delay_alu instid0(VALU_DEP_2) | instskip(NEXT) | instid1(SALU_CYCLE_1)
	s_and_b32 s26, vcc_lo, exec_lo
	s_or_b32 s11, s11, s26
	s_or_b32 exec_lo, exec_lo, s27
	s_and_saveexec_b32 s26, s11
	s_cbranch_execnz .LBB6_651
	s_branch .LBB6_652
.LBB6_2281:                             ;   in Loop: Header=BB6_143 Depth=2
	s_mov_b32 s11, -1
	s_mov_b32 s28, exec_lo
                                        ; implicit-def: $sgpr26
	v_cmpx_eq_u16_e64 0x80, v164
; %bb.2282:                             ;   in Loop: Header=BB6_143 Depth=2
	s_mov_b32 s26, 0x7f800001
	s_xor_b32 s11, exec_lo, -1
; %bb.2283:                             ;   in Loop: Header=BB6_143 Depth=2
	s_or_b32 exec_lo, exec_lo, s28
	s_delay_alu instid0(SALU_CYCLE_1)
	s_and_b32 s11, s11, exec_lo
	s_or_saveexec_b32 s27, s27
	v_mov_b32_e32 v165, s26
	s_xor_b32 exec_lo, exec_lo, s27
	s_cbranch_execz .LBB6_654
.LBB6_2284:                             ;   in Loop: Header=BB6_143 Depth=2
	v_cmp_ne_u16_e64 vcc_lo, 0, v164
	v_mov_b32_e32 v165, 0
	s_and_not1_b32 s11, s11, exec_lo
	s_delay_alu instid0(VALU_DEP_2) | instskip(NEXT) | instid1(SALU_CYCLE_1)
	s_and_b32 s26, vcc_lo, exec_lo
	s_or_b32 s11, s11, s26
	s_or_b32 exec_lo, exec_lo, s27
	s_and_saveexec_b32 s26, s11
	s_cbranch_execnz .LBB6_655
	s_branch .LBB6_656
.LBB6_2285:                             ;   in Loop: Header=BB6_143 Depth=2
	s_mov_b32 s11, -1
	s_mov_b32 s28, exec_lo
                                        ; implicit-def: $sgpr26
	v_cmpx_eq_u16_e64 0x80, v176
; %bb.2286:                             ;   in Loop: Header=BB6_143 Depth=2
	s_mov_b32 s26, 0x7f800001
	s_xor_b32 s11, exec_lo, -1
; %bb.2287:                             ;   in Loop: Header=BB6_143 Depth=2
	s_or_b32 exec_lo, exec_lo, s28
	s_delay_alu instid0(SALU_CYCLE_1)
	s_and_b32 s11, s11, exec_lo
                                        ; implicit-def: $vgpr176
	s_or_saveexec_b32 s27, s27
	v_mov_b32_e32 v167, s26
	s_xor_b32 exec_lo, exec_lo, s27
	s_cbranch_execz .LBB6_668
.LBB6_2288:                             ;   in Loop: Header=BB6_143 Depth=2
	v_cmp_ne_u16_e64 vcc_lo, 0, v176
	v_mov_b32_e32 v167, 0
	s_and_not1_b32 s11, s11, exec_lo
	s_delay_alu instid0(VALU_DEP_2) | instskip(NEXT) | instid1(SALU_CYCLE_1)
	s_and_b32 s26, vcc_lo, exec_lo
	s_or_b32 s11, s11, s26
	s_or_b32 exec_lo, exec_lo, s27
	s_and_saveexec_b32 s26, s11
	s_cbranch_execnz .LBB6_669
	s_branch .LBB6_670
.LBB6_2289:                             ;   in Loop: Header=BB6_143 Depth=2
	s_mov_b32 s11, -1
	s_mov_b32 s28, exec_lo
                                        ; implicit-def: $sgpr26
	v_cmpx_eq_u16_e64 0x80, v177
; %bb.2290:                             ;   in Loop: Header=BB6_143 Depth=2
	s_mov_b32 s26, 0x7f800001
	s_xor_b32 s11, exec_lo, -1
; %bb.2291:                             ;   in Loop: Header=BB6_143 Depth=2
	s_or_b32 exec_lo, exec_lo, s28
	s_delay_alu instid0(SALU_CYCLE_1)
	s_and_b32 s11, s11, exec_lo
                                        ; implicit-def: $vgpr177
	s_or_saveexec_b32 s27, s27
	v_mov_b32_e32 v176, s26
	s_xor_b32 exec_lo, exec_lo, s27
	s_cbranch_execz .LBB6_672
.LBB6_2292:                             ;   in Loop: Header=BB6_143 Depth=2
	v_cmp_ne_u16_e64 vcc_lo, 0, v177
	v_mov_b32_e32 v176, 0
	s_and_not1_b32 s11, s11, exec_lo
	s_delay_alu instid0(VALU_DEP_2) | instskip(NEXT) | instid1(SALU_CYCLE_1)
	s_and_b32 s26, vcc_lo, exec_lo
	s_or_b32 s11, s11, s26
	s_or_b32 exec_lo, exec_lo, s27
	s_and_saveexec_b32 s26, s11
	s_cbranch_execnz .LBB6_673
	s_branch .LBB6_674
.LBB6_2293:                             ;   in Loop: Header=BB6_143 Depth=2
	s_mov_b32 s11, -1
	s_mov_b32 s28, exec_lo
                                        ; implicit-def: $sgpr26
	v_cmpx_eq_u16_e64 0x80, v176
; %bb.2294:                             ;   in Loop: Header=BB6_143 Depth=2
	s_mov_b32 s26, 0x7f800001
	s_xor_b32 s11, exec_lo, -1
; %bb.2295:                             ;   in Loop: Header=BB6_143 Depth=2
	s_or_b32 exec_lo, exec_lo, s28
	s_delay_alu instid0(SALU_CYCLE_1)
	s_and_b32 s11, s11, exec_lo
                                        ; implicit-def: $vgpr176
	s_or_saveexec_b32 s27, s27
	v_mov_b32_e32 v167, s26
	s_xor_b32 exec_lo, exec_lo, s27
	s_cbranch_execz .LBB6_679
.LBB6_2296:                             ;   in Loop: Header=BB6_143 Depth=2
	v_cmp_ne_u16_e64 vcc_lo, 0, v176
	v_mov_b32_e32 v167, 0
	s_and_not1_b32 s11, s11, exec_lo
	s_delay_alu instid0(VALU_DEP_2) | instskip(NEXT) | instid1(SALU_CYCLE_1)
	s_and_b32 s26, vcc_lo, exec_lo
	s_or_b32 s11, s11, s26
	s_or_b32 exec_lo, exec_lo, s27
	s_and_saveexec_b32 s26, s11
	s_cbranch_execnz .LBB6_680
	s_branch .LBB6_681
.LBB6_2297:                             ;   in Loop: Header=BB6_143 Depth=2
	s_mov_b32 s11, -1
	s_mov_b32 s28, exec_lo
                                        ; implicit-def: $sgpr26
	v_cmpx_eq_u16_e64 0x80, v176
; %bb.2298:                             ;   in Loop: Header=BB6_143 Depth=2
	s_mov_b32 s26, 0x7f800001
	s_xor_b32 s11, exec_lo, -1
; %bb.2299:                             ;   in Loop: Header=BB6_143 Depth=2
	s_or_b32 exec_lo, exec_lo, s28
	s_delay_alu instid0(SALU_CYCLE_1)
	s_and_b32 s11, s11, exec_lo
                                        ; implicit-def: $vgpr176
	s_or_saveexec_b32 s27, s27
	v_mov_b32_e32 v166, s26
	s_xor_b32 exec_lo, exec_lo, s27
	s_cbranch_execz .LBB6_683
.LBB6_2300:                             ;   in Loop: Header=BB6_143 Depth=2
	v_cmp_ne_u16_e64 vcc_lo, 0, v176
	v_mov_b32_e32 v166, 0
	s_and_not1_b32 s11, s11, exec_lo
	s_delay_alu instid0(VALU_DEP_2) | instskip(NEXT) | instid1(SALU_CYCLE_1)
	s_and_b32 s26, vcc_lo, exec_lo
	s_or_b32 s11, s11, s26
	s_or_b32 exec_lo, exec_lo, s27
	s_and_saveexec_b32 s26, s11
	s_cbranch_execnz .LBB6_684
	s_branch .LBB6_685
.LBB6_2301:                             ;   in Loop: Header=BB6_143 Depth=2
	s_mov_b32 s11, -1
	s_mov_b32 s28, exec_lo
                                        ; implicit-def: $sgpr26
	v_cmpx_eq_u16_e64 0x80, v167
; %bb.2302:                             ;   in Loop: Header=BB6_143 Depth=2
	s_mov_b32 s26, 0x7f800001
	s_xor_b32 s11, exec_lo, -1
; %bb.2303:                             ;   in Loop: Header=BB6_143 Depth=2
	s_or_b32 exec_lo, exec_lo, s28
	s_delay_alu instid0(SALU_CYCLE_1)
	s_and_b32 s11, s11, exec_lo
	s_or_saveexec_b32 s27, s27
	v_mov_b32_e32 v176, s26
	s_xor_b32 exec_lo, exec_lo, s27
	s_cbranch_execz .LBB6_697
.LBB6_2304:                             ;   in Loop: Header=BB6_143 Depth=2
	v_cmp_ne_u16_e64 vcc_lo, 0, v167
	v_mov_b32_e32 v176, 0
	s_and_not1_b32 s11, s11, exec_lo
	s_delay_alu instid0(VALU_DEP_2) | instskip(NEXT) | instid1(SALU_CYCLE_1)
	s_and_b32 s26, vcc_lo, exec_lo
	s_or_b32 s11, s11, s26
	s_or_b32 exec_lo, exec_lo, s27
	s_and_saveexec_b32 s26, s11
	s_cbranch_execnz .LBB6_698
	s_branch .LBB6_699
.LBB6_2305:                             ;   in Loop: Header=BB6_143 Depth=2
	s_mov_b32 s11, -1
	s_mov_b32 s28, exec_lo
                                        ; implicit-def: $sgpr26
	v_cmpx_eq_u16_e64 0x80, v166
; %bb.2306:                             ;   in Loop: Header=BB6_143 Depth=2
	s_mov_b32 s26, 0x7f800001
	s_xor_b32 s11, exec_lo, -1
; %bb.2307:                             ;   in Loop: Header=BB6_143 Depth=2
	s_or_b32 exec_lo, exec_lo, s28
	s_delay_alu instid0(SALU_CYCLE_1)
	s_and_b32 s11, s11, exec_lo
	s_or_saveexec_b32 s27, s27
	v_mov_b32_e32 v177, s26
	s_xor_b32 exec_lo, exec_lo, s27
	s_cbranch_execz .LBB6_701
.LBB6_2308:                             ;   in Loop: Header=BB6_143 Depth=2
	v_cmp_ne_u16_e64 vcc_lo, 0, v166
	v_mov_b32_e32 v177, 0
	s_and_not1_b32 s11, s11, exec_lo
	s_delay_alu instid0(VALU_DEP_2) | instskip(NEXT) | instid1(SALU_CYCLE_1)
	s_and_b32 s26, vcc_lo, exec_lo
	s_or_b32 s11, s11, s26
	s_or_b32 exec_lo, exec_lo, s27
	s_and_saveexec_b32 s26, s11
	s_cbranch_execnz .LBB6_702
	s_branch .LBB6_703
.LBB6_2309:                             ;   in Loop: Header=BB6_143 Depth=2
	s_mov_b32 s11, -1
	s_mov_b32 s28, exec_lo
                                        ; implicit-def: $sgpr26
	v_cmpx_eq_u16_e64 0x80, v167
; %bb.2310:                             ;   in Loop: Header=BB6_143 Depth=2
	s_mov_b32 s26, 0x7f800001
	s_xor_b32 s11, exec_lo, -1
; %bb.2311:                             ;   in Loop: Header=BB6_143 Depth=2
	s_or_b32 exec_lo, exec_lo, s28
	s_delay_alu instid0(SALU_CYCLE_1)
	s_and_b32 s11, s11, exec_lo
	s_or_saveexec_b32 s27, s27
	v_mov_b32_e32 v176, s26
	s_xor_b32 exec_lo, exec_lo, s27
	s_cbranch_execz .LBB6_708
.LBB6_2312:                             ;   in Loop: Header=BB6_143 Depth=2
	v_cmp_ne_u16_e64 vcc_lo, 0, v167
	v_mov_b32_e32 v176, 0
	s_and_not1_b32 s11, s11, exec_lo
	s_delay_alu instid0(VALU_DEP_2) | instskip(NEXT) | instid1(SALU_CYCLE_1)
	s_and_b32 s26, vcc_lo, exec_lo
	s_or_b32 s11, s11, s26
	s_or_b32 exec_lo, exec_lo, s27
	s_and_saveexec_b32 s26, s11
	s_cbranch_execnz .LBB6_709
	s_branch .LBB6_710
.LBB6_2313:                             ;   in Loop: Header=BB6_143 Depth=2
	s_mov_b32 s11, -1
	s_mov_b32 s28, exec_lo
                                        ; implicit-def: $sgpr26
	v_cmpx_eq_u16_e64 0x80, v166
; %bb.2314:                             ;   in Loop: Header=BB6_143 Depth=2
	s_mov_b32 s26, 0x7f800001
	s_xor_b32 s11, exec_lo, -1
; %bb.2315:                             ;   in Loop: Header=BB6_143 Depth=2
	s_or_b32 exec_lo, exec_lo, s28
	s_delay_alu instid0(SALU_CYCLE_1)
	s_and_b32 s11, s11, exec_lo
	s_or_saveexec_b32 s27, s27
	v_mov_b32_e32 v32, s26
	s_xor_b32 exec_lo, exec_lo, s27
	s_cbranch_execz .LBB6_712
.LBB6_2316:                             ;   in Loop: Header=BB6_143 Depth=2
	v_cmp_ne_u16_e64 vcc_lo, 0, v166
	v_mov_b32_e32 v32, 0
	s_and_not1_b32 s11, s11, exec_lo
	s_delay_alu instid0(VALU_DEP_2) | instskip(NEXT) | instid1(SALU_CYCLE_1)
	s_and_b32 s26, vcc_lo, exec_lo
	s_or_b32 s11, s11, s26
	s_or_b32 exec_lo, exec_lo, s27
	s_and_saveexec_b32 s26, s11
	s_cbranch_execnz .LBB6_713
	s_branch .LBB6_714
.LBB6_2317:                             ;   in Loop: Header=BB6_143 Depth=2
	s_mov_b32 s11, -1
	s_mov_b32 s28, exec_lo
                                        ; implicit-def: $sgpr26
	v_cmpx_eq_u16_e64 0x80, v166
; %bb.2318:                             ;   in Loop: Header=BB6_143 Depth=2
	s_mov_b32 s26, 0x7f800001
	s_xor_b32 s11, exec_lo, -1
; %bb.2319:                             ;   in Loop: Header=BB6_143 Depth=2
	s_or_b32 exec_lo, exec_lo, s28
	s_delay_alu instid0(SALU_CYCLE_1)
	s_and_b32 s11, s11, exec_lo
                                        ; implicit-def: $vgpr166
	s_or_saveexec_b32 s27, s27
	v_mov_b32_e32 v32, s26
	s_xor_b32 exec_lo, exec_lo, s27
	s_cbranch_execz .LBB6_726
.LBB6_2320:                             ;   in Loop: Header=BB6_143 Depth=2
	v_cmp_ne_u16_e64 vcc_lo, 0, v166
	v_mov_b32_e32 v32, 0
	s_and_not1_b32 s11, s11, exec_lo
	s_delay_alu instid0(VALU_DEP_2) | instskip(NEXT) | instid1(SALU_CYCLE_1)
	s_and_b32 s26, vcc_lo, exec_lo
	s_or_b32 s11, s11, s26
	s_or_b32 exec_lo, exec_lo, s27
	s_and_saveexec_b32 s26, s11
	s_cbranch_execnz .LBB6_727
	s_branch .LBB6_728
.LBB6_2321:                             ;   in Loop: Header=BB6_143 Depth=2
	s_mov_b32 s11, -1
	s_mov_b32 s28, exec_lo
                                        ; implicit-def: $sgpr26
	v_cmpx_eq_u16_e64 0x80, v167
; %bb.2322:                             ;   in Loop: Header=BB6_143 Depth=2
	s_mov_b32 s26, 0x7f800001
	s_xor_b32 s11, exec_lo, -1
; %bb.2323:                             ;   in Loop: Header=BB6_143 Depth=2
	s_or_b32 exec_lo, exec_lo, s28
	s_delay_alu instid0(SALU_CYCLE_1)
	s_and_b32 s11, s11, exec_lo
                                        ; implicit-def: $vgpr167
	s_or_saveexec_b32 s27, s27
	v_mov_b32_e32 v166, s26
	s_xor_b32 exec_lo, exec_lo, s27
	s_cbranch_execz .LBB6_730
.LBB6_2324:                             ;   in Loop: Header=BB6_143 Depth=2
	v_cmp_ne_u16_e64 vcc_lo, 0, v167
	v_mov_b32_e32 v166, 0
	s_and_not1_b32 s11, s11, exec_lo
	s_delay_alu instid0(VALU_DEP_2) | instskip(NEXT) | instid1(SALU_CYCLE_1)
	s_and_b32 s26, vcc_lo, exec_lo
	s_or_b32 s11, s11, s26
	s_or_b32 exec_lo, exec_lo, s27
	s_and_saveexec_b32 s26, s11
	s_cbranch_execnz .LBB6_731
	s_branch .LBB6_732
.LBB6_2325:                             ;   in Loop: Header=BB6_143 Depth=2
	s_mov_b32 s11, -1
	s_mov_b32 s28, exec_lo
                                        ; implicit-def: $sgpr26
	v_cmpx_eq_u16_e64 0x80, v166
; %bb.2326:                             ;   in Loop: Header=BB6_143 Depth=2
	s_mov_b32 s26, 0x7f800001
	s_xor_b32 s11, exec_lo, -1
; %bb.2327:                             ;   in Loop: Header=BB6_143 Depth=2
	s_or_b32 exec_lo, exec_lo, s28
	s_delay_alu instid0(SALU_CYCLE_1)
	s_and_b32 s11, s11, exec_lo
                                        ; implicit-def: $vgpr166
	s_or_saveexec_b32 s27, s27
	v_mov_b32_e32 v32, s26
	s_xor_b32 exec_lo, exec_lo, s27
	s_cbranch_execz .LBB6_737
.LBB6_2328:                             ;   in Loop: Header=BB6_143 Depth=2
	v_cmp_ne_u16_e64 vcc_lo, 0, v166
	v_mov_b32_e32 v32, 0
	s_and_not1_b32 s11, s11, exec_lo
	s_delay_alu instid0(VALU_DEP_2) | instskip(NEXT) | instid1(SALU_CYCLE_1)
	s_and_b32 s26, vcc_lo, exec_lo
	s_or_b32 s11, s11, s26
	s_or_b32 exec_lo, exec_lo, s27
	s_and_saveexec_b32 s26, s11
	s_cbranch_execnz .LBB6_738
	s_branch .LBB6_739
.LBB6_2329:                             ;   in Loop: Header=BB6_143 Depth=2
	s_mov_b32 s11, -1
	s_mov_b32 s28, exec_lo
                                        ; implicit-def: $sgpr26
	v_cmpx_eq_u16_e64 0x80, v167
; %bb.2330:                             ;   in Loop: Header=BB6_143 Depth=2
	s_mov_b32 s26, 0x7f800001
	s_xor_b32 s11, exec_lo, -1
; %bb.2331:                             ;   in Loop: Header=BB6_143 Depth=2
	s_or_b32 exec_lo, exec_lo, s28
	s_delay_alu instid0(SALU_CYCLE_1)
	s_and_b32 s11, s11, exec_lo
                                        ; implicit-def: $vgpr167
	s_or_saveexec_b32 s27, s27
	v_mov_b32_e32 v166, s26
	s_xor_b32 exec_lo, exec_lo, s27
	s_cbranch_execz .LBB6_741
.LBB6_2332:                             ;   in Loop: Header=BB6_143 Depth=2
	v_cmp_ne_u16_e64 vcc_lo, 0, v167
	v_mov_b32_e32 v166, 0
	s_and_not1_b32 s11, s11, exec_lo
	s_delay_alu instid0(VALU_DEP_2) | instskip(NEXT) | instid1(SALU_CYCLE_1)
	s_and_b32 s26, vcc_lo, exec_lo
	s_or_b32 s11, s11, s26
	s_or_b32 exec_lo, exec_lo, s27
	s_and_saveexec_b32 s26, s11
	s_cbranch_execnz .LBB6_742
	s_branch .LBB6_743
.LBB6_2333:                             ;   in Loop: Header=BB6_143 Depth=2
	s_mov_b32 s11, -1
	s_mov_b32 s28, exec_lo
                                        ; implicit-def: $sgpr26
	v_cmpx_eq_u16_e64 0x80, v167
; %bb.2334:                             ;   in Loop: Header=BB6_143 Depth=2
	s_mov_b32 s26, 0x7f800001
	s_xor_b32 s11, exec_lo, -1
; %bb.2335:                             ;   in Loop: Header=BB6_143 Depth=2
	s_or_b32 exec_lo, exec_lo, s28
	s_delay_alu instid0(SALU_CYCLE_1)
	s_and_b32 s11, s11, exec_lo
	s_or_saveexec_b32 s27, s27
	v_mov_b32_e32 v176, s26
	s_xor_b32 exec_lo, exec_lo, s27
	s_cbranch_execz .LBB6_755
.LBB6_2336:                             ;   in Loop: Header=BB6_143 Depth=2
	v_cmp_ne_u16_e64 vcc_lo, 0, v167
	v_mov_b32_e32 v176, 0
	s_and_not1_b32 s11, s11, exec_lo
	s_delay_alu instid0(VALU_DEP_2) | instskip(NEXT) | instid1(SALU_CYCLE_1)
	s_and_b32 s26, vcc_lo, exec_lo
	s_or_b32 s11, s11, s26
	s_or_b32 exec_lo, exec_lo, s27
	s_and_saveexec_b32 s26, s11
	s_cbranch_execnz .LBB6_756
	s_branch .LBB6_757
.LBB6_2337:                             ;   in Loop: Header=BB6_143 Depth=2
	s_mov_b32 s11, -1
	s_mov_b32 s28, exec_lo
                                        ; implicit-def: $sgpr26
	v_cmpx_eq_u16_e64 0x80, v166
; %bb.2338:                             ;   in Loop: Header=BB6_143 Depth=2
	s_mov_b32 s26, 0x7f800001
	s_xor_b32 s11, exec_lo, -1
; %bb.2339:                             ;   in Loop: Header=BB6_143 Depth=2
	s_or_b32 exec_lo, exec_lo, s28
	s_delay_alu instid0(SALU_CYCLE_1)
	s_and_b32 s11, s11, exec_lo
	s_or_saveexec_b32 s27, s27
	v_mov_b32_e32 v177, s26
	s_xor_b32 exec_lo, exec_lo, s27
	s_cbranch_execz .LBB6_759
.LBB6_2340:                             ;   in Loop: Header=BB6_143 Depth=2
	v_cmp_ne_u16_e64 vcc_lo, 0, v166
	v_mov_b32_e32 v177, 0
	s_and_not1_b32 s11, s11, exec_lo
	s_delay_alu instid0(VALU_DEP_2) | instskip(NEXT) | instid1(SALU_CYCLE_1)
	s_and_b32 s26, vcc_lo, exec_lo
	s_or_b32 s11, s11, s26
	s_or_b32 exec_lo, exec_lo, s27
	s_and_saveexec_b32 s26, s11
	s_cbranch_execnz .LBB6_760
	s_branch .LBB6_761
.LBB6_2341:                             ;   in Loop: Header=BB6_143 Depth=2
	s_mov_b32 s11, -1
	s_mov_b32 s28, exec_lo
                                        ; implicit-def: $sgpr26
	v_cmpx_eq_u16_e64 0x80, v167
; %bb.2342:                             ;   in Loop: Header=BB6_143 Depth=2
	s_mov_b32 s26, 0x7f800001
	s_xor_b32 s11, exec_lo, -1
; %bb.2343:                             ;   in Loop: Header=BB6_143 Depth=2
	s_or_b32 exec_lo, exec_lo, s28
	s_delay_alu instid0(SALU_CYCLE_1)
	s_and_b32 s11, s11, exec_lo
	s_or_saveexec_b32 s27, s27
	v_mov_b32_e32 v176, s26
	s_xor_b32 exec_lo, exec_lo, s27
	s_cbranch_execz .LBB6_766
.LBB6_2344:                             ;   in Loop: Header=BB6_143 Depth=2
	v_cmp_ne_u16_e64 vcc_lo, 0, v167
	v_mov_b32_e32 v176, 0
	s_and_not1_b32 s11, s11, exec_lo
	s_delay_alu instid0(VALU_DEP_2) | instskip(NEXT) | instid1(SALU_CYCLE_1)
	s_and_b32 s26, vcc_lo, exec_lo
	s_or_b32 s11, s11, s26
	s_or_b32 exec_lo, exec_lo, s27
	s_and_saveexec_b32 s26, s11
	s_cbranch_execnz .LBB6_767
	s_branch .LBB6_768
.LBB6_2345:                             ;   in Loop: Header=BB6_143 Depth=2
	s_mov_b32 s11, -1
	s_mov_b32 s28, exec_lo
                                        ; implicit-def: $sgpr26
	v_cmpx_eq_u16_e64 0x80, v166
; %bb.2346:                             ;   in Loop: Header=BB6_143 Depth=2
	s_mov_b32 s26, 0x7f800001
	s_xor_b32 s11, exec_lo, -1
; %bb.2347:                             ;   in Loop: Header=BB6_143 Depth=2
	s_or_b32 exec_lo, exec_lo, s28
	s_delay_alu instid0(SALU_CYCLE_1)
	s_and_b32 s11, s11, exec_lo
	s_or_saveexec_b32 s27, s27
	v_mov_b32_e32 v167, s26
	s_xor_b32 exec_lo, exec_lo, s27
	s_cbranch_execz .LBB6_770
.LBB6_2348:                             ;   in Loop: Header=BB6_143 Depth=2
	v_cmp_ne_u16_e64 vcc_lo, 0, v166
	v_mov_b32_e32 v167, 0
	s_and_not1_b32 s11, s11, exec_lo
	s_delay_alu instid0(VALU_DEP_2) | instskip(NEXT) | instid1(SALU_CYCLE_1)
	s_and_b32 s26, vcc_lo, exec_lo
	s_or_b32 s11, s11, s26
	s_or_b32 exec_lo, exec_lo, s27
	s_and_saveexec_b32 s26, s11
	s_cbranch_execnz .LBB6_771
	s_branch .LBB6_772
.LBB6_2349:                             ;   in Loop: Header=BB6_143 Depth=2
	s_mov_b32 s11, -1
	s_mov_b32 s28, exec_lo
                                        ; implicit-def: $sgpr26
	v_cmpx_eq_u16_e64 0x80, v178
; %bb.2350:                             ;   in Loop: Header=BB6_143 Depth=2
	s_mov_b32 s26, 0x7f800001
	s_xor_b32 s11, exec_lo, -1
; %bb.2351:                             ;   in Loop: Header=BB6_143 Depth=2
	s_or_b32 exec_lo, exec_lo, s28
	s_delay_alu instid0(SALU_CYCLE_1)
	s_and_b32 s11, s11, exec_lo
                                        ; implicit-def: $vgpr178
	s_or_saveexec_b32 s27, s27
	v_mov_b32_e32 v177, s26
	s_xor_b32 exec_lo, exec_lo, s27
	s_cbranch_execz .LBB6_784
.LBB6_2352:                             ;   in Loop: Header=BB6_143 Depth=2
	v_cmp_ne_u16_e64 vcc_lo, 0, v178
	v_mov_b32_e32 v177, 0
	s_and_not1_b32 s11, s11, exec_lo
	s_delay_alu instid0(VALU_DEP_2) | instskip(NEXT) | instid1(SALU_CYCLE_1)
	s_and_b32 s26, vcc_lo, exec_lo
	s_or_b32 s11, s11, s26
	s_or_b32 exec_lo, exec_lo, s27
	s_and_saveexec_b32 s26, s11
	s_cbranch_execnz .LBB6_785
	s_branch .LBB6_786
.LBB6_2353:                             ;   in Loop: Header=BB6_143 Depth=2
	s_mov_b32 s11, -1
	s_mov_b32 s28, exec_lo
                                        ; implicit-def: $sgpr26
	v_cmpx_eq_u16_e64 0x80, v179
; %bb.2354:                             ;   in Loop: Header=BB6_143 Depth=2
	s_mov_b32 s26, 0x7f800001
	s_xor_b32 s11, exec_lo, -1
; %bb.2355:                             ;   in Loop: Header=BB6_143 Depth=2
	s_or_b32 exec_lo, exec_lo, s28
	s_delay_alu instid0(SALU_CYCLE_1)
	s_and_b32 s11, s11, exec_lo
                                        ; implicit-def: $vgpr179
	s_or_saveexec_b32 s27, s27
	v_mov_b32_e32 v178, s26
	s_xor_b32 exec_lo, exec_lo, s27
	s_cbranch_execz .LBB6_788
.LBB6_2356:                             ;   in Loop: Header=BB6_143 Depth=2
	v_cmp_ne_u16_e64 vcc_lo, 0, v179
	v_mov_b32_e32 v178, 0
	s_and_not1_b32 s11, s11, exec_lo
	s_delay_alu instid0(VALU_DEP_2) | instskip(NEXT) | instid1(SALU_CYCLE_1)
	s_and_b32 s26, vcc_lo, exec_lo
	s_or_b32 s11, s11, s26
	s_or_b32 exec_lo, exec_lo, s27
	s_and_saveexec_b32 s26, s11
	s_cbranch_execnz .LBB6_789
	s_branch .LBB6_790
.LBB6_2357:                             ;   in Loop: Header=BB6_143 Depth=2
	s_mov_b32 s11, -1
	s_mov_b32 s28, exec_lo
                                        ; implicit-def: $sgpr26
	v_cmpx_eq_u16_e64 0x80, v178
; %bb.2358:                             ;   in Loop: Header=BB6_143 Depth=2
	s_mov_b32 s26, 0x7f800001
	s_xor_b32 s11, exec_lo, -1
; %bb.2359:                             ;   in Loop: Header=BB6_143 Depth=2
	s_or_b32 exec_lo, exec_lo, s28
	s_delay_alu instid0(SALU_CYCLE_1)
	s_and_b32 s11, s11, exec_lo
                                        ; implicit-def: $vgpr178
	s_or_saveexec_b32 s27, s27
	v_mov_b32_e32 v177, s26
	s_xor_b32 exec_lo, exec_lo, s27
	s_cbranch_execz .LBB6_795
.LBB6_2360:                             ;   in Loop: Header=BB6_143 Depth=2
	v_cmp_ne_u16_e64 vcc_lo, 0, v178
	v_mov_b32_e32 v177, 0
	s_and_not1_b32 s11, s11, exec_lo
	s_delay_alu instid0(VALU_DEP_2) | instskip(NEXT) | instid1(SALU_CYCLE_1)
	s_and_b32 s26, vcc_lo, exec_lo
	s_or_b32 s11, s11, s26
	s_or_b32 exec_lo, exec_lo, s27
	s_and_saveexec_b32 s26, s11
	s_cbranch_execnz .LBB6_796
	s_branch .LBB6_797
.LBB6_2361:                             ;   in Loop: Header=BB6_143 Depth=2
	s_mov_b32 s11, -1
	s_mov_b32 s28, exec_lo
                                        ; implicit-def: $sgpr26
	v_cmpx_eq_u16_e64 0x80, v178
; %bb.2362:                             ;   in Loop: Header=BB6_143 Depth=2
	s_mov_b32 s26, 0x7f800001
	s_xor_b32 s11, exec_lo, -1
; %bb.2363:                             ;   in Loop: Header=BB6_143 Depth=2
	s_or_b32 exec_lo, exec_lo, s28
	s_delay_alu instid0(SALU_CYCLE_1)
	s_and_b32 s11, s11, exec_lo
                                        ; implicit-def: $vgpr178
	s_or_saveexec_b32 s27, s27
	v_mov_b32_e32 v176, s26
	s_xor_b32 exec_lo, exec_lo, s27
	s_cbranch_execz .LBB6_799
.LBB6_2364:                             ;   in Loop: Header=BB6_143 Depth=2
	v_cmp_ne_u16_e64 vcc_lo, 0, v178
	v_mov_b32_e32 v176, 0
	s_and_not1_b32 s11, s11, exec_lo
	s_delay_alu instid0(VALU_DEP_2) | instskip(NEXT) | instid1(SALU_CYCLE_1)
	s_and_b32 s26, vcc_lo, exec_lo
	s_or_b32 s11, s11, s26
	s_or_b32 exec_lo, exec_lo, s27
	s_and_saveexec_b32 s26, s11
	s_cbranch_execnz .LBB6_800
	s_branch .LBB6_801
.LBB6_2365:                             ;   in Loop: Header=BB6_143 Depth=2
	s_mov_b32 s11, -1
	s_mov_b32 s28, exec_lo
                                        ; implicit-def: $sgpr26
	v_cmpx_eq_u16_e64 0x80, v177
; %bb.2366:                             ;   in Loop: Header=BB6_143 Depth=2
	s_mov_b32 s26, 0x7f800001
	s_xor_b32 s11, exec_lo, -1
; %bb.2367:                             ;   in Loop: Header=BB6_143 Depth=2
	s_or_b32 exec_lo, exec_lo, s28
	s_delay_alu instid0(SALU_CYCLE_1)
	s_and_b32 s11, s11, exec_lo
	s_or_saveexec_b32 s27, s27
	v_mov_b32_e32 v178, s26
	s_xor_b32 exec_lo, exec_lo, s27
	s_cbranch_execz .LBB6_813
.LBB6_2368:                             ;   in Loop: Header=BB6_143 Depth=2
	v_cmp_ne_u16_e64 vcc_lo, 0, v177
	v_mov_b32_e32 v178, 0
	s_and_not1_b32 s11, s11, exec_lo
	s_delay_alu instid0(VALU_DEP_2) | instskip(NEXT) | instid1(SALU_CYCLE_1)
	s_and_b32 s26, vcc_lo, exec_lo
	s_or_b32 s11, s11, s26
	s_or_b32 exec_lo, exec_lo, s27
	s_and_saveexec_b32 s26, s11
	s_cbranch_execnz .LBB6_814
	s_branch .LBB6_815
.LBB6_2369:                             ;   in Loop: Header=BB6_143 Depth=2
	s_mov_b32 s11, -1
	s_mov_b32 s28, exec_lo
                                        ; implicit-def: $sgpr26
	v_cmpx_eq_u16_e64 0x80, v176
; %bb.2370:                             ;   in Loop: Header=BB6_143 Depth=2
	s_mov_b32 s26, 0x7f800001
	s_xor_b32 s11, exec_lo, -1
; %bb.2371:                             ;   in Loop: Header=BB6_143 Depth=2
	s_or_b32 exec_lo, exec_lo, s28
	s_delay_alu instid0(SALU_CYCLE_1)
	s_and_b32 s11, s11, exec_lo
	s_or_saveexec_b32 s27, s27
	v_mov_b32_e32 v179, s26
	s_xor_b32 exec_lo, exec_lo, s27
	s_cbranch_execz .LBB6_817
.LBB6_2372:                             ;   in Loop: Header=BB6_143 Depth=2
	v_cmp_ne_u16_e64 vcc_lo, 0, v176
	v_mov_b32_e32 v179, 0
	s_and_not1_b32 s11, s11, exec_lo
	s_delay_alu instid0(VALU_DEP_2) | instskip(NEXT) | instid1(SALU_CYCLE_1)
	s_and_b32 s26, vcc_lo, exec_lo
	s_or_b32 s11, s11, s26
	s_or_b32 exec_lo, exec_lo, s27
	s_and_saveexec_b32 s26, s11
	s_cbranch_execnz .LBB6_818
	s_branch .LBB6_819
.LBB6_2373:                             ;   in Loop: Header=BB6_143 Depth=2
	s_mov_b32 s11, -1
	s_mov_b32 s28, exec_lo
                                        ; implicit-def: $sgpr26
	v_cmpx_eq_u16_e64 0x80, v177
; %bb.2374:                             ;   in Loop: Header=BB6_143 Depth=2
	s_mov_b32 s26, 0x7f800001
	s_xor_b32 s11, exec_lo, -1
; %bb.2375:                             ;   in Loop: Header=BB6_143 Depth=2
	s_or_b32 exec_lo, exec_lo, s28
	s_delay_alu instid0(SALU_CYCLE_1)
	s_and_b32 s11, s11, exec_lo
	s_or_saveexec_b32 s27, s27
	v_mov_b32_e32 v178, s26
	s_xor_b32 exec_lo, exec_lo, s27
	s_cbranch_execz .LBB6_824
.LBB6_2376:                             ;   in Loop: Header=BB6_143 Depth=2
	v_cmp_ne_u16_e64 vcc_lo, 0, v177
	v_mov_b32_e32 v178, 0
	s_and_not1_b32 s11, s11, exec_lo
	s_delay_alu instid0(VALU_DEP_2) | instskip(NEXT) | instid1(SALU_CYCLE_1)
	s_and_b32 s26, vcc_lo, exec_lo
	s_or_b32 s11, s11, s26
	s_or_b32 exec_lo, exec_lo, s27
	s_and_saveexec_b32 s26, s11
	s_cbranch_execnz .LBB6_825
	s_branch .LBB6_826
.LBB6_2377:                             ;   in Loop: Header=BB6_143 Depth=2
	s_mov_b32 s11, -1
	s_mov_b32 s28, exec_lo
                                        ; implicit-def: $sgpr26
	v_cmpx_eq_u16_e64 0x80, v176
; %bb.2378:                             ;   in Loop: Header=BB6_143 Depth=2
	s_mov_b32 s26, 0x7f800001
	s_xor_b32 s11, exec_lo, -1
; %bb.2379:                             ;   in Loop: Header=BB6_143 Depth=2
	s_or_b32 exec_lo, exec_lo, s28
	s_delay_alu instid0(SALU_CYCLE_1)
	s_and_b32 s11, s11, exec_lo
	s_or_saveexec_b32 s27, s27
	v_mov_b32_e32 v33, s26
	s_xor_b32 exec_lo, exec_lo, s27
	s_cbranch_execz .LBB6_828
.LBB6_2380:                             ;   in Loop: Header=BB6_143 Depth=2
	v_cmp_ne_u16_e64 vcc_lo, 0, v176
	v_mov_b32_e32 v33, 0
	s_and_not1_b32 s11, s11, exec_lo
	s_delay_alu instid0(VALU_DEP_2) | instskip(NEXT) | instid1(SALU_CYCLE_1)
	s_and_b32 s26, vcc_lo, exec_lo
	s_or_b32 s11, s11, s26
	s_or_b32 exec_lo, exec_lo, s27
	s_and_saveexec_b32 s26, s11
	s_cbranch_execnz .LBB6_829
	s_branch .LBB6_830
.LBB6_2381:                             ;   in Loop: Header=BB6_143 Depth=2
	s_mov_b32 s11, -1
	s_mov_b32 s28, exec_lo
                                        ; implicit-def: $sgpr26
	v_cmpx_eq_u16_e64 0x80, v176
; %bb.2382:                             ;   in Loop: Header=BB6_143 Depth=2
	s_mov_b32 s26, 0x7f800001
	s_xor_b32 s11, exec_lo, -1
; %bb.2383:                             ;   in Loop: Header=BB6_143 Depth=2
	s_or_b32 exec_lo, exec_lo, s28
	s_delay_alu instid0(SALU_CYCLE_1)
	s_and_b32 s11, s11, exec_lo
                                        ; implicit-def: $vgpr176
	s_or_saveexec_b32 s27, s27
	v_mov_b32_e32 v33, s26
	s_xor_b32 exec_lo, exec_lo, s27
	s_cbranch_execz .LBB6_842
.LBB6_2384:                             ;   in Loop: Header=BB6_143 Depth=2
	v_cmp_ne_u16_e64 vcc_lo, 0, v176
	v_mov_b32_e32 v33, 0
	s_and_not1_b32 s11, s11, exec_lo
	s_delay_alu instid0(VALU_DEP_2) | instskip(NEXT) | instid1(SALU_CYCLE_1)
	s_and_b32 s26, vcc_lo, exec_lo
	s_or_b32 s11, s11, s26
	s_or_b32 exec_lo, exec_lo, s27
	s_and_saveexec_b32 s26, s11
	s_cbranch_execnz .LBB6_843
	s_branch .LBB6_844
.LBB6_2385:                             ;   in Loop: Header=BB6_143 Depth=2
	s_mov_b32 s11, -1
	s_mov_b32 s28, exec_lo
                                        ; implicit-def: $sgpr26
	v_cmpx_eq_u16_e64 0x80, v177
; %bb.2386:                             ;   in Loop: Header=BB6_143 Depth=2
	s_mov_b32 s26, 0x7f800001
	s_xor_b32 s11, exec_lo, -1
; %bb.2387:                             ;   in Loop: Header=BB6_143 Depth=2
	s_or_b32 exec_lo, exec_lo, s28
	s_delay_alu instid0(SALU_CYCLE_1)
	s_and_b32 s11, s11, exec_lo
                                        ; implicit-def: $vgpr177
	s_or_saveexec_b32 s27, s27
	v_mov_b32_e32 v176, s26
	s_xor_b32 exec_lo, exec_lo, s27
	s_cbranch_execz .LBB6_846
.LBB6_2388:                             ;   in Loop: Header=BB6_143 Depth=2
	v_cmp_ne_u16_e64 vcc_lo, 0, v177
	v_mov_b32_e32 v176, 0
	s_and_not1_b32 s11, s11, exec_lo
	s_delay_alu instid0(VALU_DEP_2) | instskip(NEXT) | instid1(SALU_CYCLE_1)
	s_and_b32 s26, vcc_lo, exec_lo
	s_or_b32 s11, s11, s26
	s_or_b32 exec_lo, exec_lo, s27
	s_and_saveexec_b32 s26, s11
	s_cbranch_execnz .LBB6_847
	s_branch .LBB6_848
.LBB6_2389:                             ;   in Loop: Header=BB6_143 Depth=2
	s_mov_b32 s11, -1
	s_mov_b32 s28, exec_lo
                                        ; implicit-def: $sgpr26
	v_cmpx_eq_u16_e64 0x80, v176
; %bb.2390:                             ;   in Loop: Header=BB6_143 Depth=2
	s_mov_b32 s26, 0x7f800001
	s_xor_b32 s11, exec_lo, -1
; %bb.2391:                             ;   in Loop: Header=BB6_143 Depth=2
	s_or_b32 exec_lo, exec_lo, s28
	s_delay_alu instid0(SALU_CYCLE_1)
	s_and_b32 s11, s11, exec_lo
                                        ; implicit-def: $vgpr176
	s_or_saveexec_b32 s27, s27
	v_mov_b32_e32 v33, s26
	s_xor_b32 exec_lo, exec_lo, s27
	s_cbranch_execz .LBB6_853
.LBB6_2392:                             ;   in Loop: Header=BB6_143 Depth=2
	v_cmp_ne_u16_e64 vcc_lo, 0, v176
	v_mov_b32_e32 v33, 0
	s_and_not1_b32 s11, s11, exec_lo
	s_delay_alu instid0(VALU_DEP_2) | instskip(NEXT) | instid1(SALU_CYCLE_1)
	s_and_b32 s26, vcc_lo, exec_lo
	s_or_b32 s11, s11, s26
	s_or_b32 exec_lo, exec_lo, s27
	s_and_saveexec_b32 s26, s11
	s_cbranch_execnz .LBB6_854
	s_branch .LBB6_855
.LBB6_2393:                             ;   in Loop: Header=BB6_143 Depth=2
	s_mov_b32 s11, -1
	s_mov_b32 s28, exec_lo
                                        ; implicit-def: $sgpr26
	v_cmpx_eq_u16_e64 0x80, v177
; %bb.2394:                             ;   in Loop: Header=BB6_143 Depth=2
	s_mov_b32 s26, 0x7f800001
	s_xor_b32 s11, exec_lo, -1
; %bb.2395:                             ;   in Loop: Header=BB6_143 Depth=2
	s_or_b32 exec_lo, exec_lo, s28
	s_delay_alu instid0(SALU_CYCLE_1)
	s_and_b32 s11, s11, exec_lo
                                        ; implicit-def: $vgpr177
	s_or_saveexec_b32 s27, s27
	v_mov_b32_e32 v176, s26
	s_xor_b32 exec_lo, exec_lo, s27
	s_cbranch_execz .LBB6_857
.LBB6_2396:                             ;   in Loop: Header=BB6_143 Depth=2
	v_cmp_ne_u16_e64 vcc_lo, 0, v177
	v_mov_b32_e32 v176, 0
	s_and_not1_b32 s11, s11, exec_lo
	s_delay_alu instid0(VALU_DEP_2) | instskip(NEXT) | instid1(SALU_CYCLE_1)
	s_and_b32 s26, vcc_lo, exec_lo
	s_or_b32 s11, s11, s26
	s_or_b32 exec_lo, exec_lo, s27
	s_and_saveexec_b32 s26, s11
	s_cbranch_execnz .LBB6_858
	s_branch .LBB6_859
.LBB6_2397:                             ;   in Loop: Header=BB6_143 Depth=2
	s_mov_b32 s11, -1
	s_mov_b32 s28, exec_lo
                                        ; implicit-def: $sgpr26
	v_cmpx_eq_u16_e64 0x80, v177
; %bb.2398:                             ;   in Loop: Header=BB6_143 Depth=2
	s_mov_b32 s26, 0x7f800001
	s_xor_b32 s11, exec_lo, -1
; %bb.2399:                             ;   in Loop: Header=BB6_143 Depth=2
	s_or_b32 exec_lo, exec_lo, s28
	s_delay_alu instid0(SALU_CYCLE_1)
	s_and_b32 s11, s11, exec_lo
	s_or_saveexec_b32 s27, s27
	v_mov_b32_e32 v178, s26
	s_xor_b32 exec_lo, exec_lo, s27
	s_cbranch_execz .LBB6_871
.LBB6_2400:                             ;   in Loop: Header=BB6_143 Depth=2
	v_cmp_ne_u16_e64 vcc_lo, 0, v177
	v_mov_b32_e32 v178, 0
	s_and_not1_b32 s11, s11, exec_lo
	s_delay_alu instid0(VALU_DEP_2) | instskip(NEXT) | instid1(SALU_CYCLE_1)
	s_and_b32 s26, vcc_lo, exec_lo
	s_or_b32 s11, s11, s26
	s_or_b32 exec_lo, exec_lo, s27
	s_and_saveexec_b32 s26, s11
	s_cbranch_execnz .LBB6_872
	s_branch .LBB6_873
.LBB6_2401:                             ;   in Loop: Header=BB6_143 Depth=2
	s_mov_b32 s11, -1
	s_mov_b32 s28, exec_lo
                                        ; implicit-def: $sgpr26
	v_cmpx_eq_u16_e64 0x80, v176
; %bb.2402:                             ;   in Loop: Header=BB6_143 Depth=2
	s_mov_b32 s26, 0x7f800001
	s_xor_b32 s11, exec_lo, -1
; %bb.2403:                             ;   in Loop: Header=BB6_143 Depth=2
	s_or_b32 exec_lo, exec_lo, s28
	s_delay_alu instid0(SALU_CYCLE_1)
	s_and_b32 s11, s11, exec_lo
	s_or_saveexec_b32 s27, s27
	v_mov_b32_e32 v179, s26
	s_xor_b32 exec_lo, exec_lo, s27
	s_cbranch_execz .LBB6_875
.LBB6_2404:                             ;   in Loop: Header=BB6_143 Depth=2
	v_cmp_ne_u16_e64 vcc_lo, 0, v176
	v_mov_b32_e32 v179, 0
	s_and_not1_b32 s11, s11, exec_lo
	s_delay_alu instid0(VALU_DEP_2) | instskip(NEXT) | instid1(SALU_CYCLE_1)
	s_and_b32 s26, vcc_lo, exec_lo
	s_or_b32 s11, s11, s26
	s_or_b32 exec_lo, exec_lo, s27
	s_and_saveexec_b32 s26, s11
	s_cbranch_execnz .LBB6_876
	s_branch .LBB6_877
.LBB6_2405:                             ;   in Loop: Header=BB6_143 Depth=2
	s_mov_b32 s11, -1
	s_mov_b32 s28, exec_lo
                                        ; implicit-def: $sgpr26
	v_cmpx_eq_u16_e64 0x80, v177
; %bb.2406:                             ;   in Loop: Header=BB6_143 Depth=2
	s_mov_b32 s26, 0x7f800001
	s_xor_b32 s11, exec_lo, -1
; %bb.2407:                             ;   in Loop: Header=BB6_143 Depth=2
	s_or_b32 exec_lo, exec_lo, s28
	s_delay_alu instid0(SALU_CYCLE_1)
	s_and_b32 s11, s11, exec_lo
	s_or_saveexec_b32 s27, s27
	v_mov_b32_e32 v178, s26
	s_xor_b32 exec_lo, exec_lo, s27
	s_cbranch_execz .LBB6_882
.LBB6_2408:                             ;   in Loop: Header=BB6_143 Depth=2
	v_cmp_ne_u16_e64 vcc_lo, 0, v177
	v_mov_b32_e32 v178, 0
	s_and_not1_b32 s11, s11, exec_lo
	s_delay_alu instid0(VALU_DEP_2) | instskip(NEXT) | instid1(SALU_CYCLE_1)
	s_and_b32 s26, vcc_lo, exec_lo
	s_or_b32 s11, s11, s26
	s_or_b32 exec_lo, exec_lo, s27
	s_and_saveexec_b32 s26, s11
	s_cbranch_execnz .LBB6_883
	s_branch .LBB6_884
.LBB6_2409:                             ;   in Loop: Header=BB6_143 Depth=2
	s_mov_b32 s11, -1
	s_mov_b32 s28, exec_lo
                                        ; implicit-def: $sgpr26
	v_cmpx_eq_u16_e64 0x80, v176
; %bb.2410:                             ;   in Loop: Header=BB6_143 Depth=2
	s_mov_b32 s26, 0x7f800001
	s_xor_b32 s11, exec_lo, -1
; %bb.2411:                             ;   in Loop: Header=BB6_143 Depth=2
	s_or_b32 exec_lo, exec_lo, s28
	s_delay_alu instid0(SALU_CYCLE_1)
	s_and_b32 s11, s11, exec_lo
	s_or_saveexec_b32 s27, s27
	v_mov_b32_e32 v177, s26
	s_xor_b32 exec_lo, exec_lo, s27
	s_cbranch_execz .LBB6_886
.LBB6_2412:                             ;   in Loop: Header=BB6_143 Depth=2
	v_cmp_ne_u16_e64 vcc_lo, 0, v176
	v_mov_b32_e32 v177, 0
	s_and_not1_b32 s11, s11, exec_lo
	s_delay_alu instid0(VALU_DEP_2) | instskip(NEXT) | instid1(SALU_CYCLE_1)
	s_and_b32 s26, vcc_lo, exec_lo
	s_or_b32 s11, s11, s26
	s_or_b32 exec_lo, exec_lo, s27
	s_and_saveexec_b32 s26, s11
	s_cbranch_execnz .LBB6_887
	s_branch .LBB6_888
.LBB6_2413:                             ;   in Loop: Header=BB6_143 Depth=2
	s_mov_b32 s11, -1
	s_mov_b32 s28, exec_lo
                                        ; implicit-def: $sgpr26
	v_cmpx_eq_u16_e64 0x80, v180
; %bb.2414:                             ;   in Loop: Header=BB6_143 Depth=2
	s_mov_b32 s26, 0x7f800001
	s_xor_b32 s11, exec_lo, -1
; %bb.2415:                             ;   in Loop: Header=BB6_143 Depth=2
	s_or_b32 exec_lo, exec_lo, s28
	s_delay_alu instid0(SALU_CYCLE_1)
	s_and_b32 s11, s11, exec_lo
                                        ; implicit-def: $vgpr180
	s_or_saveexec_b32 s27, s27
	v_mov_b32_e32 v179, s26
	s_xor_b32 exec_lo, exec_lo, s27
	s_cbranch_execz .LBB6_900
.LBB6_2416:                             ;   in Loop: Header=BB6_143 Depth=2
	v_cmp_ne_u16_e64 vcc_lo, 0, v180
	v_mov_b32_e32 v179, 0
	s_and_not1_b32 s11, s11, exec_lo
	s_delay_alu instid0(VALU_DEP_2) | instskip(NEXT) | instid1(SALU_CYCLE_1)
	s_and_b32 s26, vcc_lo, exec_lo
	s_or_b32 s11, s11, s26
	s_or_b32 exec_lo, exec_lo, s27
	s_and_saveexec_b32 s26, s11
	s_cbranch_execnz .LBB6_901
	s_branch .LBB6_902
.LBB6_2417:                             ;   in Loop: Header=BB6_143 Depth=2
	s_mov_b32 s11, -1
	s_mov_b32 s28, exec_lo
                                        ; implicit-def: $sgpr26
	v_cmpx_eq_u16_e64 0x80, v181
; %bb.2418:                             ;   in Loop: Header=BB6_143 Depth=2
	s_mov_b32 s26, 0x7f800001
	s_xor_b32 s11, exec_lo, -1
; %bb.2419:                             ;   in Loop: Header=BB6_143 Depth=2
	s_or_b32 exec_lo, exec_lo, s28
	s_delay_alu instid0(SALU_CYCLE_1)
	s_and_b32 s11, s11, exec_lo
                                        ; implicit-def: $vgpr181
	s_or_saveexec_b32 s27, s27
	v_mov_b32_e32 v180, s26
	s_xor_b32 exec_lo, exec_lo, s27
	s_cbranch_execz .LBB6_904
.LBB6_2420:                             ;   in Loop: Header=BB6_143 Depth=2
	v_cmp_ne_u16_e64 vcc_lo, 0, v181
	v_mov_b32_e32 v180, 0
	s_and_not1_b32 s11, s11, exec_lo
	s_delay_alu instid0(VALU_DEP_2) | instskip(NEXT) | instid1(SALU_CYCLE_1)
	s_and_b32 s26, vcc_lo, exec_lo
	s_or_b32 s11, s11, s26
	s_or_b32 exec_lo, exec_lo, s27
	s_and_saveexec_b32 s26, s11
	s_cbranch_execnz .LBB6_905
	s_branch .LBB6_906
.LBB6_2421:                             ;   in Loop: Header=BB6_143 Depth=2
	s_mov_b32 s11, -1
	s_mov_b32 s28, exec_lo
                                        ; implicit-def: $sgpr26
	v_cmpx_eq_u16_e64 0x80, v180
; %bb.2422:                             ;   in Loop: Header=BB6_143 Depth=2
	s_mov_b32 s26, 0x7f800001
	s_xor_b32 s11, exec_lo, -1
; %bb.2423:                             ;   in Loop: Header=BB6_143 Depth=2
	s_or_b32 exec_lo, exec_lo, s28
	s_delay_alu instid0(SALU_CYCLE_1)
	s_and_b32 s11, s11, exec_lo
                                        ; implicit-def: $vgpr180
	s_or_saveexec_b32 s27, s27
	v_mov_b32_e32 v179, s26
	s_xor_b32 exec_lo, exec_lo, s27
	s_cbranch_execz .LBB6_911
.LBB6_2424:                             ;   in Loop: Header=BB6_143 Depth=2
	v_cmp_ne_u16_e64 vcc_lo, 0, v180
	v_mov_b32_e32 v179, 0
	s_and_not1_b32 s11, s11, exec_lo
	s_delay_alu instid0(VALU_DEP_2) | instskip(NEXT) | instid1(SALU_CYCLE_1)
	s_and_b32 s26, vcc_lo, exec_lo
	s_or_b32 s11, s11, s26
	s_or_b32 exec_lo, exec_lo, s27
	s_and_saveexec_b32 s26, s11
	s_cbranch_execnz .LBB6_912
	s_branch .LBB6_913
.LBB6_2425:                             ;   in Loop: Header=BB6_143 Depth=2
	s_mov_b32 s11, -1
	s_mov_b32 s28, exec_lo
                                        ; implicit-def: $sgpr26
	v_cmpx_eq_u16_e64 0x80, v180
; %bb.2426:                             ;   in Loop: Header=BB6_143 Depth=2
	s_mov_b32 s26, 0x7f800001
	s_xor_b32 s11, exec_lo, -1
; %bb.2427:                             ;   in Loop: Header=BB6_143 Depth=2
	s_or_b32 exec_lo, exec_lo, s28
	s_delay_alu instid0(SALU_CYCLE_1)
	s_and_b32 s11, s11, exec_lo
                                        ; implicit-def: $vgpr180
	s_or_saveexec_b32 s27, s27
	v_mov_b32_e32 v178, s26
	s_xor_b32 exec_lo, exec_lo, s27
	s_cbranch_execz .LBB6_915
.LBB6_2428:                             ;   in Loop: Header=BB6_143 Depth=2
	v_cmp_ne_u16_e64 vcc_lo, 0, v180
	v_mov_b32_e32 v178, 0
	s_and_not1_b32 s11, s11, exec_lo
	s_delay_alu instid0(VALU_DEP_2) | instskip(NEXT) | instid1(SALU_CYCLE_1)
	s_and_b32 s26, vcc_lo, exec_lo
	s_or_b32 s11, s11, s26
	s_or_b32 exec_lo, exec_lo, s27
	s_and_saveexec_b32 s26, s11
	s_cbranch_execnz .LBB6_916
	s_branch .LBB6_917
.LBB6_2429:                             ;   in Loop: Header=BB6_143 Depth=2
	s_mov_b32 s11, -1
	s_mov_b32 s28, exec_lo
                                        ; implicit-def: $sgpr26
	v_cmpx_eq_u16_e64 0x80, v179
; %bb.2430:                             ;   in Loop: Header=BB6_143 Depth=2
	s_mov_b32 s26, 0x7f800001
	s_xor_b32 s11, exec_lo, -1
; %bb.2431:                             ;   in Loop: Header=BB6_143 Depth=2
	s_or_b32 exec_lo, exec_lo, s28
	s_delay_alu instid0(SALU_CYCLE_1)
	s_and_b32 s11, s11, exec_lo
	s_or_saveexec_b32 s27, s27
	v_mov_b32_e32 v180, s26
	s_xor_b32 exec_lo, exec_lo, s27
	s_cbranch_execz .LBB6_929
.LBB6_2432:                             ;   in Loop: Header=BB6_143 Depth=2
	v_cmp_ne_u16_e64 vcc_lo, 0, v179
	v_mov_b32_e32 v180, 0
	s_and_not1_b32 s11, s11, exec_lo
	s_delay_alu instid0(VALU_DEP_2) | instskip(NEXT) | instid1(SALU_CYCLE_1)
	s_and_b32 s26, vcc_lo, exec_lo
	s_or_b32 s11, s11, s26
	s_or_b32 exec_lo, exec_lo, s27
	s_and_saveexec_b32 s26, s11
	s_cbranch_execnz .LBB6_930
	s_branch .LBB6_931
.LBB6_2433:                             ;   in Loop: Header=BB6_143 Depth=2
	s_mov_b32 s11, -1
	s_mov_b32 s28, exec_lo
                                        ; implicit-def: $sgpr26
	v_cmpx_eq_u16_e64 0x80, v178
; %bb.2434:                             ;   in Loop: Header=BB6_143 Depth=2
	s_mov_b32 s26, 0x7f800001
	s_xor_b32 s11, exec_lo, -1
; %bb.2435:                             ;   in Loop: Header=BB6_143 Depth=2
	s_or_b32 exec_lo, exec_lo, s28
	s_delay_alu instid0(SALU_CYCLE_1)
	s_and_b32 s11, s11, exec_lo
	s_or_saveexec_b32 s27, s27
	v_mov_b32_e32 v181, s26
	s_xor_b32 exec_lo, exec_lo, s27
	s_cbranch_execz .LBB6_933
.LBB6_2436:                             ;   in Loop: Header=BB6_143 Depth=2
	v_cmp_ne_u16_e64 vcc_lo, 0, v178
	v_mov_b32_e32 v181, 0
	s_and_not1_b32 s11, s11, exec_lo
	s_delay_alu instid0(VALU_DEP_2) | instskip(NEXT) | instid1(SALU_CYCLE_1)
	s_and_b32 s26, vcc_lo, exec_lo
	s_or_b32 s11, s11, s26
	s_or_b32 exec_lo, exec_lo, s27
	s_and_saveexec_b32 s26, s11
	s_cbranch_execnz .LBB6_934
	s_branch .LBB6_935
.LBB6_2437:                             ;   in Loop: Header=BB6_143 Depth=2
	s_mov_b32 s11, -1
	s_mov_b32 s28, exec_lo
                                        ; implicit-def: $sgpr26
	v_cmpx_eq_u16_e64 0x80, v179
; %bb.2438:                             ;   in Loop: Header=BB6_143 Depth=2
	s_mov_b32 s26, 0x7f800001
	s_xor_b32 s11, exec_lo, -1
; %bb.2439:                             ;   in Loop: Header=BB6_143 Depth=2
	s_or_b32 exec_lo, exec_lo, s28
	s_delay_alu instid0(SALU_CYCLE_1)
	s_and_b32 s11, s11, exec_lo
	s_or_saveexec_b32 s27, s27
	v_mov_b32_e32 v180, s26
	s_xor_b32 exec_lo, exec_lo, s27
	s_cbranch_execz .LBB6_940
.LBB6_2440:                             ;   in Loop: Header=BB6_143 Depth=2
	v_cmp_ne_u16_e64 vcc_lo, 0, v179
	v_mov_b32_e32 v180, 0
	s_and_not1_b32 s11, s11, exec_lo
	s_delay_alu instid0(VALU_DEP_2) | instskip(NEXT) | instid1(SALU_CYCLE_1)
	s_and_b32 s26, vcc_lo, exec_lo
	s_or_b32 s11, s11, s26
	s_or_b32 exec_lo, exec_lo, s27
	s_and_saveexec_b32 s26, s11
	s_cbranch_execnz .LBB6_941
	s_branch .LBB6_942
.LBB6_2441:                             ;   in Loop: Header=BB6_143 Depth=2
	s_mov_b32 s11, -1
	s_mov_b32 s28, exec_lo
                                        ; implicit-def: $sgpr26
	v_cmpx_eq_u16_e64 0x80, v178
; %bb.2442:                             ;   in Loop: Header=BB6_143 Depth=2
	s_mov_b32 s26, 0x7f800001
	s_xor_b32 s11, exec_lo, -1
; %bb.2443:                             ;   in Loop: Header=BB6_143 Depth=2
	s_or_b32 exec_lo, exec_lo, s28
	s_delay_alu instid0(SALU_CYCLE_1)
	s_and_b32 s11, s11, exec_lo
	s_or_saveexec_b32 s27, s27
	v_mov_b32_e32 v34, s26
	s_xor_b32 exec_lo, exec_lo, s27
	s_cbranch_execz .LBB6_944
.LBB6_2444:                             ;   in Loop: Header=BB6_143 Depth=2
	v_cmp_ne_u16_e64 vcc_lo, 0, v178
	v_mov_b32_e32 v34, 0
	s_and_not1_b32 s11, s11, exec_lo
	s_delay_alu instid0(VALU_DEP_2) | instskip(NEXT) | instid1(SALU_CYCLE_1)
	s_and_b32 s26, vcc_lo, exec_lo
	s_or_b32 s11, s11, s26
	s_or_b32 exec_lo, exec_lo, s27
	s_and_saveexec_b32 s26, s11
	s_cbranch_execnz .LBB6_945
	s_branch .LBB6_946
.LBB6_2445:                             ;   in Loop: Header=BB6_143 Depth=2
	s_mov_b32 s11, -1
	s_mov_b32 s28, exec_lo
                                        ; implicit-def: $sgpr26
	v_cmpx_eq_u16_e64 0x80, v178
; %bb.2446:                             ;   in Loop: Header=BB6_143 Depth=2
	s_mov_b32 s26, 0x7f800001
	s_xor_b32 s11, exec_lo, -1
; %bb.2447:                             ;   in Loop: Header=BB6_143 Depth=2
	s_or_b32 exec_lo, exec_lo, s28
	s_delay_alu instid0(SALU_CYCLE_1)
	s_and_b32 s11, s11, exec_lo
                                        ; implicit-def: $vgpr178
	s_or_saveexec_b32 s27, s27
	v_mov_b32_e32 v34, s26
	s_xor_b32 exec_lo, exec_lo, s27
	s_cbranch_execz .LBB6_958
.LBB6_2448:                             ;   in Loop: Header=BB6_143 Depth=2
	v_cmp_ne_u16_e64 vcc_lo, 0, v178
	v_mov_b32_e32 v34, 0
	s_and_not1_b32 s11, s11, exec_lo
	s_delay_alu instid0(VALU_DEP_2) | instskip(NEXT) | instid1(SALU_CYCLE_1)
	s_and_b32 s26, vcc_lo, exec_lo
	s_or_b32 s11, s11, s26
	s_or_b32 exec_lo, exec_lo, s27
	s_and_saveexec_b32 s26, s11
	s_cbranch_execnz .LBB6_959
	s_branch .LBB6_960
.LBB6_2449:                             ;   in Loop: Header=BB6_143 Depth=2
	s_mov_b32 s11, -1
	s_mov_b32 s28, exec_lo
                                        ; implicit-def: $sgpr26
	v_cmpx_eq_u16_e64 0x80, v179
; %bb.2450:                             ;   in Loop: Header=BB6_143 Depth=2
	s_mov_b32 s26, 0x7f800001
	s_xor_b32 s11, exec_lo, -1
; %bb.2451:                             ;   in Loop: Header=BB6_143 Depth=2
	s_or_b32 exec_lo, exec_lo, s28
	s_delay_alu instid0(SALU_CYCLE_1)
	s_and_b32 s11, s11, exec_lo
                                        ; implicit-def: $vgpr179
	s_or_saveexec_b32 s27, s27
	v_mov_b32_e32 v178, s26
	s_xor_b32 exec_lo, exec_lo, s27
	s_cbranch_execz .LBB6_962
.LBB6_2452:                             ;   in Loop: Header=BB6_143 Depth=2
	v_cmp_ne_u16_e64 vcc_lo, 0, v179
	v_mov_b32_e32 v178, 0
	s_and_not1_b32 s11, s11, exec_lo
	s_delay_alu instid0(VALU_DEP_2) | instskip(NEXT) | instid1(SALU_CYCLE_1)
	s_and_b32 s26, vcc_lo, exec_lo
	s_or_b32 s11, s11, s26
	s_or_b32 exec_lo, exec_lo, s27
	s_and_saveexec_b32 s26, s11
	s_cbranch_execnz .LBB6_963
	s_branch .LBB6_964
.LBB6_2453:                             ;   in Loop: Header=BB6_143 Depth=2
	s_mov_b32 s11, -1
	s_mov_b32 s28, exec_lo
                                        ; implicit-def: $sgpr26
	v_cmpx_eq_u16_e64 0x80, v178
; %bb.2454:                             ;   in Loop: Header=BB6_143 Depth=2
	s_mov_b32 s26, 0x7f800001
	s_xor_b32 s11, exec_lo, -1
; %bb.2455:                             ;   in Loop: Header=BB6_143 Depth=2
	s_or_b32 exec_lo, exec_lo, s28
	s_delay_alu instid0(SALU_CYCLE_1)
	s_and_b32 s11, s11, exec_lo
                                        ; implicit-def: $vgpr178
	s_or_saveexec_b32 s27, s27
	v_mov_b32_e32 v34, s26
	s_xor_b32 exec_lo, exec_lo, s27
	s_cbranch_execz .LBB6_969
.LBB6_2456:                             ;   in Loop: Header=BB6_143 Depth=2
	v_cmp_ne_u16_e64 vcc_lo, 0, v178
	v_mov_b32_e32 v34, 0
	s_and_not1_b32 s11, s11, exec_lo
	s_delay_alu instid0(VALU_DEP_2) | instskip(NEXT) | instid1(SALU_CYCLE_1)
	s_and_b32 s26, vcc_lo, exec_lo
	s_or_b32 s11, s11, s26
	s_or_b32 exec_lo, exec_lo, s27
	s_and_saveexec_b32 s26, s11
	s_cbranch_execnz .LBB6_970
	s_branch .LBB6_971
.LBB6_2457:                             ;   in Loop: Header=BB6_143 Depth=2
	s_mov_b32 s11, -1
	s_mov_b32 s28, exec_lo
                                        ; implicit-def: $sgpr26
	v_cmpx_eq_u16_e64 0x80, v179
; %bb.2458:                             ;   in Loop: Header=BB6_143 Depth=2
	s_mov_b32 s26, 0x7f800001
	s_xor_b32 s11, exec_lo, -1
; %bb.2459:                             ;   in Loop: Header=BB6_143 Depth=2
	s_or_b32 exec_lo, exec_lo, s28
	s_delay_alu instid0(SALU_CYCLE_1)
	s_and_b32 s11, s11, exec_lo
                                        ; implicit-def: $vgpr179
	s_or_saveexec_b32 s27, s27
	v_mov_b32_e32 v178, s26
	s_xor_b32 exec_lo, exec_lo, s27
	s_cbranch_execz .LBB6_973
.LBB6_2460:                             ;   in Loop: Header=BB6_143 Depth=2
	v_cmp_ne_u16_e64 vcc_lo, 0, v179
	v_mov_b32_e32 v178, 0
	s_and_not1_b32 s11, s11, exec_lo
	s_delay_alu instid0(VALU_DEP_2) | instskip(NEXT) | instid1(SALU_CYCLE_1)
	s_and_b32 s26, vcc_lo, exec_lo
	s_or_b32 s11, s11, s26
	s_or_b32 exec_lo, exec_lo, s27
	s_and_saveexec_b32 s26, s11
	s_cbranch_execnz .LBB6_974
	s_branch .LBB6_975
.LBB6_2461:                             ;   in Loop: Header=BB6_143 Depth=2
	s_mov_b32 s11, -1
	s_mov_b32 s28, exec_lo
                                        ; implicit-def: $sgpr26
	v_cmpx_eq_u16_e64 0x80, v179
; %bb.2462:                             ;   in Loop: Header=BB6_143 Depth=2
	s_mov_b32 s26, 0x7f800001
	s_xor_b32 s11, exec_lo, -1
; %bb.2463:                             ;   in Loop: Header=BB6_143 Depth=2
	s_or_b32 exec_lo, exec_lo, s28
	s_delay_alu instid0(SALU_CYCLE_1)
	s_and_b32 s11, s11, exec_lo
	s_or_saveexec_b32 s27, s27
	v_mov_b32_e32 v180, s26
	s_xor_b32 exec_lo, exec_lo, s27
	s_cbranch_execz .LBB6_987
.LBB6_2464:                             ;   in Loop: Header=BB6_143 Depth=2
	v_cmp_ne_u16_e64 vcc_lo, 0, v179
	v_mov_b32_e32 v180, 0
	s_and_not1_b32 s11, s11, exec_lo
	s_delay_alu instid0(VALU_DEP_2) | instskip(NEXT) | instid1(SALU_CYCLE_1)
	s_and_b32 s26, vcc_lo, exec_lo
	s_or_b32 s11, s11, s26
	s_or_b32 exec_lo, exec_lo, s27
	s_and_saveexec_b32 s26, s11
	s_cbranch_execnz .LBB6_988
	s_branch .LBB6_989
.LBB6_2465:                             ;   in Loop: Header=BB6_143 Depth=2
	s_mov_b32 s11, -1
	s_mov_b32 s28, exec_lo
                                        ; implicit-def: $sgpr26
	v_cmpx_eq_u16_e64 0x80, v178
; %bb.2466:                             ;   in Loop: Header=BB6_143 Depth=2
	s_mov_b32 s26, 0x7f800001
	s_xor_b32 s11, exec_lo, -1
; %bb.2467:                             ;   in Loop: Header=BB6_143 Depth=2
	s_or_b32 exec_lo, exec_lo, s28
	s_delay_alu instid0(SALU_CYCLE_1)
	s_and_b32 s11, s11, exec_lo
	s_or_saveexec_b32 s27, s27
	v_mov_b32_e32 v181, s26
	s_xor_b32 exec_lo, exec_lo, s27
	s_cbranch_execz .LBB6_991
.LBB6_2468:                             ;   in Loop: Header=BB6_143 Depth=2
	v_cmp_ne_u16_e64 vcc_lo, 0, v178
	v_mov_b32_e32 v181, 0
	s_and_not1_b32 s11, s11, exec_lo
	s_delay_alu instid0(VALU_DEP_2) | instskip(NEXT) | instid1(SALU_CYCLE_1)
	s_and_b32 s26, vcc_lo, exec_lo
	s_or_b32 s11, s11, s26
	s_or_b32 exec_lo, exec_lo, s27
	s_and_saveexec_b32 s26, s11
	s_cbranch_execnz .LBB6_992
	s_branch .LBB6_993
.LBB6_2469:                             ;   in Loop: Header=BB6_143 Depth=2
	s_mov_b32 s11, -1
	s_mov_b32 s28, exec_lo
                                        ; implicit-def: $sgpr26
	v_cmpx_eq_u16_e64 0x80, v179
; %bb.2470:                             ;   in Loop: Header=BB6_143 Depth=2
	s_mov_b32 s26, 0x7f800001
	s_xor_b32 s11, exec_lo, -1
; %bb.2471:                             ;   in Loop: Header=BB6_143 Depth=2
	s_or_b32 exec_lo, exec_lo, s28
	s_delay_alu instid0(SALU_CYCLE_1)
	s_and_b32 s11, s11, exec_lo
	s_or_saveexec_b32 s27, s27
	v_mov_b32_e32 v180, s26
	s_xor_b32 exec_lo, exec_lo, s27
	s_cbranch_execz .LBB6_998
.LBB6_2472:                             ;   in Loop: Header=BB6_143 Depth=2
	v_cmp_ne_u16_e64 vcc_lo, 0, v179
	v_mov_b32_e32 v180, 0
	s_and_not1_b32 s11, s11, exec_lo
	s_delay_alu instid0(VALU_DEP_2) | instskip(NEXT) | instid1(SALU_CYCLE_1)
	s_and_b32 s26, vcc_lo, exec_lo
	s_or_b32 s11, s11, s26
	s_or_b32 exec_lo, exec_lo, s27
	s_and_saveexec_b32 s26, s11
	s_cbranch_execnz .LBB6_999
	s_branch .LBB6_1000
.LBB6_2473:                             ;   in Loop: Header=BB6_143 Depth=2
	s_mov_b32 s11, -1
	s_mov_b32 s28, exec_lo
                                        ; implicit-def: $sgpr26
	v_cmpx_eq_u16_e64 0x80, v178
; %bb.2474:                             ;   in Loop: Header=BB6_143 Depth=2
	s_mov_b32 s26, 0x7f800001
	s_xor_b32 s11, exec_lo, -1
; %bb.2475:                             ;   in Loop: Header=BB6_143 Depth=2
	s_or_b32 exec_lo, exec_lo, s28
	s_delay_alu instid0(SALU_CYCLE_1)
	s_and_b32 s11, s11, exec_lo
	s_or_saveexec_b32 s27, s27
	v_mov_b32_e32 v179, s26
	s_xor_b32 exec_lo, exec_lo, s27
	s_cbranch_execz .LBB6_1002
.LBB6_2476:                             ;   in Loop: Header=BB6_143 Depth=2
	v_cmp_ne_u16_e64 vcc_lo, 0, v178
	v_mov_b32_e32 v179, 0
	s_and_not1_b32 s11, s11, exec_lo
	s_delay_alu instid0(VALU_DEP_2) | instskip(NEXT) | instid1(SALU_CYCLE_1)
	s_and_b32 s26, vcc_lo, exec_lo
	s_or_b32 s11, s11, s26
	s_or_b32 exec_lo, exec_lo, s27
	s_and_saveexec_b32 s26, s11
	s_cbranch_execnz .LBB6_1003
	s_branch .LBB6_1004
.LBB6_2477:                             ;   in Loop: Header=BB6_143 Depth=2
	s_mov_b32 s11, -1
	s_mov_b32 s28, exec_lo
                                        ; implicit-def: $sgpr26
	v_cmpx_eq_u16_e64 0x80, v182
; %bb.2478:                             ;   in Loop: Header=BB6_143 Depth=2
	s_mov_b32 s26, 0x7f800001
	s_xor_b32 s11, exec_lo, -1
; %bb.2479:                             ;   in Loop: Header=BB6_143 Depth=2
	s_or_b32 exec_lo, exec_lo, s28
	s_delay_alu instid0(SALU_CYCLE_1)
	s_and_b32 s11, s11, exec_lo
                                        ; implicit-def: $vgpr182
	s_or_saveexec_b32 s27, s27
	v_mov_b32_e32 v181, s26
	s_xor_b32 exec_lo, exec_lo, s27
	s_cbranch_execz .LBB6_1016
.LBB6_2480:                             ;   in Loop: Header=BB6_143 Depth=2
	v_cmp_ne_u16_e64 vcc_lo, 0, v182
	v_mov_b32_e32 v181, 0
	s_and_not1_b32 s11, s11, exec_lo
	s_delay_alu instid0(VALU_DEP_2) | instskip(NEXT) | instid1(SALU_CYCLE_1)
	s_and_b32 s26, vcc_lo, exec_lo
	s_or_b32 s11, s11, s26
	s_or_b32 exec_lo, exec_lo, s27
	s_and_saveexec_b32 s26, s11
	s_cbranch_execnz .LBB6_1017
	s_branch .LBB6_1018
.LBB6_2481:                             ;   in Loop: Header=BB6_143 Depth=2
	s_mov_b32 s11, -1
	s_mov_b32 s28, exec_lo
                                        ; implicit-def: $sgpr26
	v_cmpx_eq_u16_e64 0x80, v183
; %bb.2482:                             ;   in Loop: Header=BB6_143 Depth=2
	s_mov_b32 s26, 0x7f800001
	s_xor_b32 s11, exec_lo, -1
; %bb.2483:                             ;   in Loop: Header=BB6_143 Depth=2
	s_or_b32 exec_lo, exec_lo, s28
	s_delay_alu instid0(SALU_CYCLE_1)
	s_and_b32 s11, s11, exec_lo
                                        ; implicit-def: $vgpr183
	s_or_saveexec_b32 s27, s27
	v_mov_b32_e32 v182, s26
	s_xor_b32 exec_lo, exec_lo, s27
	s_cbranch_execz .LBB6_1020
.LBB6_2484:                             ;   in Loop: Header=BB6_143 Depth=2
	v_cmp_ne_u16_e64 vcc_lo, 0, v183
	v_mov_b32_e32 v182, 0
	s_and_not1_b32 s11, s11, exec_lo
	s_delay_alu instid0(VALU_DEP_2) | instskip(NEXT) | instid1(SALU_CYCLE_1)
	s_and_b32 s26, vcc_lo, exec_lo
	s_or_b32 s11, s11, s26
	s_or_b32 exec_lo, exec_lo, s27
	s_and_saveexec_b32 s26, s11
	s_cbranch_execnz .LBB6_1021
	s_branch .LBB6_1022
.LBB6_2485:                             ;   in Loop: Header=BB6_143 Depth=2
	s_mov_b32 s11, -1
	s_mov_b32 s28, exec_lo
                                        ; implicit-def: $sgpr26
	v_cmpx_eq_u16_e64 0x80, v182
; %bb.2486:                             ;   in Loop: Header=BB6_143 Depth=2
	s_mov_b32 s26, 0x7f800001
	s_xor_b32 s11, exec_lo, -1
; %bb.2487:                             ;   in Loop: Header=BB6_143 Depth=2
	s_or_b32 exec_lo, exec_lo, s28
	s_delay_alu instid0(SALU_CYCLE_1)
	s_and_b32 s11, s11, exec_lo
                                        ; implicit-def: $vgpr182
	s_or_saveexec_b32 s27, s27
	v_mov_b32_e32 v181, s26
	s_xor_b32 exec_lo, exec_lo, s27
	s_cbranch_execz .LBB6_1027
.LBB6_2488:                             ;   in Loop: Header=BB6_143 Depth=2
	v_cmp_ne_u16_e64 vcc_lo, 0, v182
	v_mov_b32_e32 v181, 0
	s_and_not1_b32 s11, s11, exec_lo
	s_delay_alu instid0(VALU_DEP_2) | instskip(NEXT) | instid1(SALU_CYCLE_1)
	s_and_b32 s26, vcc_lo, exec_lo
	s_or_b32 s11, s11, s26
	s_or_b32 exec_lo, exec_lo, s27
	s_and_saveexec_b32 s26, s11
	s_cbranch_execnz .LBB6_1028
	s_branch .LBB6_1029
.LBB6_2489:                             ;   in Loop: Header=BB6_143 Depth=2
	s_mov_b32 s11, -1
	s_mov_b32 s28, exec_lo
                                        ; implicit-def: $sgpr26
	v_cmpx_eq_u16_e64 0x80, v182
; %bb.2490:                             ;   in Loop: Header=BB6_143 Depth=2
	s_mov_b32 s26, 0x7f800001
	s_xor_b32 s11, exec_lo, -1
; %bb.2491:                             ;   in Loop: Header=BB6_143 Depth=2
	s_or_b32 exec_lo, exec_lo, s28
	s_delay_alu instid0(SALU_CYCLE_1)
	s_and_b32 s11, s11, exec_lo
                                        ; implicit-def: $vgpr182
	s_or_saveexec_b32 s27, s27
	v_mov_b32_e32 v180, s26
	s_xor_b32 exec_lo, exec_lo, s27
	s_cbranch_execz .LBB6_1031
.LBB6_2492:                             ;   in Loop: Header=BB6_143 Depth=2
	v_cmp_ne_u16_e64 vcc_lo, 0, v182
	v_mov_b32_e32 v180, 0
	s_and_not1_b32 s11, s11, exec_lo
	s_delay_alu instid0(VALU_DEP_2) | instskip(NEXT) | instid1(SALU_CYCLE_1)
	s_and_b32 s26, vcc_lo, exec_lo
	s_or_b32 s11, s11, s26
	s_or_b32 exec_lo, exec_lo, s27
	s_and_saveexec_b32 s26, s11
	s_cbranch_execnz .LBB6_1032
	s_branch .LBB6_1033
.LBB6_2493:                             ;   in Loop: Header=BB6_143 Depth=2
	s_mov_b32 s11, -1
	s_mov_b32 s28, exec_lo
                                        ; implicit-def: $sgpr26
	v_cmpx_eq_u16_e64 0x80, v181
; %bb.2494:                             ;   in Loop: Header=BB6_143 Depth=2
	s_mov_b32 s26, 0x7f800001
	s_xor_b32 s11, exec_lo, -1
; %bb.2495:                             ;   in Loop: Header=BB6_143 Depth=2
	s_or_b32 exec_lo, exec_lo, s28
	s_delay_alu instid0(SALU_CYCLE_1)
	s_and_b32 s11, s11, exec_lo
	s_or_saveexec_b32 s27, s27
	v_mov_b32_e32 v182, s26
	s_xor_b32 exec_lo, exec_lo, s27
	s_cbranch_execz .LBB6_1045
.LBB6_2496:                             ;   in Loop: Header=BB6_143 Depth=2
	v_cmp_ne_u16_e64 vcc_lo, 0, v181
	v_mov_b32_e32 v182, 0
	s_and_not1_b32 s11, s11, exec_lo
	s_delay_alu instid0(VALU_DEP_2) | instskip(NEXT) | instid1(SALU_CYCLE_1)
	s_and_b32 s26, vcc_lo, exec_lo
	s_or_b32 s11, s11, s26
	s_or_b32 exec_lo, exec_lo, s27
	s_and_saveexec_b32 s26, s11
	s_cbranch_execnz .LBB6_1046
	s_branch .LBB6_1047
.LBB6_2497:                             ;   in Loop: Header=BB6_143 Depth=2
	s_mov_b32 s11, -1
	s_mov_b32 s28, exec_lo
                                        ; implicit-def: $sgpr26
	v_cmpx_eq_u16_e64 0x80, v180
; %bb.2498:                             ;   in Loop: Header=BB6_143 Depth=2
	s_mov_b32 s26, 0x7f800001
	s_xor_b32 s11, exec_lo, -1
; %bb.2499:                             ;   in Loop: Header=BB6_143 Depth=2
	s_or_b32 exec_lo, exec_lo, s28
	s_delay_alu instid0(SALU_CYCLE_1)
	s_and_b32 s11, s11, exec_lo
	s_or_saveexec_b32 s27, s27
	v_mov_b32_e32 v183, s26
	s_xor_b32 exec_lo, exec_lo, s27
	s_cbranch_execz .LBB6_1049
.LBB6_2500:                             ;   in Loop: Header=BB6_143 Depth=2
	v_cmp_ne_u16_e64 vcc_lo, 0, v180
	v_mov_b32_e32 v183, 0
	s_and_not1_b32 s11, s11, exec_lo
	s_delay_alu instid0(VALU_DEP_2) | instskip(NEXT) | instid1(SALU_CYCLE_1)
	s_and_b32 s26, vcc_lo, exec_lo
	s_or_b32 s11, s11, s26
	s_or_b32 exec_lo, exec_lo, s27
	s_and_saveexec_b32 s26, s11
	s_cbranch_execnz .LBB6_1050
	s_branch .LBB6_1051
.LBB6_2501:                             ;   in Loop: Header=BB6_143 Depth=2
	s_mov_b32 s11, -1
	s_mov_b32 s28, exec_lo
                                        ; implicit-def: $sgpr26
	v_cmpx_eq_u16_e64 0x80, v181
; %bb.2502:                             ;   in Loop: Header=BB6_143 Depth=2
	s_mov_b32 s26, 0x7f800001
	s_xor_b32 s11, exec_lo, -1
; %bb.2503:                             ;   in Loop: Header=BB6_143 Depth=2
	s_or_b32 exec_lo, exec_lo, s28
	s_delay_alu instid0(SALU_CYCLE_1)
	s_and_b32 s11, s11, exec_lo
	s_or_saveexec_b32 s27, s27
	v_mov_b32_e32 v182, s26
	s_xor_b32 exec_lo, exec_lo, s27
	s_cbranch_execz .LBB6_1056
.LBB6_2504:                             ;   in Loop: Header=BB6_143 Depth=2
	v_cmp_ne_u16_e64 vcc_lo, 0, v181
	v_mov_b32_e32 v182, 0
	s_and_not1_b32 s11, s11, exec_lo
	s_delay_alu instid0(VALU_DEP_2) | instskip(NEXT) | instid1(SALU_CYCLE_1)
	s_and_b32 s26, vcc_lo, exec_lo
	s_or_b32 s11, s11, s26
	s_or_b32 exec_lo, exec_lo, s27
	s_and_saveexec_b32 s26, s11
	s_cbranch_execnz .LBB6_1057
	s_branch .LBB6_1058
.LBB6_2505:                             ;   in Loop: Header=BB6_143 Depth=2
	s_mov_b32 s11, -1
	s_mov_b32 s28, exec_lo
                                        ; implicit-def: $sgpr26
	v_cmpx_eq_u16_e64 0x80, v180
; %bb.2506:                             ;   in Loop: Header=BB6_143 Depth=2
	s_mov_b32 s26, 0x7f800001
	s_xor_b32 s11, exec_lo, -1
; %bb.2507:                             ;   in Loop: Header=BB6_143 Depth=2
	s_or_b32 exec_lo, exec_lo, s28
	s_delay_alu instid0(SALU_CYCLE_1)
	s_and_b32 s11, s11, exec_lo
	s_or_saveexec_b32 s27, s27
	v_mov_b32_e32 v35, s26
	s_xor_b32 exec_lo, exec_lo, s27
	s_cbranch_execz .LBB6_1060
.LBB6_2508:                             ;   in Loop: Header=BB6_143 Depth=2
	v_cmp_ne_u16_e64 vcc_lo, 0, v180
	v_mov_b32_e32 v35, 0
	s_and_not1_b32 s11, s11, exec_lo
	s_delay_alu instid0(VALU_DEP_2) | instskip(NEXT) | instid1(SALU_CYCLE_1)
	s_and_b32 s26, vcc_lo, exec_lo
	s_or_b32 s11, s11, s26
	s_or_b32 exec_lo, exec_lo, s27
	s_and_saveexec_b32 s26, s11
	s_cbranch_execnz .LBB6_1061
	s_branch .LBB6_1062
.LBB6_2509:                             ;   in Loop: Header=BB6_143 Depth=2
	s_mov_b32 s11, -1
	s_mov_b32 s28, exec_lo
                                        ; implicit-def: $sgpr26
	v_cmpx_eq_u16_e64 0x80, v180
; %bb.2510:                             ;   in Loop: Header=BB6_143 Depth=2
	s_mov_b32 s26, 0x7f800001
	s_xor_b32 s11, exec_lo, -1
; %bb.2511:                             ;   in Loop: Header=BB6_143 Depth=2
	s_or_b32 exec_lo, exec_lo, s28
	s_delay_alu instid0(SALU_CYCLE_1)
	s_and_b32 s11, s11, exec_lo
                                        ; implicit-def: $vgpr180
	s_or_saveexec_b32 s27, s27
	v_mov_b32_e32 v35, s26
	s_xor_b32 exec_lo, exec_lo, s27
	s_cbranch_execz .LBB6_1074
.LBB6_2512:                             ;   in Loop: Header=BB6_143 Depth=2
	v_cmp_ne_u16_e64 vcc_lo, 0, v180
	v_mov_b32_e32 v35, 0
	s_and_not1_b32 s11, s11, exec_lo
	s_delay_alu instid0(VALU_DEP_2) | instskip(NEXT) | instid1(SALU_CYCLE_1)
	s_and_b32 s26, vcc_lo, exec_lo
	s_or_b32 s11, s11, s26
	s_or_b32 exec_lo, exec_lo, s27
	s_and_saveexec_b32 s26, s11
	s_cbranch_execnz .LBB6_1075
	s_branch .LBB6_1076
.LBB6_2513:                             ;   in Loop: Header=BB6_143 Depth=2
	s_mov_b32 s11, -1
	s_mov_b32 s28, exec_lo
                                        ; implicit-def: $sgpr26
	v_cmpx_eq_u16_e64 0x80, v181
; %bb.2514:                             ;   in Loop: Header=BB6_143 Depth=2
	s_mov_b32 s26, 0x7f800001
	s_xor_b32 s11, exec_lo, -1
; %bb.2515:                             ;   in Loop: Header=BB6_143 Depth=2
	s_or_b32 exec_lo, exec_lo, s28
	s_delay_alu instid0(SALU_CYCLE_1)
	s_and_b32 s11, s11, exec_lo
                                        ; implicit-def: $vgpr181
	s_or_saveexec_b32 s27, s27
	v_mov_b32_e32 v180, s26
	s_xor_b32 exec_lo, exec_lo, s27
	s_cbranch_execz .LBB6_1078
.LBB6_2516:                             ;   in Loop: Header=BB6_143 Depth=2
	v_cmp_ne_u16_e64 vcc_lo, 0, v181
	v_mov_b32_e32 v180, 0
	s_and_not1_b32 s11, s11, exec_lo
	s_delay_alu instid0(VALU_DEP_2) | instskip(NEXT) | instid1(SALU_CYCLE_1)
	s_and_b32 s26, vcc_lo, exec_lo
	s_or_b32 s11, s11, s26
	s_or_b32 exec_lo, exec_lo, s27
	s_and_saveexec_b32 s26, s11
	s_cbranch_execnz .LBB6_1079
	s_branch .LBB6_1080
.LBB6_2517:                             ;   in Loop: Header=BB6_143 Depth=2
	s_mov_b32 s11, -1
	s_mov_b32 s28, exec_lo
                                        ; implicit-def: $sgpr26
	v_cmpx_eq_u16_e64 0x80, v180
; %bb.2518:                             ;   in Loop: Header=BB6_143 Depth=2
	s_mov_b32 s26, 0x7f800001
	s_xor_b32 s11, exec_lo, -1
; %bb.2519:                             ;   in Loop: Header=BB6_143 Depth=2
	s_or_b32 exec_lo, exec_lo, s28
	s_delay_alu instid0(SALU_CYCLE_1)
	s_and_b32 s11, s11, exec_lo
                                        ; implicit-def: $vgpr180
	s_or_saveexec_b32 s27, s27
	v_mov_b32_e32 v35, s26
	s_xor_b32 exec_lo, exec_lo, s27
	s_cbranch_execz .LBB6_1085
.LBB6_2520:                             ;   in Loop: Header=BB6_143 Depth=2
	v_cmp_ne_u16_e64 vcc_lo, 0, v180
	v_mov_b32_e32 v35, 0
	s_and_not1_b32 s11, s11, exec_lo
	s_delay_alu instid0(VALU_DEP_2) | instskip(NEXT) | instid1(SALU_CYCLE_1)
	s_and_b32 s26, vcc_lo, exec_lo
	s_or_b32 s11, s11, s26
	s_or_b32 exec_lo, exec_lo, s27
	s_and_saveexec_b32 s26, s11
	s_cbranch_execnz .LBB6_1086
	s_branch .LBB6_1087
.LBB6_2521:                             ;   in Loop: Header=BB6_143 Depth=2
	s_mov_b32 s11, -1
	s_mov_b32 s28, exec_lo
                                        ; implicit-def: $sgpr26
	v_cmpx_eq_u16_e64 0x80, v181
; %bb.2522:                             ;   in Loop: Header=BB6_143 Depth=2
	s_mov_b32 s26, 0x7f800001
	s_xor_b32 s11, exec_lo, -1
; %bb.2523:                             ;   in Loop: Header=BB6_143 Depth=2
	s_or_b32 exec_lo, exec_lo, s28
	s_delay_alu instid0(SALU_CYCLE_1)
	s_and_b32 s11, s11, exec_lo
                                        ; implicit-def: $vgpr181
	s_or_saveexec_b32 s27, s27
	v_mov_b32_e32 v180, s26
	s_xor_b32 exec_lo, exec_lo, s27
	s_cbranch_execz .LBB6_1089
.LBB6_2524:                             ;   in Loop: Header=BB6_143 Depth=2
	v_cmp_ne_u16_e64 vcc_lo, 0, v181
	v_mov_b32_e32 v180, 0
	s_and_not1_b32 s11, s11, exec_lo
	s_delay_alu instid0(VALU_DEP_2) | instskip(NEXT) | instid1(SALU_CYCLE_1)
	s_and_b32 s26, vcc_lo, exec_lo
	s_or_b32 s11, s11, s26
	s_or_b32 exec_lo, exec_lo, s27
	s_and_saveexec_b32 s26, s11
	s_cbranch_execnz .LBB6_1090
	s_branch .LBB6_1091
.LBB6_2525:                             ;   in Loop: Header=BB6_143 Depth=2
	s_mov_b32 s11, -1
	s_mov_b32 s28, exec_lo
                                        ; implicit-def: $sgpr26
	v_cmpx_eq_u16_e64 0x80, v181
; %bb.2526:                             ;   in Loop: Header=BB6_143 Depth=2
	s_mov_b32 s26, 0x7f800001
	s_xor_b32 s11, exec_lo, -1
; %bb.2527:                             ;   in Loop: Header=BB6_143 Depth=2
	s_or_b32 exec_lo, exec_lo, s28
	s_delay_alu instid0(SALU_CYCLE_1)
	s_and_b32 s11, s11, exec_lo
	s_or_saveexec_b32 s27, s27
	v_mov_b32_e32 v182, s26
	s_xor_b32 exec_lo, exec_lo, s27
	s_cbranch_execz .LBB6_1103
.LBB6_2528:                             ;   in Loop: Header=BB6_143 Depth=2
	v_cmp_ne_u16_e64 vcc_lo, 0, v181
	v_mov_b32_e32 v182, 0
	s_and_not1_b32 s11, s11, exec_lo
	s_delay_alu instid0(VALU_DEP_2) | instskip(NEXT) | instid1(SALU_CYCLE_1)
	s_and_b32 s26, vcc_lo, exec_lo
	s_or_b32 s11, s11, s26
	s_or_b32 exec_lo, exec_lo, s27
	s_and_saveexec_b32 s26, s11
	s_cbranch_execnz .LBB6_1104
	s_branch .LBB6_1105
.LBB6_2529:                             ;   in Loop: Header=BB6_143 Depth=2
	s_mov_b32 s11, -1
	s_mov_b32 s28, exec_lo
                                        ; implicit-def: $sgpr26
	v_cmpx_eq_u16_e64 0x80, v180
; %bb.2530:                             ;   in Loop: Header=BB6_143 Depth=2
	s_mov_b32 s26, 0x7f800001
	s_xor_b32 s11, exec_lo, -1
; %bb.2531:                             ;   in Loop: Header=BB6_143 Depth=2
	s_or_b32 exec_lo, exec_lo, s28
	s_delay_alu instid0(SALU_CYCLE_1)
	s_and_b32 s11, s11, exec_lo
	s_or_saveexec_b32 s27, s27
	v_mov_b32_e32 v183, s26
	s_xor_b32 exec_lo, exec_lo, s27
	s_cbranch_execz .LBB6_1107
.LBB6_2532:                             ;   in Loop: Header=BB6_143 Depth=2
	v_cmp_ne_u16_e64 vcc_lo, 0, v180
	v_mov_b32_e32 v183, 0
	s_and_not1_b32 s11, s11, exec_lo
	s_delay_alu instid0(VALU_DEP_2) | instskip(NEXT) | instid1(SALU_CYCLE_1)
	s_and_b32 s26, vcc_lo, exec_lo
	s_or_b32 s11, s11, s26
	s_or_b32 exec_lo, exec_lo, s27
	s_and_saveexec_b32 s26, s11
	s_cbranch_execnz .LBB6_1108
	s_branch .LBB6_1109
.LBB6_2533:                             ;   in Loop: Header=BB6_143 Depth=2
	s_mov_b32 s11, -1
	s_mov_b32 s28, exec_lo
                                        ; implicit-def: $sgpr26
	v_cmpx_eq_u16_e64 0x80, v181
; %bb.2534:                             ;   in Loop: Header=BB6_143 Depth=2
	s_mov_b32 s26, 0x7f800001
	s_xor_b32 s11, exec_lo, -1
; %bb.2535:                             ;   in Loop: Header=BB6_143 Depth=2
	s_or_b32 exec_lo, exec_lo, s28
	s_delay_alu instid0(SALU_CYCLE_1)
	s_and_b32 s11, s11, exec_lo
	s_or_saveexec_b32 s27, s27
	v_mov_b32_e32 v182, s26
	s_xor_b32 exec_lo, exec_lo, s27
	s_cbranch_execz .LBB6_1114
.LBB6_2536:                             ;   in Loop: Header=BB6_143 Depth=2
	v_cmp_ne_u16_e64 vcc_lo, 0, v181
	v_mov_b32_e32 v182, 0
	s_and_not1_b32 s11, s11, exec_lo
	s_delay_alu instid0(VALU_DEP_2) | instskip(NEXT) | instid1(SALU_CYCLE_1)
	s_and_b32 s26, vcc_lo, exec_lo
	s_or_b32 s11, s11, s26
	s_or_b32 exec_lo, exec_lo, s27
	s_and_saveexec_b32 s26, s11
	s_cbranch_execnz .LBB6_1115
	s_branch .LBB6_1116
.LBB6_2537:                             ;   in Loop: Header=BB6_143 Depth=2
	s_mov_b32 s11, -1
	s_mov_b32 s28, exec_lo
                                        ; implicit-def: $sgpr26
	v_cmpx_eq_u16_e64 0x80, v180
; %bb.2538:                             ;   in Loop: Header=BB6_143 Depth=2
	s_mov_b32 s26, 0x7f800001
	s_xor_b32 s11, exec_lo, -1
; %bb.2539:                             ;   in Loop: Header=BB6_143 Depth=2
	s_or_b32 exec_lo, exec_lo, s28
	s_delay_alu instid0(SALU_CYCLE_1)
	s_and_b32 s11, s11, exec_lo
	s_or_saveexec_b32 s27, s27
	v_mov_b32_e32 v181, s26
	s_xor_b32 exec_lo, exec_lo, s27
	s_cbranch_execz .LBB6_1118
.LBB6_2540:                             ;   in Loop: Header=BB6_143 Depth=2
	v_cmp_ne_u16_e64 vcc_lo, 0, v180
	v_mov_b32_e32 v181, 0
	s_and_not1_b32 s11, s11, exec_lo
	s_delay_alu instid0(VALU_DEP_2) | instskip(NEXT) | instid1(SALU_CYCLE_1)
	s_and_b32 s26, vcc_lo, exec_lo
	s_or_b32 s11, s11, s26
	s_or_b32 exec_lo, exec_lo, s27
	s_and_saveexec_b32 s26, s11
	s_cbranch_execnz .LBB6_1119
	s_branch .LBB6_1120
.LBB6_2541:                             ;   in Loop: Header=BB6_143 Depth=2
	s_mov_b32 s11, -1
	s_mov_b32 s28, exec_lo
                                        ; implicit-def: $sgpr26
	v_cmpx_eq_u16_e32 0x80, v40
; %bb.2542:                             ;   in Loop: Header=BB6_143 Depth=2
	s_mov_b32 s26, 0x7f800001
	s_xor_b32 s11, exec_lo, -1
; %bb.2543:                             ;   in Loop: Header=BB6_143 Depth=2
	s_or_b32 exec_lo, exec_lo, s28
	s_delay_alu instid0(SALU_CYCLE_1)
	s_and_b32 s11, s11, exec_lo
                                        ; implicit-def: $vgpr40
	s_or_saveexec_b32 s27, s27
	v_mov_b32_e32 v183, s26
	s_xor_b32 exec_lo, exec_lo, s27
	s_cbranch_execz .LBB6_1132
.LBB6_2544:                             ;   in Loop: Header=BB6_143 Depth=2
	v_cmp_ne_u16_e32 vcc_lo, 0, v40
	v_mov_b32_e32 v183, 0
	s_and_not1_b32 s11, s11, exec_lo
	s_and_b32 s26, vcc_lo, exec_lo
	s_delay_alu instid0(SALU_CYCLE_1)
	s_or_b32 s11, s11, s26
	s_or_b32 exec_lo, exec_lo, s27
	s_and_saveexec_b32 s26, s11
	s_cbranch_execnz .LBB6_1133
	s_branch .LBB6_1134
.LBB6_2545:                             ;   in Loop: Header=BB6_143 Depth=2
	s_mov_b32 s11, -1
	s_mov_b32 s28, exec_lo
                                        ; implicit-def: $sgpr26
	v_cmpx_eq_u16_e32 0x80, v41
; %bb.2546:                             ;   in Loop: Header=BB6_143 Depth=2
	s_mov_b32 s26, 0x7f800001
	s_xor_b32 s11, exec_lo, -1
; %bb.2547:                             ;   in Loop: Header=BB6_143 Depth=2
	s_or_b32 exec_lo, exec_lo, s28
	s_delay_alu instid0(SALU_CYCLE_1)
	s_and_b32 s11, s11, exec_lo
                                        ; implicit-def: $vgpr41
	s_or_saveexec_b32 s27, s27
	v_mov_b32_e32 v40, s26
	s_xor_b32 exec_lo, exec_lo, s27
	s_cbranch_execz .LBB6_1136
.LBB6_2548:                             ;   in Loop: Header=BB6_143 Depth=2
	v_cmp_ne_u16_e32 vcc_lo, 0, v41
	v_mov_b32_e32 v40, 0
	s_and_not1_b32 s11, s11, exec_lo
	s_and_b32 s26, vcc_lo, exec_lo
	s_delay_alu instid0(SALU_CYCLE_1)
	s_or_b32 s11, s11, s26
	s_or_b32 exec_lo, exec_lo, s27
	s_and_saveexec_b32 s26, s11
	s_cbranch_execnz .LBB6_1137
	s_branch .LBB6_1138
.LBB6_2549:                             ;   in Loop: Header=BB6_143 Depth=2
	s_mov_b32 s11, -1
	s_mov_b32 s28, exec_lo
                                        ; implicit-def: $sgpr26
	v_cmpx_eq_u16_e32 0x80, v40
; %bb.2550:                             ;   in Loop: Header=BB6_143 Depth=2
	s_mov_b32 s26, 0x7f800001
	s_xor_b32 s11, exec_lo, -1
; %bb.2551:                             ;   in Loop: Header=BB6_143 Depth=2
	s_or_b32 exec_lo, exec_lo, s28
	s_delay_alu instid0(SALU_CYCLE_1)
	s_and_b32 s11, s11, exec_lo
                                        ; implicit-def: $vgpr40
	s_or_saveexec_b32 s27, s27
	v_mov_b32_e32 v183, s26
	s_xor_b32 exec_lo, exec_lo, s27
	s_cbranch_execz .LBB6_1143
.LBB6_2552:                             ;   in Loop: Header=BB6_143 Depth=2
	v_cmp_ne_u16_e32 vcc_lo, 0, v40
	v_mov_b32_e32 v183, 0
	s_and_not1_b32 s11, s11, exec_lo
	s_and_b32 s26, vcc_lo, exec_lo
	s_delay_alu instid0(SALU_CYCLE_1)
	s_or_b32 s11, s11, s26
	s_or_b32 exec_lo, exec_lo, s27
	s_and_saveexec_b32 s26, s11
	s_cbranch_execnz .LBB6_1144
	s_branch .LBB6_1145
.LBB6_2553:                             ;   in Loop: Header=BB6_143 Depth=2
	s_mov_b32 s11, -1
	s_mov_b32 s28, exec_lo
                                        ; implicit-def: $sgpr26
	v_cmpx_eq_u16_e32 0x80, v40
; %bb.2554:                             ;   in Loop: Header=BB6_143 Depth=2
	s_mov_b32 s26, 0x7f800001
	s_xor_b32 s11, exec_lo, -1
; %bb.2555:                             ;   in Loop: Header=BB6_143 Depth=2
	s_or_b32 exec_lo, exec_lo, s28
	s_delay_alu instid0(SALU_CYCLE_1)
	s_and_b32 s11, s11, exec_lo
                                        ; implicit-def: $vgpr40
	s_or_saveexec_b32 s27, s27
	v_mov_b32_e32 v182, s26
	s_xor_b32 exec_lo, exec_lo, s27
	s_cbranch_execz .LBB6_1147
.LBB6_2556:                             ;   in Loop: Header=BB6_143 Depth=2
	v_cmp_ne_u16_e32 vcc_lo, 0, v40
	v_mov_b32_e32 v182, 0
	s_and_not1_b32 s11, s11, exec_lo
	s_and_b32 s26, vcc_lo, exec_lo
	s_delay_alu instid0(SALU_CYCLE_1)
	s_or_b32 s11, s11, s26
	s_or_b32 exec_lo, exec_lo, s27
	s_and_saveexec_b32 s26, s11
	s_cbranch_execnz .LBB6_1148
	s_branch .LBB6_1149
.LBB6_2557:                             ;   in Loop: Header=BB6_143 Depth=2
	s_mov_b32 s11, -1
	s_mov_b32 s28, exec_lo
                                        ; implicit-def: $sgpr26
	v_cmpx_eq_u16_e64 0x80, v183
; %bb.2558:                             ;   in Loop: Header=BB6_143 Depth=2
	s_mov_b32 s26, 0x7f800001
	s_xor_b32 s11, exec_lo, -1
; %bb.2559:                             ;   in Loop: Header=BB6_143 Depth=2
	s_or_b32 exec_lo, exec_lo, s28
	s_delay_alu instid0(SALU_CYCLE_1)
	s_and_b32 s11, s11, exec_lo
	s_or_saveexec_b32 s27, s27
	v_mov_b32_e32 v40, s26
	s_xor_b32 exec_lo, exec_lo, s27
	s_cbranch_execz .LBB6_1161
.LBB6_2560:                             ;   in Loop: Header=BB6_143 Depth=2
	v_cmp_ne_u16_e64 vcc_lo, 0, v183
	v_mov_b32_e32 v40, 0
	s_and_not1_b32 s11, s11, exec_lo
	s_delay_alu instid0(VALU_DEP_2) | instskip(NEXT) | instid1(SALU_CYCLE_1)
	s_and_b32 s26, vcc_lo, exec_lo
	s_or_b32 s11, s11, s26
	s_or_b32 exec_lo, exec_lo, s27
	s_and_saveexec_b32 s26, s11
	s_cbranch_execnz .LBB6_1162
	s_branch .LBB6_1163
.LBB6_2561:                             ;   in Loop: Header=BB6_143 Depth=2
	s_mov_b32 s11, -1
	s_mov_b32 s28, exec_lo
                                        ; implicit-def: $sgpr26
	v_cmpx_eq_u16_e64 0x80, v182
; %bb.2562:                             ;   in Loop: Header=BB6_143 Depth=2
	s_mov_b32 s26, 0x7f800001
	s_xor_b32 s11, exec_lo, -1
; %bb.2563:                             ;   in Loop: Header=BB6_143 Depth=2
	s_or_b32 exec_lo, exec_lo, s28
	s_delay_alu instid0(SALU_CYCLE_1)
	s_and_b32 s11, s11, exec_lo
	s_or_saveexec_b32 s27, s27
	v_mov_b32_e32 v41, s26
	s_xor_b32 exec_lo, exec_lo, s27
	s_cbranch_execz .LBB6_1165
.LBB6_2564:                             ;   in Loop: Header=BB6_143 Depth=2
	v_cmp_ne_u16_e64 vcc_lo, 0, v182
	v_mov_b32_e32 v41, 0
	s_and_not1_b32 s11, s11, exec_lo
	s_delay_alu instid0(VALU_DEP_2) | instskip(NEXT) | instid1(SALU_CYCLE_1)
	s_and_b32 s26, vcc_lo, exec_lo
	s_or_b32 s11, s11, s26
	s_or_b32 exec_lo, exec_lo, s27
	s_and_saveexec_b32 s26, s11
	s_cbranch_execnz .LBB6_1166
	s_branch .LBB6_1167
.LBB6_2565:                             ;   in Loop: Header=BB6_143 Depth=2
	s_mov_b32 s11, -1
	s_mov_b32 s28, exec_lo
                                        ; implicit-def: $sgpr26
	v_cmpx_eq_u16_e64 0x80, v183
; %bb.2566:                             ;   in Loop: Header=BB6_143 Depth=2
	s_mov_b32 s26, 0x7f800001
	s_xor_b32 s11, exec_lo, -1
; %bb.2567:                             ;   in Loop: Header=BB6_143 Depth=2
	s_or_b32 exec_lo, exec_lo, s28
	s_delay_alu instid0(SALU_CYCLE_1)
	s_and_b32 s11, s11, exec_lo
	s_or_saveexec_b32 s27, s27
	v_mov_b32_e32 v40, s26
	s_xor_b32 exec_lo, exec_lo, s27
	s_cbranch_execz .LBB6_1172
.LBB6_2568:                             ;   in Loop: Header=BB6_143 Depth=2
	v_cmp_ne_u16_e64 vcc_lo, 0, v183
	v_mov_b32_e32 v40, 0
	s_and_not1_b32 s11, s11, exec_lo
	s_delay_alu instid0(VALU_DEP_2) | instskip(NEXT) | instid1(SALU_CYCLE_1)
	s_and_b32 s26, vcc_lo, exec_lo
	s_or_b32 s11, s11, s26
	s_or_b32 exec_lo, exec_lo, s27
	s_and_saveexec_b32 s26, s11
	s_cbranch_execnz .LBB6_1173
	s_branch .LBB6_1174
.LBB6_2569:                             ;   in Loop: Header=BB6_143 Depth=2
	s_mov_b32 s11, -1
	s_mov_b32 s28, exec_lo
                                        ; implicit-def: $sgpr26
	v_cmpx_eq_u16_e64 0x80, v182
; %bb.2570:                             ;   in Loop: Header=BB6_143 Depth=2
	s_mov_b32 s26, 0x7f800001
	s_xor_b32 s11, exec_lo, -1
; %bb.2571:                             ;   in Loop: Header=BB6_143 Depth=2
	s_or_b32 exec_lo, exec_lo, s28
	s_delay_alu instid0(SALU_CYCLE_1)
	s_and_b32 s11, s11, exec_lo
	s_or_saveexec_b32 s27, s27
	v_mov_b32_e32 v22, s26
	s_xor_b32 exec_lo, exec_lo, s27
	s_cbranch_execz .LBB6_1176
.LBB6_2572:                             ;   in Loop: Header=BB6_143 Depth=2
	v_cmp_ne_u16_e64 vcc_lo, 0, v182
	v_mov_b32_e32 v22, 0
	s_and_not1_b32 s11, s11, exec_lo
	s_delay_alu instid0(VALU_DEP_2) | instskip(NEXT) | instid1(SALU_CYCLE_1)
	s_and_b32 s26, vcc_lo, exec_lo
	s_or_b32 s11, s11, s26
	s_or_b32 exec_lo, exec_lo, s27
	s_and_saveexec_b32 s26, s11
	s_cbranch_execnz .LBB6_1177
	s_branch .LBB6_1178
.LBB6_2573:                             ;   in Loop: Header=BB6_143 Depth=2
	s_mov_b32 s11, -1
	s_mov_b32 s28, exec_lo
                                        ; implicit-def: $sgpr26
	v_cmpx_eq_u16_e64 0x80, v182
; %bb.2574:                             ;   in Loop: Header=BB6_143 Depth=2
	s_mov_b32 s26, 0x7f800001
	s_xor_b32 s11, exec_lo, -1
; %bb.2575:                             ;   in Loop: Header=BB6_143 Depth=2
	s_or_b32 exec_lo, exec_lo, s28
	s_delay_alu instid0(SALU_CYCLE_1)
	s_and_b32 s11, s11, exec_lo
                                        ; implicit-def: $vgpr182
	s_or_saveexec_b32 s27, s27
	v_mov_b32_e32 v22, s26
	s_xor_b32 exec_lo, exec_lo, s27
	s_cbranch_execz .LBB6_1190
.LBB6_2576:                             ;   in Loop: Header=BB6_143 Depth=2
	v_cmp_ne_u16_e64 vcc_lo, 0, v182
	v_mov_b32_e32 v22, 0
	s_and_not1_b32 s11, s11, exec_lo
	s_delay_alu instid0(VALU_DEP_2) | instskip(NEXT) | instid1(SALU_CYCLE_1)
	s_and_b32 s26, vcc_lo, exec_lo
	s_or_b32 s11, s11, s26
	s_or_b32 exec_lo, exec_lo, s27
	s_and_saveexec_b32 s26, s11
	s_cbranch_execnz .LBB6_1191
	s_branch .LBB6_1192
.LBB6_2577:                             ;   in Loop: Header=BB6_143 Depth=2
	s_mov_b32 s11, -1
	s_mov_b32 s28, exec_lo
                                        ; implicit-def: $sgpr26
	v_cmpx_eq_u16_e64 0x80, v183
; %bb.2578:                             ;   in Loop: Header=BB6_143 Depth=2
	s_mov_b32 s26, 0x7f800001
	s_xor_b32 s11, exec_lo, -1
; %bb.2579:                             ;   in Loop: Header=BB6_143 Depth=2
	s_or_b32 exec_lo, exec_lo, s28
	s_delay_alu instid0(SALU_CYCLE_1)
	s_and_b32 s11, s11, exec_lo
                                        ; implicit-def: $vgpr183
	s_or_saveexec_b32 s27, s27
	v_mov_b32_e32 v182, s26
	s_xor_b32 exec_lo, exec_lo, s27
	s_cbranch_execz .LBB6_1194
.LBB6_2580:                             ;   in Loop: Header=BB6_143 Depth=2
	v_cmp_ne_u16_e64 vcc_lo, 0, v183
	v_mov_b32_e32 v182, 0
	s_and_not1_b32 s11, s11, exec_lo
	s_delay_alu instid0(VALU_DEP_2) | instskip(NEXT) | instid1(SALU_CYCLE_1)
	s_and_b32 s26, vcc_lo, exec_lo
	s_or_b32 s11, s11, s26
	s_or_b32 exec_lo, exec_lo, s27
	s_and_saveexec_b32 s26, s11
	s_cbranch_execnz .LBB6_1195
	s_branch .LBB6_1196
.LBB6_2581:                             ;   in Loop: Header=BB6_143 Depth=2
	s_mov_b32 s11, -1
	s_mov_b32 s28, exec_lo
                                        ; implicit-def: $sgpr26
	v_cmpx_eq_u16_e64 0x80, v182
; %bb.2582:                             ;   in Loop: Header=BB6_143 Depth=2
	s_mov_b32 s26, 0x7f800001
	s_xor_b32 s11, exec_lo, -1
; %bb.2583:                             ;   in Loop: Header=BB6_143 Depth=2
	s_or_b32 exec_lo, exec_lo, s28
	s_delay_alu instid0(SALU_CYCLE_1)
	s_and_b32 s11, s11, exec_lo
                                        ; implicit-def: $vgpr182
	s_or_saveexec_b32 s27, s27
	v_mov_b32_e32 v22, s26
	s_xor_b32 exec_lo, exec_lo, s27
	s_cbranch_execz .LBB6_1201
.LBB6_2584:                             ;   in Loop: Header=BB6_143 Depth=2
	v_cmp_ne_u16_e64 vcc_lo, 0, v182
	v_mov_b32_e32 v22, 0
	s_and_not1_b32 s11, s11, exec_lo
	s_delay_alu instid0(VALU_DEP_2) | instskip(NEXT) | instid1(SALU_CYCLE_1)
	s_and_b32 s26, vcc_lo, exec_lo
	s_or_b32 s11, s11, s26
	s_or_b32 exec_lo, exec_lo, s27
	s_and_saveexec_b32 s26, s11
	s_cbranch_execnz .LBB6_1202
	s_branch .LBB6_1203
.LBB6_2585:                             ;   in Loop: Header=BB6_143 Depth=2
	s_mov_b32 s11, -1
	s_mov_b32 s28, exec_lo
                                        ; implicit-def: $sgpr26
	v_cmpx_eq_u16_e64 0x80, v183
; %bb.2586:                             ;   in Loop: Header=BB6_143 Depth=2
	s_mov_b32 s26, 0x7f800001
	s_xor_b32 s11, exec_lo, -1
; %bb.2587:                             ;   in Loop: Header=BB6_143 Depth=2
	s_or_b32 exec_lo, exec_lo, s28
	s_delay_alu instid0(SALU_CYCLE_1)
	s_and_b32 s11, s11, exec_lo
                                        ; implicit-def: $vgpr183
	s_or_saveexec_b32 s27, s27
	v_mov_b32_e32 v182, s26
	s_xor_b32 exec_lo, exec_lo, s27
	s_cbranch_execz .LBB6_1205
.LBB6_2588:                             ;   in Loop: Header=BB6_143 Depth=2
	v_cmp_ne_u16_e64 vcc_lo, 0, v183
	v_mov_b32_e32 v182, 0
	s_and_not1_b32 s11, s11, exec_lo
	s_delay_alu instid0(VALU_DEP_2) | instskip(NEXT) | instid1(SALU_CYCLE_1)
	s_and_b32 s26, vcc_lo, exec_lo
	s_or_b32 s11, s11, s26
	s_or_b32 exec_lo, exec_lo, s27
	s_and_saveexec_b32 s26, s11
	s_cbranch_execnz .LBB6_1206
	s_branch .LBB6_1207
.LBB6_2589:                             ;   in Loop: Header=BB6_143 Depth=2
	s_mov_b32 s11, -1
	s_mov_b32 s28, exec_lo
                                        ; implicit-def: $sgpr26
	v_cmpx_eq_u16_e64 0x80, v183
; %bb.2590:                             ;   in Loop: Header=BB6_143 Depth=2
	s_mov_b32 s26, 0x7f800001
	s_xor_b32 s11, exec_lo, -1
; %bb.2591:                             ;   in Loop: Header=BB6_143 Depth=2
	s_or_b32 exec_lo, exec_lo, s28
	s_delay_alu instid0(SALU_CYCLE_1)
	s_and_b32 s11, s11, exec_lo
	s_or_saveexec_b32 s27, s27
	v_mov_b32_e32 v40, s26
	s_xor_b32 exec_lo, exec_lo, s27
	s_cbranch_execz .LBB6_1219
.LBB6_2592:                             ;   in Loop: Header=BB6_143 Depth=2
	v_cmp_ne_u16_e64 vcc_lo, 0, v183
	v_mov_b32_e32 v40, 0
	s_and_not1_b32 s11, s11, exec_lo
	s_delay_alu instid0(VALU_DEP_2) | instskip(NEXT) | instid1(SALU_CYCLE_1)
	s_and_b32 s26, vcc_lo, exec_lo
	s_or_b32 s11, s11, s26
	s_or_b32 exec_lo, exec_lo, s27
	s_and_saveexec_b32 s26, s11
	s_cbranch_execnz .LBB6_1220
	s_branch .LBB6_1221
.LBB6_2593:                             ;   in Loop: Header=BB6_143 Depth=2
	s_mov_b32 s11, -1
	s_mov_b32 s28, exec_lo
                                        ; implicit-def: $sgpr26
	v_cmpx_eq_u16_e64 0x80, v182
; %bb.2594:                             ;   in Loop: Header=BB6_143 Depth=2
	s_mov_b32 s26, 0x7f800001
	s_xor_b32 s11, exec_lo, -1
; %bb.2595:                             ;   in Loop: Header=BB6_143 Depth=2
	s_or_b32 exec_lo, exec_lo, s28
	s_delay_alu instid0(SALU_CYCLE_1)
	s_and_b32 s11, s11, exec_lo
	s_or_saveexec_b32 s27, s27
	v_mov_b32_e32 v41, s26
	s_xor_b32 exec_lo, exec_lo, s27
	s_cbranch_execz .LBB6_1223
.LBB6_2596:                             ;   in Loop: Header=BB6_143 Depth=2
	v_cmp_ne_u16_e64 vcc_lo, 0, v182
	v_mov_b32_e32 v41, 0
	s_and_not1_b32 s11, s11, exec_lo
	s_delay_alu instid0(VALU_DEP_2) | instskip(NEXT) | instid1(SALU_CYCLE_1)
	s_and_b32 s26, vcc_lo, exec_lo
	s_or_b32 s11, s11, s26
	s_or_b32 exec_lo, exec_lo, s27
	s_and_saveexec_b32 s26, s11
	s_cbranch_execnz .LBB6_1224
	s_branch .LBB6_1225
.LBB6_2597:                             ;   in Loop: Header=BB6_143 Depth=2
	s_mov_b32 s11, -1
	s_mov_b32 s28, exec_lo
                                        ; implicit-def: $sgpr26
	v_cmpx_eq_u16_e64 0x80, v183
; %bb.2598:                             ;   in Loop: Header=BB6_143 Depth=2
	s_mov_b32 s26, 0x7f800001
	s_xor_b32 s11, exec_lo, -1
; %bb.2599:                             ;   in Loop: Header=BB6_143 Depth=2
	s_or_b32 exec_lo, exec_lo, s28
	s_delay_alu instid0(SALU_CYCLE_1)
	s_and_b32 s11, s11, exec_lo
	s_or_saveexec_b32 s27, s27
	v_mov_b32_e32 v40, s26
	s_xor_b32 exec_lo, exec_lo, s27
	s_cbranch_execz .LBB6_1230
.LBB6_2600:                             ;   in Loop: Header=BB6_143 Depth=2
	v_cmp_ne_u16_e64 vcc_lo, 0, v183
	v_mov_b32_e32 v40, 0
	s_and_not1_b32 s11, s11, exec_lo
	s_delay_alu instid0(VALU_DEP_2) | instskip(NEXT) | instid1(SALU_CYCLE_1)
	s_and_b32 s26, vcc_lo, exec_lo
	s_or_b32 s11, s11, s26
	s_or_b32 exec_lo, exec_lo, s27
	s_and_saveexec_b32 s26, s11
	s_cbranch_execnz .LBB6_1231
	s_branch .LBB6_1232
.LBB6_2601:                             ;   in Loop: Header=BB6_143 Depth=2
	s_mov_b32 s11, -1
	s_mov_b32 s28, exec_lo
                                        ; implicit-def: $sgpr26
	v_cmpx_eq_u16_e64 0x80, v182
; %bb.2602:                             ;   in Loop: Header=BB6_143 Depth=2
	s_mov_b32 s26, 0x7f800001
	s_xor_b32 s11, exec_lo, -1
; %bb.2603:                             ;   in Loop: Header=BB6_143 Depth=2
	s_or_b32 exec_lo, exec_lo, s28
	s_delay_alu instid0(SALU_CYCLE_1)
	s_and_b32 s11, s11, exec_lo
	s_or_saveexec_b32 s27, s27
	v_mov_b32_e32 v183, s26
	s_xor_b32 exec_lo, exec_lo, s27
	s_cbranch_execz .LBB6_1234
.LBB6_2604:                             ;   in Loop: Header=BB6_143 Depth=2
	v_cmp_ne_u16_e64 vcc_lo, 0, v182
	v_mov_b32_e32 v183, 0
	s_and_not1_b32 s11, s11, exec_lo
	s_delay_alu instid0(VALU_DEP_2) | instskip(NEXT) | instid1(SALU_CYCLE_1)
	s_and_b32 s26, vcc_lo, exec_lo
	s_or_b32 s11, s11, s26
	s_or_b32 exec_lo, exec_lo, s27
	s_and_saveexec_b32 s26, s11
	s_cbranch_execnz .LBB6_1235
	s_branch .LBB6_1236
.LBB6_2605:                             ;   in Loop: Header=BB6_143 Depth=2
	s_mov_b32 s11, -1
	s_mov_b32 s28, exec_lo
                                        ; implicit-def: $sgpr26
	v_cmpx_eq_u16_e32 0x80, v42
; %bb.2606:                             ;   in Loop: Header=BB6_143 Depth=2
	s_mov_b32 s26, 0x7f800001
	s_xor_b32 s11, exec_lo, -1
; %bb.2607:                             ;   in Loop: Header=BB6_143 Depth=2
	s_or_b32 exec_lo, exec_lo, s28
	s_delay_alu instid0(SALU_CYCLE_1)
	s_and_b32 s11, s11, exec_lo
                                        ; implicit-def: $vgpr42
	s_or_saveexec_b32 s27, s27
	v_mov_b32_e32 v41, s26
	s_xor_b32 exec_lo, exec_lo, s27
	s_cbranch_execz .LBB6_1248
.LBB6_2608:                             ;   in Loop: Header=BB6_143 Depth=2
	v_cmp_ne_u16_e32 vcc_lo, 0, v42
	v_mov_b32_e32 v41, 0
	s_and_not1_b32 s11, s11, exec_lo
	s_and_b32 s26, vcc_lo, exec_lo
	s_delay_alu instid0(SALU_CYCLE_1)
	s_or_b32 s11, s11, s26
	s_or_b32 exec_lo, exec_lo, s27
	s_and_saveexec_b32 s26, s11
	s_cbranch_execnz .LBB6_1249
	s_branch .LBB6_1250
.LBB6_2609:                             ;   in Loop: Header=BB6_143 Depth=2
	s_mov_b32 s11, -1
	s_mov_b32 s28, exec_lo
                                        ; implicit-def: $sgpr26
	v_cmpx_eq_u16_e32 0x80, v43
; %bb.2610:                             ;   in Loop: Header=BB6_143 Depth=2
	s_mov_b32 s26, 0x7f800001
	s_xor_b32 s11, exec_lo, -1
; %bb.2611:                             ;   in Loop: Header=BB6_143 Depth=2
	s_or_b32 exec_lo, exec_lo, s28
	s_delay_alu instid0(SALU_CYCLE_1)
	s_and_b32 s11, s11, exec_lo
                                        ; implicit-def: $vgpr43
	s_or_saveexec_b32 s27, s27
	v_mov_b32_e32 v42, s26
	s_xor_b32 exec_lo, exec_lo, s27
	s_cbranch_execz .LBB6_1252
.LBB6_2612:                             ;   in Loop: Header=BB6_143 Depth=2
	v_cmp_ne_u16_e32 vcc_lo, 0, v43
	v_mov_b32_e32 v42, 0
	s_and_not1_b32 s11, s11, exec_lo
	s_and_b32 s26, vcc_lo, exec_lo
	s_delay_alu instid0(SALU_CYCLE_1)
	s_or_b32 s11, s11, s26
	s_or_b32 exec_lo, exec_lo, s27
	s_and_saveexec_b32 s26, s11
	s_cbranch_execnz .LBB6_1253
	s_branch .LBB6_1254
.LBB6_2613:                             ;   in Loop: Header=BB6_143 Depth=2
	s_mov_b32 s11, -1
	s_mov_b32 s28, exec_lo
                                        ; implicit-def: $sgpr26
	v_cmpx_eq_u16_e32 0x80, v42
; %bb.2614:                             ;   in Loop: Header=BB6_143 Depth=2
	s_mov_b32 s26, 0x7f800001
	s_xor_b32 s11, exec_lo, -1
; %bb.2615:                             ;   in Loop: Header=BB6_143 Depth=2
	s_or_b32 exec_lo, exec_lo, s28
	s_delay_alu instid0(SALU_CYCLE_1)
	s_and_b32 s11, s11, exec_lo
                                        ; implicit-def: $vgpr42
	s_or_saveexec_b32 s27, s27
	v_mov_b32_e32 v41, s26
	s_xor_b32 exec_lo, exec_lo, s27
	s_cbranch_execz .LBB6_1259
.LBB6_2616:                             ;   in Loop: Header=BB6_143 Depth=2
	v_cmp_ne_u16_e32 vcc_lo, 0, v42
	v_mov_b32_e32 v41, 0
	s_and_not1_b32 s11, s11, exec_lo
	s_and_b32 s26, vcc_lo, exec_lo
	s_delay_alu instid0(SALU_CYCLE_1)
	s_or_b32 s11, s11, s26
	s_or_b32 exec_lo, exec_lo, s27
	s_and_saveexec_b32 s26, s11
	s_cbranch_execnz .LBB6_1260
	s_branch .LBB6_1261
.LBB6_2617:                             ;   in Loop: Header=BB6_143 Depth=2
	s_mov_b32 s11, -1
	s_mov_b32 s28, exec_lo
                                        ; implicit-def: $sgpr26
	v_cmpx_eq_u16_e32 0x80, v42
; %bb.2618:                             ;   in Loop: Header=BB6_143 Depth=2
	s_mov_b32 s26, 0x7f800001
	s_xor_b32 s11, exec_lo, -1
; %bb.2619:                             ;   in Loop: Header=BB6_143 Depth=2
	s_or_b32 exec_lo, exec_lo, s28
	s_delay_alu instid0(SALU_CYCLE_1)
	s_and_b32 s11, s11, exec_lo
                                        ; implicit-def: $vgpr42
	s_or_saveexec_b32 s27, s27
	v_mov_b32_e32 v40, s26
	s_xor_b32 exec_lo, exec_lo, s27
	s_cbranch_execz .LBB6_1263
.LBB6_2620:                             ;   in Loop: Header=BB6_143 Depth=2
	v_cmp_ne_u16_e32 vcc_lo, 0, v42
	v_mov_b32_e32 v40, 0
	s_and_not1_b32 s11, s11, exec_lo
	s_and_b32 s26, vcc_lo, exec_lo
	s_delay_alu instid0(SALU_CYCLE_1)
	s_or_b32 s11, s11, s26
	s_or_b32 exec_lo, exec_lo, s27
	s_and_saveexec_b32 s26, s11
	s_cbranch_execnz .LBB6_1264
	s_branch .LBB6_1265
.LBB6_2621:                             ;   in Loop: Header=BB6_143 Depth=2
	s_mov_b32 s11, -1
	s_mov_b32 s28, exec_lo
                                        ; implicit-def: $sgpr26
	v_cmpx_eq_u16_e32 0x80, v41
; %bb.2622:                             ;   in Loop: Header=BB6_143 Depth=2
	s_mov_b32 s26, 0x7f800001
	s_xor_b32 s11, exec_lo, -1
; %bb.2623:                             ;   in Loop: Header=BB6_143 Depth=2
	s_or_b32 exec_lo, exec_lo, s28
	s_delay_alu instid0(SALU_CYCLE_1)
	s_and_b32 s11, s11, exec_lo
	s_or_saveexec_b32 s27, s27
	v_mov_b32_e32 v42, s26
	s_xor_b32 exec_lo, exec_lo, s27
	s_cbranch_execz .LBB6_1277
.LBB6_2624:                             ;   in Loop: Header=BB6_143 Depth=2
	v_cmp_ne_u16_e32 vcc_lo, 0, v41
	v_mov_b32_e32 v42, 0
	s_and_not1_b32 s11, s11, exec_lo
	s_and_b32 s26, vcc_lo, exec_lo
	s_delay_alu instid0(SALU_CYCLE_1)
	s_or_b32 s11, s11, s26
	s_or_b32 exec_lo, exec_lo, s27
	s_and_saveexec_b32 s26, s11
	s_cbranch_execnz .LBB6_1278
	s_branch .LBB6_1279
.LBB6_2625:                             ;   in Loop: Header=BB6_143 Depth=2
	s_mov_b32 s11, -1
	s_mov_b32 s28, exec_lo
                                        ; implicit-def: $sgpr26
	v_cmpx_eq_u16_e32 0x80, v40
; %bb.2626:                             ;   in Loop: Header=BB6_143 Depth=2
	s_mov_b32 s26, 0x7f800001
	s_xor_b32 s11, exec_lo, -1
; %bb.2627:                             ;   in Loop: Header=BB6_143 Depth=2
	s_or_b32 exec_lo, exec_lo, s28
	s_delay_alu instid0(SALU_CYCLE_1)
	s_and_b32 s11, s11, exec_lo
	s_or_saveexec_b32 s27, s27
	v_mov_b32_e32 v43, s26
	s_xor_b32 exec_lo, exec_lo, s27
	s_cbranch_execz .LBB6_1281
.LBB6_2628:                             ;   in Loop: Header=BB6_143 Depth=2
	v_cmp_ne_u16_e32 vcc_lo, 0, v40
	v_mov_b32_e32 v43, 0
	s_and_not1_b32 s11, s11, exec_lo
	s_and_b32 s26, vcc_lo, exec_lo
	s_delay_alu instid0(SALU_CYCLE_1)
	s_or_b32 s11, s11, s26
	s_or_b32 exec_lo, exec_lo, s27
	s_and_saveexec_b32 s26, s11
	s_cbranch_execnz .LBB6_1282
	s_branch .LBB6_1283
.LBB6_2629:                             ;   in Loop: Header=BB6_143 Depth=2
	s_mov_b32 s11, -1
	s_mov_b32 s28, exec_lo
                                        ; implicit-def: $sgpr26
	v_cmpx_eq_u16_e32 0x80, v41
; %bb.2630:                             ;   in Loop: Header=BB6_143 Depth=2
	s_mov_b32 s26, 0x7f800001
	s_xor_b32 s11, exec_lo, -1
; %bb.2631:                             ;   in Loop: Header=BB6_143 Depth=2
	s_or_b32 exec_lo, exec_lo, s28
	s_delay_alu instid0(SALU_CYCLE_1)
	s_and_b32 s11, s11, exec_lo
	s_or_saveexec_b32 s27, s27
	v_mov_b32_e32 v42, s26
	s_xor_b32 exec_lo, exec_lo, s27
	s_cbranch_execz .LBB6_1288
.LBB6_2632:                             ;   in Loop: Header=BB6_143 Depth=2
	v_cmp_ne_u16_e32 vcc_lo, 0, v41
	v_mov_b32_e32 v42, 0
	s_and_not1_b32 s11, s11, exec_lo
	s_and_b32 s26, vcc_lo, exec_lo
	s_delay_alu instid0(SALU_CYCLE_1)
	s_or_b32 s11, s11, s26
	s_or_b32 exec_lo, exec_lo, s27
	s_and_saveexec_b32 s26, s11
	s_cbranch_execnz .LBB6_1289
	s_branch .LBB6_1290
.LBB6_2633:                             ;   in Loop: Header=BB6_143 Depth=2
	s_mov_b32 s11, -1
	s_mov_b32 s28, exec_lo
                                        ; implicit-def: $sgpr26
	v_cmpx_eq_u16_e32 0x80, v40
; %bb.2634:                             ;   in Loop: Header=BB6_143 Depth=2
	s_mov_b32 s26, 0x7f800001
	s_xor_b32 s11, exec_lo, -1
; %bb.2635:                             ;   in Loop: Header=BB6_143 Depth=2
	s_or_b32 exec_lo, exec_lo, s28
	s_delay_alu instid0(SALU_CYCLE_1)
	s_and_b32 s11, s11, exec_lo
	s_or_saveexec_b32 s27, s27
	v_mov_b32_e32 v23, s26
	s_xor_b32 exec_lo, exec_lo, s27
	s_cbranch_execz .LBB6_1292
.LBB6_2636:                             ;   in Loop: Header=BB6_143 Depth=2
	v_cmp_ne_u16_e32 vcc_lo, 0, v40
	v_mov_b32_e32 v23, 0
	s_and_not1_b32 s11, s11, exec_lo
	s_and_b32 s26, vcc_lo, exec_lo
	s_delay_alu instid0(SALU_CYCLE_1)
	s_or_b32 s11, s11, s26
	s_or_b32 exec_lo, exec_lo, s27
	s_and_saveexec_b32 s26, s11
	s_cbranch_execnz .LBB6_1293
	s_branch .LBB6_1294
.LBB6_2637:                             ;   in Loop: Header=BB6_143 Depth=2
	s_mov_b32 s11, -1
	s_mov_b32 s28, exec_lo
                                        ; implicit-def: $sgpr26
	v_cmpx_eq_u16_e32 0x80, v40
; %bb.2638:                             ;   in Loop: Header=BB6_143 Depth=2
	s_mov_b32 s26, 0x7f800001
	s_xor_b32 s11, exec_lo, -1
; %bb.2639:                             ;   in Loop: Header=BB6_143 Depth=2
	s_or_b32 exec_lo, exec_lo, s28
	s_delay_alu instid0(SALU_CYCLE_1)
	s_and_b32 s11, s11, exec_lo
                                        ; implicit-def: $vgpr40
	s_or_saveexec_b32 s27, s27
	v_mov_b32_e32 v23, s26
	s_xor_b32 exec_lo, exec_lo, s27
	s_cbranch_execz .LBB6_1306
.LBB6_2640:                             ;   in Loop: Header=BB6_143 Depth=2
	v_cmp_ne_u16_e32 vcc_lo, 0, v40
	v_mov_b32_e32 v23, 0
	s_and_not1_b32 s11, s11, exec_lo
	s_and_b32 s26, vcc_lo, exec_lo
	s_delay_alu instid0(SALU_CYCLE_1)
	s_or_b32 s11, s11, s26
	s_or_b32 exec_lo, exec_lo, s27
	s_and_saveexec_b32 s26, s11
	s_cbranch_execnz .LBB6_1307
	s_branch .LBB6_1308
.LBB6_2641:                             ;   in Loop: Header=BB6_143 Depth=2
	s_mov_b32 s11, -1
	s_mov_b32 s28, exec_lo
                                        ; implicit-def: $sgpr26
	v_cmpx_eq_u16_e32 0x80, v41
; %bb.2642:                             ;   in Loop: Header=BB6_143 Depth=2
	s_mov_b32 s26, 0x7f800001
	s_xor_b32 s11, exec_lo, -1
; %bb.2643:                             ;   in Loop: Header=BB6_143 Depth=2
	s_or_b32 exec_lo, exec_lo, s28
	s_delay_alu instid0(SALU_CYCLE_1)
	s_and_b32 s11, s11, exec_lo
                                        ; implicit-def: $vgpr41
	s_or_saveexec_b32 s27, s27
	v_mov_b32_e32 v40, s26
	s_xor_b32 exec_lo, exec_lo, s27
	s_cbranch_execz .LBB6_1310
.LBB6_2644:                             ;   in Loop: Header=BB6_143 Depth=2
	v_cmp_ne_u16_e32 vcc_lo, 0, v41
	v_mov_b32_e32 v40, 0
	s_and_not1_b32 s11, s11, exec_lo
	s_and_b32 s26, vcc_lo, exec_lo
	s_delay_alu instid0(SALU_CYCLE_1)
	s_or_b32 s11, s11, s26
	s_or_b32 exec_lo, exec_lo, s27
	s_and_saveexec_b32 s26, s11
	s_cbranch_execnz .LBB6_1311
	s_branch .LBB6_1312
.LBB6_2645:                             ;   in Loop: Header=BB6_143 Depth=2
	s_mov_b32 s11, -1
	s_mov_b32 s28, exec_lo
                                        ; implicit-def: $sgpr26
	v_cmpx_eq_u16_e32 0x80, v40
; %bb.2646:                             ;   in Loop: Header=BB6_143 Depth=2
	s_mov_b32 s26, 0x7f800001
	s_xor_b32 s11, exec_lo, -1
; %bb.2647:                             ;   in Loop: Header=BB6_143 Depth=2
	s_or_b32 exec_lo, exec_lo, s28
	s_delay_alu instid0(SALU_CYCLE_1)
	s_and_b32 s11, s11, exec_lo
                                        ; implicit-def: $vgpr40
	s_or_saveexec_b32 s27, s27
	v_mov_b32_e32 v23, s26
	s_xor_b32 exec_lo, exec_lo, s27
	s_cbranch_execz .LBB6_1317
.LBB6_2648:                             ;   in Loop: Header=BB6_143 Depth=2
	v_cmp_ne_u16_e32 vcc_lo, 0, v40
	v_mov_b32_e32 v23, 0
	s_and_not1_b32 s11, s11, exec_lo
	s_and_b32 s26, vcc_lo, exec_lo
	s_delay_alu instid0(SALU_CYCLE_1)
	s_or_b32 s11, s11, s26
	s_or_b32 exec_lo, exec_lo, s27
	s_and_saveexec_b32 s26, s11
	s_cbranch_execnz .LBB6_1318
	s_branch .LBB6_1319
.LBB6_2649:                             ;   in Loop: Header=BB6_143 Depth=2
	s_mov_b32 s11, -1
	s_mov_b32 s28, exec_lo
                                        ; implicit-def: $sgpr26
	v_cmpx_eq_u16_e32 0x80, v41
; %bb.2650:                             ;   in Loop: Header=BB6_143 Depth=2
	s_mov_b32 s26, 0x7f800001
	s_xor_b32 s11, exec_lo, -1
; %bb.2651:                             ;   in Loop: Header=BB6_143 Depth=2
	s_or_b32 exec_lo, exec_lo, s28
	s_delay_alu instid0(SALU_CYCLE_1)
	s_and_b32 s11, s11, exec_lo
                                        ; implicit-def: $vgpr41
	s_or_saveexec_b32 s27, s27
	v_mov_b32_e32 v40, s26
	s_xor_b32 exec_lo, exec_lo, s27
	s_cbranch_execz .LBB6_1321
.LBB6_2652:                             ;   in Loop: Header=BB6_143 Depth=2
	v_cmp_ne_u16_e32 vcc_lo, 0, v41
	v_mov_b32_e32 v40, 0
	s_and_not1_b32 s11, s11, exec_lo
	s_and_b32 s26, vcc_lo, exec_lo
	s_delay_alu instid0(SALU_CYCLE_1)
	s_or_b32 s11, s11, s26
	s_or_b32 exec_lo, exec_lo, s27
	s_and_saveexec_b32 s26, s11
	s_cbranch_execnz .LBB6_1322
	s_branch .LBB6_1323
.LBB6_2653:                             ;   in Loop: Header=BB6_143 Depth=2
	s_mov_b32 s11, -1
	s_mov_b32 s28, exec_lo
                                        ; implicit-def: $sgpr26
	v_cmpx_eq_u16_e32 0x80, v41
; %bb.2654:                             ;   in Loop: Header=BB6_143 Depth=2
	s_mov_b32 s26, 0x7f800001
	s_xor_b32 s11, exec_lo, -1
; %bb.2655:                             ;   in Loop: Header=BB6_143 Depth=2
	s_or_b32 exec_lo, exec_lo, s28
	s_delay_alu instid0(SALU_CYCLE_1)
	s_and_b32 s11, s11, exec_lo
	s_or_saveexec_b32 s27, s27
	v_mov_b32_e32 v42, s26
	s_xor_b32 exec_lo, exec_lo, s27
	s_cbranch_execz .LBB6_1335
.LBB6_2656:                             ;   in Loop: Header=BB6_143 Depth=2
	v_cmp_ne_u16_e32 vcc_lo, 0, v41
	v_mov_b32_e32 v42, 0
	s_and_not1_b32 s11, s11, exec_lo
	s_and_b32 s26, vcc_lo, exec_lo
	s_delay_alu instid0(SALU_CYCLE_1)
	s_or_b32 s11, s11, s26
	s_or_b32 exec_lo, exec_lo, s27
	s_and_saveexec_b32 s26, s11
	s_cbranch_execnz .LBB6_1336
	s_branch .LBB6_1337
.LBB6_2657:                             ;   in Loop: Header=BB6_143 Depth=2
	s_mov_b32 s11, -1
	s_mov_b32 s28, exec_lo
                                        ; implicit-def: $sgpr26
	v_cmpx_eq_u16_e32 0x80, v40
; %bb.2658:                             ;   in Loop: Header=BB6_143 Depth=2
	s_mov_b32 s26, 0x7f800001
	s_xor_b32 s11, exec_lo, -1
; %bb.2659:                             ;   in Loop: Header=BB6_143 Depth=2
	s_or_b32 exec_lo, exec_lo, s28
	s_delay_alu instid0(SALU_CYCLE_1)
	s_and_b32 s11, s11, exec_lo
	s_or_saveexec_b32 s27, s27
	v_mov_b32_e32 v43, s26
	s_xor_b32 exec_lo, exec_lo, s27
	s_cbranch_execz .LBB6_1339
.LBB6_2660:                             ;   in Loop: Header=BB6_143 Depth=2
	v_cmp_ne_u16_e32 vcc_lo, 0, v40
	v_mov_b32_e32 v43, 0
	s_and_not1_b32 s11, s11, exec_lo
	s_and_b32 s26, vcc_lo, exec_lo
	s_delay_alu instid0(SALU_CYCLE_1)
	s_or_b32 s11, s11, s26
	s_or_b32 exec_lo, exec_lo, s27
	s_and_saveexec_b32 s26, s11
	s_cbranch_execnz .LBB6_1340
	s_branch .LBB6_1341
.LBB6_2661:                             ;   in Loop: Header=BB6_143 Depth=2
	s_mov_b32 s11, -1
	s_mov_b32 s28, exec_lo
                                        ; implicit-def: $sgpr26
	v_cmpx_eq_u16_e32 0x80, v41
; %bb.2662:                             ;   in Loop: Header=BB6_143 Depth=2
	s_mov_b32 s26, 0x7f800001
	s_xor_b32 s11, exec_lo, -1
; %bb.2663:                             ;   in Loop: Header=BB6_143 Depth=2
	s_or_b32 exec_lo, exec_lo, s28
	s_delay_alu instid0(SALU_CYCLE_1)
	s_and_b32 s11, s11, exec_lo
	s_or_saveexec_b32 s27, s27
	v_mov_b32_e32 v42, s26
	s_xor_b32 exec_lo, exec_lo, s27
	s_cbranch_execz .LBB6_1346
.LBB6_2664:                             ;   in Loop: Header=BB6_143 Depth=2
	v_cmp_ne_u16_e32 vcc_lo, 0, v41
	v_mov_b32_e32 v42, 0
	s_and_not1_b32 s11, s11, exec_lo
	s_and_b32 s26, vcc_lo, exec_lo
	s_delay_alu instid0(SALU_CYCLE_1)
	s_or_b32 s11, s11, s26
	s_or_b32 exec_lo, exec_lo, s27
	s_and_saveexec_b32 s26, s11
	s_cbranch_execnz .LBB6_1347
	s_branch .LBB6_1348
.LBB6_2665:                             ;   in Loop: Header=BB6_143 Depth=2
	s_mov_b32 s11, -1
	s_mov_b32 s28, exec_lo
                                        ; implicit-def: $sgpr26
	v_cmpx_eq_u16_e32 0x80, v40
; %bb.2666:                             ;   in Loop: Header=BB6_143 Depth=2
	s_mov_b32 s26, 0x7f800001
	s_xor_b32 s11, exec_lo, -1
; %bb.2667:                             ;   in Loop: Header=BB6_143 Depth=2
	s_or_b32 exec_lo, exec_lo, s28
	s_delay_alu instid0(SALU_CYCLE_1)
	s_and_b32 s11, s11, exec_lo
	s_or_saveexec_b32 s27, s27
	v_mov_b32_e32 v41, s26
	s_xor_b32 exec_lo, exec_lo, s27
	s_cbranch_execz .LBB6_1350
.LBB6_2668:                             ;   in Loop: Header=BB6_143 Depth=2
	v_cmp_ne_u16_e32 vcc_lo, 0, v40
	v_mov_b32_e32 v41, 0
	s_and_not1_b32 s11, s11, exec_lo
	s_and_b32 s26, vcc_lo, exec_lo
	s_delay_alu instid0(SALU_CYCLE_1)
	s_or_b32 s11, s11, s26
	s_or_b32 exec_lo, exec_lo, s27
	s_and_saveexec_b32 s26, s11
	s_cbranch_execnz .LBB6_1351
	s_branch .LBB6_1352
.LBB6_2669:                             ;   in Loop: Header=BB6_143 Depth=2
	s_mov_b32 s11, -1
	s_mov_b32 s28, exec_lo
                                        ; implicit-def: $sgpr26
	v_cmpx_eq_u16_e32 0x80, v44
; %bb.2670:                             ;   in Loop: Header=BB6_143 Depth=2
	s_mov_b32 s26, 0x7f800001
	s_xor_b32 s11, exec_lo, -1
; %bb.2671:                             ;   in Loop: Header=BB6_143 Depth=2
	s_or_b32 exec_lo, exec_lo, s28
	s_delay_alu instid0(SALU_CYCLE_1)
	s_and_b32 s11, s11, exec_lo
                                        ; implicit-def: $vgpr44
	s_or_saveexec_b32 s27, s27
	v_mov_b32_e32 v43, s26
	s_xor_b32 exec_lo, exec_lo, s27
	s_cbranch_execz .LBB6_1364
.LBB6_2672:                             ;   in Loop: Header=BB6_143 Depth=2
	v_cmp_ne_u16_e32 vcc_lo, 0, v44
	v_mov_b32_e32 v43, 0
	s_and_not1_b32 s11, s11, exec_lo
	s_and_b32 s26, vcc_lo, exec_lo
	s_delay_alu instid0(SALU_CYCLE_1)
	s_or_b32 s11, s11, s26
	s_or_b32 exec_lo, exec_lo, s27
	s_and_saveexec_b32 s26, s11
	s_cbranch_execnz .LBB6_1365
	s_branch .LBB6_1366
.LBB6_2673:                             ;   in Loop: Header=BB6_143 Depth=2
	s_mov_b32 s11, -1
	s_mov_b32 s28, exec_lo
                                        ; implicit-def: $sgpr26
	v_cmpx_eq_u16_e32 0x80, v45
; %bb.2674:                             ;   in Loop: Header=BB6_143 Depth=2
	s_mov_b32 s26, 0x7f800001
	s_xor_b32 s11, exec_lo, -1
; %bb.2675:                             ;   in Loop: Header=BB6_143 Depth=2
	s_or_b32 exec_lo, exec_lo, s28
	s_delay_alu instid0(SALU_CYCLE_1)
	s_and_b32 s11, s11, exec_lo
                                        ; implicit-def: $vgpr45
	s_or_saveexec_b32 s27, s27
	v_mov_b32_e32 v44, s26
	s_xor_b32 exec_lo, exec_lo, s27
	s_cbranch_execz .LBB6_1368
.LBB6_2676:                             ;   in Loop: Header=BB6_143 Depth=2
	v_cmp_ne_u16_e32 vcc_lo, 0, v45
	v_mov_b32_e32 v44, 0
	s_and_not1_b32 s11, s11, exec_lo
	s_and_b32 s26, vcc_lo, exec_lo
	s_delay_alu instid0(SALU_CYCLE_1)
	s_or_b32 s11, s11, s26
	s_or_b32 exec_lo, exec_lo, s27
	s_and_saveexec_b32 s26, s11
	s_cbranch_execnz .LBB6_1369
	s_branch .LBB6_1370
.LBB6_2677:                             ;   in Loop: Header=BB6_143 Depth=2
	s_mov_b32 s11, -1
	s_mov_b32 s28, exec_lo
                                        ; implicit-def: $sgpr26
	v_cmpx_eq_u16_e32 0x80, v44
; %bb.2678:                             ;   in Loop: Header=BB6_143 Depth=2
	s_mov_b32 s26, 0x7f800001
	s_xor_b32 s11, exec_lo, -1
; %bb.2679:                             ;   in Loop: Header=BB6_143 Depth=2
	s_or_b32 exec_lo, exec_lo, s28
	s_delay_alu instid0(SALU_CYCLE_1)
	s_and_b32 s11, s11, exec_lo
                                        ; implicit-def: $vgpr44
	s_or_saveexec_b32 s27, s27
	v_mov_b32_e32 v43, s26
	s_xor_b32 exec_lo, exec_lo, s27
	s_cbranch_execz .LBB6_1375
.LBB6_2680:                             ;   in Loop: Header=BB6_143 Depth=2
	v_cmp_ne_u16_e32 vcc_lo, 0, v44
	v_mov_b32_e32 v43, 0
	s_and_not1_b32 s11, s11, exec_lo
	s_and_b32 s26, vcc_lo, exec_lo
	s_delay_alu instid0(SALU_CYCLE_1)
	s_or_b32 s11, s11, s26
	s_or_b32 exec_lo, exec_lo, s27
	s_and_saveexec_b32 s26, s11
	s_cbranch_execnz .LBB6_1376
	s_branch .LBB6_1377
.LBB6_2681:                             ;   in Loop: Header=BB6_143 Depth=2
	s_mov_b32 s11, -1
	s_mov_b32 s28, exec_lo
                                        ; implicit-def: $sgpr26
	v_cmpx_eq_u16_e32 0x80, v44
; %bb.2682:                             ;   in Loop: Header=BB6_143 Depth=2
	s_mov_b32 s26, 0x7f800001
	s_xor_b32 s11, exec_lo, -1
; %bb.2683:                             ;   in Loop: Header=BB6_143 Depth=2
	s_or_b32 exec_lo, exec_lo, s28
	s_delay_alu instid0(SALU_CYCLE_1)
	s_and_b32 s11, s11, exec_lo
                                        ; implicit-def: $vgpr44
	s_or_saveexec_b32 s27, s27
	v_mov_b32_e32 v42, s26
	s_xor_b32 exec_lo, exec_lo, s27
	s_cbranch_execz .LBB6_1379
.LBB6_2684:                             ;   in Loop: Header=BB6_143 Depth=2
	v_cmp_ne_u16_e32 vcc_lo, 0, v44
	v_mov_b32_e32 v42, 0
	s_and_not1_b32 s11, s11, exec_lo
	s_and_b32 s26, vcc_lo, exec_lo
	s_delay_alu instid0(SALU_CYCLE_1)
	s_or_b32 s11, s11, s26
	s_or_b32 exec_lo, exec_lo, s27
	s_and_saveexec_b32 s26, s11
	s_cbranch_execnz .LBB6_1380
	s_branch .LBB6_1381
.LBB6_2685:                             ;   in Loop: Header=BB6_143 Depth=2
	s_mov_b32 s11, -1
	s_mov_b32 s28, exec_lo
                                        ; implicit-def: $sgpr26
	v_cmpx_eq_u16_e32 0x80, v43
; %bb.2686:                             ;   in Loop: Header=BB6_143 Depth=2
	s_mov_b32 s26, 0x7f800001
	s_xor_b32 s11, exec_lo, -1
; %bb.2687:                             ;   in Loop: Header=BB6_143 Depth=2
	s_or_b32 exec_lo, exec_lo, s28
	s_delay_alu instid0(SALU_CYCLE_1)
	s_and_b32 s11, s11, exec_lo
	s_or_saveexec_b32 s27, s27
	v_mov_b32_e32 v44, s26
	s_xor_b32 exec_lo, exec_lo, s27
	s_cbranch_execz .LBB6_1393
.LBB6_2688:                             ;   in Loop: Header=BB6_143 Depth=2
	v_cmp_ne_u16_e32 vcc_lo, 0, v43
	v_mov_b32_e32 v44, 0
	s_and_not1_b32 s11, s11, exec_lo
	s_and_b32 s26, vcc_lo, exec_lo
	s_delay_alu instid0(SALU_CYCLE_1)
	s_or_b32 s11, s11, s26
	s_or_b32 exec_lo, exec_lo, s27
	s_and_saveexec_b32 s26, s11
	s_cbranch_execnz .LBB6_1394
	s_branch .LBB6_1395
.LBB6_2689:                             ;   in Loop: Header=BB6_143 Depth=2
	s_mov_b32 s11, -1
	s_mov_b32 s28, exec_lo
                                        ; implicit-def: $sgpr26
	v_cmpx_eq_u16_e32 0x80, v42
; %bb.2690:                             ;   in Loop: Header=BB6_143 Depth=2
	s_mov_b32 s26, 0x7f800001
	s_xor_b32 s11, exec_lo, -1
; %bb.2691:                             ;   in Loop: Header=BB6_143 Depth=2
	s_or_b32 exec_lo, exec_lo, s28
	s_delay_alu instid0(SALU_CYCLE_1)
	s_and_b32 s11, s11, exec_lo
	s_or_saveexec_b32 s27, s27
	v_mov_b32_e32 v45, s26
	s_xor_b32 exec_lo, exec_lo, s27
	s_cbranch_execz .LBB6_1397
.LBB6_2692:                             ;   in Loop: Header=BB6_143 Depth=2
	v_cmp_ne_u16_e32 vcc_lo, 0, v42
	v_mov_b32_e32 v45, 0
	s_and_not1_b32 s11, s11, exec_lo
	s_and_b32 s26, vcc_lo, exec_lo
	s_delay_alu instid0(SALU_CYCLE_1)
	s_or_b32 s11, s11, s26
	s_or_b32 exec_lo, exec_lo, s27
	s_and_saveexec_b32 s26, s11
	s_cbranch_execnz .LBB6_1398
	s_branch .LBB6_1399
.LBB6_2693:                             ;   in Loop: Header=BB6_143 Depth=2
	s_mov_b32 s11, -1
	s_mov_b32 s28, exec_lo
                                        ; implicit-def: $sgpr26
	v_cmpx_eq_u16_e32 0x80, v43
; %bb.2694:                             ;   in Loop: Header=BB6_143 Depth=2
	s_mov_b32 s26, 0x7f800001
	s_xor_b32 s11, exec_lo, -1
; %bb.2695:                             ;   in Loop: Header=BB6_143 Depth=2
	s_or_b32 exec_lo, exec_lo, s28
	s_delay_alu instid0(SALU_CYCLE_1)
	s_and_b32 s11, s11, exec_lo
	s_or_saveexec_b32 s27, s27
	v_mov_b32_e32 v44, s26
	s_xor_b32 exec_lo, exec_lo, s27
	s_cbranch_execz .LBB6_1404
.LBB6_2696:                             ;   in Loop: Header=BB6_143 Depth=2
	v_cmp_ne_u16_e32 vcc_lo, 0, v43
	v_mov_b32_e32 v44, 0
	s_and_not1_b32 s11, s11, exec_lo
	s_and_b32 s26, vcc_lo, exec_lo
	s_delay_alu instid0(SALU_CYCLE_1)
	s_or_b32 s11, s11, s26
	s_or_b32 exec_lo, exec_lo, s27
	s_and_saveexec_b32 s26, s11
	s_cbranch_execnz .LBB6_1405
	s_branch .LBB6_1406
.LBB6_2697:                             ;   in Loop: Header=BB6_143 Depth=2
	s_mov_b32 s11, -1
	s_mov_b32 s28, exec_lo
                                        ; implicit-def: $sgpr26
	v_cmpx_eq_u16_e32 0x80, v42
; %bb.2698:                             ;   in Loop: Header=BB6_143 Depth=2
	s_mov_b32 s26, 0x7f800001
	s_xor_b32 s11, exec_lo, -1
; %bb.2699:                             ;   in Loop: Header=BB6_143 Depth=2
	s_or_b32 exec_lo, exec_lo, s28
	s_delay_alu instid0(SALU_CYCLE_1)
	s_and_b32 s11, s11, exec_lo
	s_or_saveexec_b32 s27, s27
	v_mov_b32_e32 v24, s26
	s_xor_b32 exec_lo, exec_lo, s27
	s_cbranch_execz .LBB6_1408
.LBB6_2700:                             ;   in Loop: Header=BB6_143 Depth=2
	v_cmp_ne_u16_e32 vcc_lo, 0, v42
	v_mov_b32_e32 v24, 0
	s_and_not1_b32 s11, s11, exec_lo
	s_and_b32 s26, vcc_lo, exec_lo
	s_delay_alu instid0(SALU_CYCLE_1)
	s_or_b32 s11, s11, s26
	s_or_b32 exec_lo, exec_lo, s27
	s_and_saveexec_b32 s26, s11
	s_cbranch_execnz .LBB6_1409
	s_branch .LBB6_1410
.LBB6_2701:                             ;   in Loop: Header=BB6_143 Depth=2
	s_mov_b32 s11, -1
	s_mov_b32 s28, exec_lo
                                        ; implicit-def: $sgpr26
	v_cmpx_eq_u16_e32 0x80, v42
; %bb.2702:                             ;   in Loop: Header=BB6_143 Depth=2
	s_mov_b32 s26, 0x7f800001
	s_xor_b32 s11, exec_lo, -1
; %bb.2703:                             ;   in Loop: Header=BB6_143 Depth=2
	s_or_b32 exec_lo, exec_lo, s28
	s_delay_alu instid0(SALU_CYCLE_1)
	s_and_b32 s11, s11, exec_lo
                                        ; implicit-def: $vgpr42
	s_or_saveexec_b32 s27, s27
	v_mov_b32_e32 v24, s26
	s_xor_b32 exec_lo, exec_lo, s27
	s_cbranch_execz .LBB6_1422
.LBB6_2704:                             ;   in Loop: Header=BB6_143 Depth=2
	v_cmp_ne_u16_e32 vcc_lo, 0, v42
	v_mov_b32_e32 v24, 0
	s_and_not1_b32 s11, s11, exec_lo
	s_and_b32 s26, vcc_lo, exec_lo
	s_delay_alu instid0(SALU_CYCLE_1)
	s_or_b32 s11, s11, s26
	s_or_b32 exec_lo, exec_lo, s27
	s_and_saveexec_b32 s26, s11
	s_cbranch_execnz .LBB6_1423
	s_branch .LBB6_1424
.LBB6_2705:                             ;   in Loop: Header=BB6_143 Depth=2
	s_mov_b32 s11, -1
	s_mov_b32 s28, exec_lo
                                        ; implicit-def: $sgpr26
	v_cmpx_eq_u16_e32 0x80, v43
; %bb.2706:                             ;   in Loop: Header=BB6_143 Depth=2
	s_mov_b32 s26, 0x7f800001
	s_xor_b32 s11, exec_lo, -1
; %bb.2707:                             ;   in Loop: Header=BB6_143 Depth=2
	s_or_b32 exec_lo, exec_lo, s28
	s_delay_alu instid0(SALU_CYCLE_1)
	s_and_b32 s11, s11, exec_lo
                                        ; implicit-def: $vgpr43
	s_or_saveexec_b32 s27, s27
	v_mov_b32_e32 v42, s26
	s_xor_b32 exec_lo, exec_lo, s27
	s_cbranch_execz .LBB6_1426
.LBB6_2708:                             ;   in Loop: Header=BB6_143 Depth=2
	v_cmp_ne_u16_e32 vcc_lo, 0, v43
	v_mov_b32_e32 v42, 0
	s_and_not1_b32 s11, s11, exec_lo
	s_and_b32 s26, vcc_lo, exec_lo
	s_delay_alu instid0(SALU_CYCLE_1)
	s_or_b32 s11, s11, s26
	s_or_b32 exec_lo, exec_lo, s27
	s_and_saveexec_b32 s26, s11
	s_cbranch_execnz .LBB6_1427
	s_branch .LBB6_1428
.LBB6_2709:                             ;   in Loop: Header=BB6_143 Depth=2
	s_mov_b32 s11, -1
	s_mov_b32 s28, exec_lo
                                        ; implicit-def: $sgpr26
	v_cmpx_eq_u16_e32 0x80, v42
; %bb.2710:                             ;   in Loop: Header=BB6_143 Depth=2
	s_mov_b32 s26, 0x7f800001
	s_xor_b32 s11, exec_lo, -1
; %bb.2711:                             ;   in Loop: Header=BB6_143 Depth=2
	s_or_b32 exec_lo, exec_lo, s28
	s_delay_alu instid0(SALU_CYCLE_1)
	s_and_b32 s11, s11, exec_lo
                                        ; implicit-def: $vgpr42
	s_or_saveexec_b32 s27, s27
	v_mov_b32_e32 v24, s26
	s_xor_b32 exec_lo, exec_lo, s27
	s_cbranch_execz .LBB6_1433
.LBB6_2712:                             ;   in Loop: Header=BB6_143 Depth=2
	v_cmp_ne_u16_e32 vcc_lo, 0, v42
	v_mov_b32_e32 v24, 0
	s_and_not1_b32 s11, s11, exec_lo
	s_and_b32 s26, vcc_lo, exec_lo
	s_delay_alu instid0(SALU_CYCLE_1)
	s_or_b32 s11, s11, s26
	s_or_b32 exec_lo, exec_lo, s27
	s_and_saveexec_b32 s26, s11
	s_cbranch_execnz .LBB6_1434
	s_branch .LBB6_1435
.LBB6_2713:                             ;   in Loop: Header=BB6_143 Depth=2
	s_mov_b32 s11, -1
	s_mov_b32 s28, exec_lo
                                        ; implicit-def: $sgpr26
	v_cmpx_eq_u16_e32 0x80, v43
; %bb.2714:                             ;   in Loop: Header=BB6_143 Depth=2
	s_mov_b32 s26, 0x7f800001
	s_xor_b32 s11, exec_lo, -1
; %bb.2715:                             ;   in Loop: Header=BB6_143 Depth=2
	s_or_b32 exec_lo, exec_lo, s28
	s_delay_alu instid0(SALU_CYCLE_1)
	s_and_b32 s11, s11, exec_lo
                                        ; implicit-def: $vgpr43
	s_or_saveexec_b32 s27, s27
	v_mov_b32_e32 v42, s26
	s_xor_b32 exec_lo, exec_lo, s27
	s_cbranch_execz .LBB6_1437
.LBB6_2716:                             ;   in Loop: Header=BB6_143 Depth=2
	v_cmp_ne_u16_e32 vcc_lo, 0, v43
	v_mov_b32_e32 v42, 0
	s_and_not1_b32 s11, s11, exec_lo
	s_and_b32 s26, vcc_lo, exec_lo
	s_delay_alu instid0(SALU_CYCLE_1)
	s_or_b32 s11, s11, s26
	s_or_b32 exec_lo, exec_lo, s27
	s_and_saveexec_b32 s26, s11
	s_cbranch_execnz .LBB6_1438
	s_branch .LBB6_1439
.LBB6_2717:                             ;   in Loop: Header=BB6_143 Depth=2
	s_mov_b32 s11, -1
	s_mov_b32 s28, exec_lo
                                        ; implicit-def: $sgpr26
	v_cmpx_eq_u16_e32 0x80, v43
; %bb.2718:                             ;   in Loop: Header=BB6_143 Depth=2
	s_mov_b32 s26, 0x7f800001
	s_xor_b32 s11, exec_lo, -1
; %bb.2719:                             ;   in Loop: Header=BB6_143 Depth=2
	s_or_b32 exec_lo, exec_lo, s28
	s_delay_alu instid0(SALU_CYCLE_1)
	s_and_b32 s11, s11, exec_lo
	s_or_saveexec_b32 s27, s27
	v_mov_b32_e32 v44, s26
	s_xor_b32 exec_lo, exec_lo, s27
	s_cbranch_execz .LBB6_1451
.LBB6_2720:                             ;   in Loop: Header=BB6_143 Depth=2
	v_cmp_ne_u16_e32 vcc_lo, 0, v43
	v_mov_b32_e32 v44, 0
	s_and_not1_b32 s11, s11, exec_lo
	s_and_b32 s26, vcc_lo, exec_lo
	s_delay_alu instid0(SALU_CYCLE_1)
	s_or_b32 s11, s11, s26
	s_or_b32 exec_lo, exec_lo, s27
	s_and_saveexec_b32 s26, s11
	s_cbranch_execnz .LBB6_1452
	s_branch .LBB6_1453
.LBB6_2721:                             ;   in Loop: Header=BB6_143 Depth=2
	s_mov_b32 s11, -1
	s_mov_b32 s28, exec_lo
                                        ; implicit-def: $sgpr26
	v_cmpx_eq_u16_e32 0x80, v42
; %bb.2722:                             ;   in Loop: Header=BB6_143 Depth=2
	s_mov_b32 s26, 0x7f800001
	s_xor_b32 s11, exec_lo, -1
; %bb.2723:                             ;   in Loop: Header=BB6_143 Depth=2
	s_or_b32 exec_lo, exec_lo, s28
	s_delay_alu instid0(SALU_CYCLE_1)
	s_and_b32 s11, s11, exec_lo
	s_or_saveexec_b32 s27, s27
	v_mov_b32_e32 v45, s26
	s_xor_b32 exec_lo, exec_lo, s27
	s_cbranch_execz .LBB6_1455
.LBB6_2724:                             ;   in Loop: Header=BB6_143 Depth=2
	v_cmp_ne_u16_e32 vcc_lo, 0, v42
	v_mov_b32_e32 v45, 0
	s_and_not1_b32 s11, s11, exec_lo
	s_and_b32 s26, vcc_lo, exec_lo
	s_delay_alu instid0(SALU_CYCLE_1)
	s_or_b32 s11, s11, s26
	s_or_b32 exec_lo, exec_lo, s27
	s_and_saveexec_b32 s26, s11
	s_cbranch_execnz .LBB6_1456
	s_branch .LBB6_1457
.LBB6_2725:                             ;   in Loop: Header=BB6_143 Depth=2
	s_mov_b32 s11, -1
	s_mov_b32 s28, exec_lo
                                        ; implicit-def: $sgpr26
	v_cmpx_eq_u16_e32 0x80, v43
; %bb.2726:                             ;   in Loop: Header=BB6_143 Depth=2
	s_mov_b32 s26, 0x7f800001
	s_xor_b32 s11, exec_lo, -1
; %bb.2727:                             ;   in Loop: Header=BB6_143 Depth=2
	s_or_b32 exec_lo, exec_lo, s28
	s_delay_alu instid0(SALU_CYCLE_1)
	s_and_b32 s11, s11, exec_lo
	s_or_saveexec_b32 s27, s27
	v_mov_b32_e32 v44, s26
	s_xor_b32 exec_lo, exec_lo, s27
	s_cbranch_execz .LBB6_1462
.LBB6_2728:                             ;   in Loop: Header=BB6_143 Depth=2
	v_cmp_ne_u16_e32 vcc_lo, 0, v43
	v_mov_b32_e32 v44, 0
	s_and_not1_b32 s11, s11, exec_lo
	s_and_b32 s26, vcc_lo, exec_lo
	s_delay_alu instid0(SALU_CYCLE_1)
	s_or_b32 s11, s11, s26
	s_or_b32 exec_lo, exec_lo, s27
	s_and_saveexec_b32 s26, s11
	s_cbranch_execnz .LBB6_1463
	s_branch .LBB6_1464
.LBB6_2729:                             ;   in Loop: Header=BB6_143 Depth=2
	s_mov_b32 s11, -1
	s_mov_b32 s28, exec_lo
                                        ; implicit-def: $sgpr26
	v_cmpx_eq_u16_e32 0x80, v42
; %bb.2730:                             ;   in Loop: Header=BB6_143 Depth=2
	s_mov_b32 s26, 0x7f800001
	s_xor_b32 s11, exec_lo, -1
; %bb.2731:                             ;   in Loop: Header=BB6_143 Depth=2
	s_or_b32 exec_lo, exec_lo, s28
	s_delay_alu instid0(SALU_CYCLE_1)
	s_and_b32 s11, s11, exec_lo
	s_or_saveexec_b32 s27, s27
	v_mov_b32_e32 v43, s26
	s_xor_b32 exec_lo, exec_lo, s27
	s_cbranch_execz .LBB6_1466
.LBB6_2732:                             ;   in Loop: Header=BB6_143 Depth=2
	v_cmp_ne_u16_e32 vcc_lo, 0, v42
	v_mov_b32_e32 v43, 0
	s_and_not1_b32 s11, s11, exec_lo
	s_and_b32 s26, vcc_lo, exec_lo
	s_delay_alu instid0(SALU_CYCLE_1)
	s_or_b32 s11, s11, s26
	s_or_b32 exec_lo, exec_lo, s27
	s_and_saveexec_b32 s26, s11
	s_cbranch_execnz .LBB6_1467
	s_branch .LBB6_1468
.LBB6_2733:                             ;   in Loop: Header=BB6_143 Depth=2
	s_mov_b32 s11, -1
	s_mov_b32 s28, exec_lo
                                        ; implicit-def: $sgpr26
	v_cmpx_eq_u16_e32 0x80, v46
; %bb.2734:                             ;   in Loop: Header=BB6_143 Depth=2
	s_mov_b32 s26, 0x7f800001
	s_xor_b32 s11, exec_lo, -1
; %bb.2735:                             ;   in Loop: Header=BB6_143 Depth=2
	s_or_b32 exec_lo, exec_lo, s28
	s_delay_alu instid0(SALU_CYCLE_1)
	s_and_b32 s11, s11, exec_lo
                                        ; implicit-def: $vgpr46
	s_or_saveexec_b32 s27, s27
	v_mov_b32_e32 v45, s26
	s_xor_b32 exec_lo, exec_lo, s27
	s_cbranch_execz .LBB6_1480
.LBB6_2736:                             ;   in Loop: Header=BB6_143 Depth=2
	v_cmp_ne_u16_e32 vcc_lo, 0, v46
	v_mov_b32_e32 v45, 0
	s_and_not1_b32 s11, s11, exec_lo
	s_and_b32 s26, vcc_lo, exec_lo
	s_delay_alu instid0(SALU_CYCLE_1)
	s_or_b32 s11, s11, s26
	s_or_b32 exec_lo, exec_lo, s27
	s_and_saveexec_b32 s26, s11
	s_cbranch_execnz .LBB6_1481
	s_branch .LBB6_1482
.LBB6_2737:                             ;   in Loop: Header=BB6_143 Depth=2
	s_mov_b32 s11, -1
	s_mov_b32 s28, exec_lo
                                        ; implicit-def: $sgpr26
	v_cmpx_eq_u16_e32 0x80, v47
; %bb.2738:                             ;   in Loop: Header=BB6_143 Depth=2
	s_mov_b32 s26, 0x7f800001
	s_xor_b32 s11, exec_lo, -1
; %bb.2739:                             ;   in Loop: Header=BB6_143 Depth=2
	s_or_b32 exec_lo, exec_lo, s28
	s_delay_alu instid0(SALU_CYCLE_1)
	s_and_b32 s11, s11, exec_lo
                                        ; implicit-def: $vgpr47
	s_or_saveexec_b32 s27, s27
	v_mov_b32_e32 v46, s26
	s_xor_b32 exec_lo, exec_lo, s27
	s_cbranch_execz .LBB6_1484
.LBB6_2740:                             ;   in Loop: Header=BB6_143 Depth=2
	v_cmp_ne_u16_e32 vcc_lo, 0, v47
	v_mov_b32_e32 v46, 0
	s_and_not1_b32 s11, s11, exec_lo
	s_and_b32 s26, vcc_lo, exec_lo
	s_delay_alu instid0(SALU_CYCLE_1)
	s_or_b32 s11, s11, s26
	s_or_b32 exec_lo, exec_lo, s27
	s_and_saveexec_b32 s26, s11
	s_cbranch_execnz .LBB6_1485
	s_branch .LBB6_1486
.LBB6_2741:                             ;   in Loop: Header=BB6_143 Depth=2
	s_mov_b32 s11, -1
	s_mov_b32 s28, exec_lo
                                        ; implicit-def: $sgpr26
	v_cmpx_eq_u16_e32 0x80, v46
; %bb.2742:                             ;   in Loop: Header=BB6_143 Depth=2
	s_mov_b32 s26, 0x7f800001
	s_xor_b32 s11, exec_lo, -1
; %bb.2743:                             ;   in Loop: Header=BB6_143 Depth=2
	s_or_b32 exec_lo, exec_lo, s28
	s_delay_alu instid0(SALU_CYCLE_1)
	s_and_b32 s11, s11, exec_lo
                                        ; implicit-def: $vgpr46
	s_or_saveexec_b32 s27, s27
	v_mov_b32_e32 v45, s26
	s_xor_b32 exec_lo, exec_lo, s27
	s_cbranch_execz .LBB6_1491
.LBB6_2744:                             ;   in Loop: Header=BB6_143 Depth=2
	v_cmp_ne_u16_e32 vcc_lo, 0, v46
	v_mov_b32_e32 v45, 0
	s_and_not1_b32 s11, s11, exec_lo
	s_and_b32 s26, vcc_lo, exec_lo
	s_delay_alu instid0(SALU_CYCLE_1)
	s_or_b32 s11, s11, s26
	s_or_b32 exec_lo, exec_lo, s27
	s_and_saveexec_b32 s26, s11
	s_cbranch_execnz .LBB6_1492
	s_branch .LBB6_1493
.LBB6_2745:                             ;   in Loop: Header=BB6_143 Depth=2
	s_mov_b32 s11, -1
	s_mov_b32 s28, exec_lo
                                        ; implicit-def: $sgpr26
	v_cmpx_eq_u16_e32 0x80, v46
; %bb.2746:                             ;   in Loop: Header=BB6_143 Depth=2
	s_mov_b32 s26, 0x7f800001
	s_xor_b32 s11, exec_lo, -1
; %bb.2747:                             ;   in Loop: Header=BB6_143 Depth=2
	s_or_b32 exec_lo, exec_lo, s28
	s_delay_alu instid0(SALU_CYCLE_1)
	s_and_b32 s11, s11, exec_lo
                                        ; implicit-def: $vgpr46
	s_or_saveexec_b32 s27, s27
	v_mov_b32_e32 v44, s26
	s_xor_b32 exec_lo, exec_lo, s27
	s_cbranch_execz .LBB6_1495
.LBB6_2748:                             ;   in Loop: Header=BB6_143 Depth=2
	v_cmp_ne_u16_e32 vcc_lo, 0, v46
	v_mov_b32_e32 v44, 0
	s_and_not1_b32 s11, s11, exec_lo
	s_and_b32 s26, vcc_lo, exec_lo
	s_delay_alu instid0(SALU_CYCLE_1)
	s_or_b32 s11, s11, s26
	s_or_b32 exec_lo, exec_lo, s27
	s_and_saveexec_b32 s26, s11
	s_cbranch_execnz .LBB6_1496
	s_branch .LBB6_1497
.LBB6_2749:                             ;   in Loop: Header=BB6_143 Depth=2
	s_mov_b32 s11, -1
	s_mov_b32 s28, exec_lo
                                        ; implicit-def: $sgpr26
	v_cmpx_eq_u16_e32 0x80, v45
; %bb.2750:                             ;   in Loop: Header=BB6_143 Depth=2
	s_mov_b32 s26, 0x7f800001
	s_xor_b32 s11, exec_lo, -1
; %bb.2751:                             ;   in Loop: Header=BB6_143 Depth=2
	s_or_b32 exec_lo, exec_lo, s28
	s_delay_alu instid0(SALU_CYCLE_1)
	s_and_b32 s11, s11, exec_lo
	s_or_saveexec_b32 s27, s27
	v_mov_b32_e32 v46, s26
	s_xor_b32 exec_lo, exec_lo, s27
	s_cbranch_execz .LBB6_1509
.LBB6_2752:                             ;   in Loop: Header=BB6_143 Depth=2
	v_cmp_ne_u16_e32 vcc_lo, 0, v45
	v_mov_b32_e32 v46, 0
	s_and_not1_b32 s11, s11, exec_lo
	s_and_b32 s26, vcc_lo, exec_lo
	s_delay_alu instid0(SALU_CYCLE_1)
	s_or_b32 s11, s11, s26
	s_or_b32 exec_lo, exec_lo, s27
	s_and_saveexec_b32 s26, s11
	s_cbranch_execnz .LBB6_1510
	s_branch .LBB6_1511
.LBB6_2753:                             ;   in Loop: Header=BB6_143 Depth=2
	s_mov_b32 s11, -1
	s_mov_b32 s28, exec_lo
                                        ; implicit-def: $sgpr26
	v_cmpx_eq_u16_e32 0x80, v44
; %bb.2754:                             ;   in Loop: Header=BB6_143 Depth=2
	s_mov_b32 s26, 0x7f800001
	s_xor_b32 s11, exec_lo, -1
; %bb.2755:                             ;   in Loop: Header=BB6_143 Depth=2
	s_or_b32 exec_lo, exec_lo, s28
	s_delay_alu instid0(SALU_CYCLE_1)
	s_and_b32 s11, s11, exec_lo
	s_or_saveexec_b32 s27, s27
	v_mov_b32_e32 v47, s26
	s_xor_b32 exec_lo, exec_lo, s27
	s_cbranch_execz .LBB6_1513
.LBB6_2756:                             ;   in Loop: Header=BB6_143 Depth=2
	v_cmp_ne_u16_e32 vcc_lo, 0, v44
	v_mov_b32_e32 v47, 0
	s_and_not1_b32 s11, s11, exec_lo
	s_and_b32 s26, vcc_lo, exec_lo
	s_delay_alu instid0(SALU_CYCLE_1)
	s_or_b32 s11, s11, s26
	s_or_b32 exec_lo, exec_lo, s27
	s_and_saveexec_b32 s26, s11
	s_cbranch_execnz .LBB6_1514
	s_branch .LBB6_1515
.LBB6_2757:                             ;   in Loop: Header=BB6_143 Depth=2
	s_mov_b32 s11, -1
	s_mov_b32 s28, exec_lo
                                        ; implicit-def: $sgpr26
	v_cmpx_eq_u16_e32 0x80, v45
; %bb.2758:                             ;   in Loop: Header=BB6_143 Depth=2
	s_mov_b32 s26, 0x7f800001
	s_xor_b32 s11, exec_lo, -1
; %bb.2759:                             ;   in Loop: Header=BB6_143 Depth=2
	s_or_b32 exec_lo, exec_lo, s28
	s_delay_alu instid0(SALU_CYCLE_1)
	s_and_b32 s11, s11, exec_lo
	s_or_saveexec_b32 s27, s27
	v_mov_b32_e32 v46, s26
	s_xor_b32 exec_lo, exec_lo, s27
	s_cbranch_execz .LBB6_1520
.LBB6_2760:                             ;   in Loop: Header=BB6_143 Depth=2
	v_cmp_ne_u16_e32 vcc_lo, 0, v45
	v_mov_b32_e32 v46, 0
	s_and_not1_b32 s11, s11, exec_lo
	s_and_b32 s26, vcc_lo, exec_lo
	s_delay_alu instid0(SALU_CYCLE_1)
	s_or_b32 s11, s11, s26
	s_or_b32 exec_lo, exec_lo, s27
	s_and_saveexec_b32 s26, s11
	s_cbranch_execnz .LBB6_1521
	s_branch .LBB6_1522
.LBB6_2761:                             ;   in Loop: Header=BB6_143 Depth=2
	s_mov_b32 s11, -1
	s_mov_b32 s28, exec_lo
                                        ; implicit-def: $sgpr26
	v_cmpx_eq_u16_e32 0x80, v44
; %bb.2762:                             ;   in Loop: Header=BB6_143 Depth=2
	s_mov_b32 s26, 0x7f800001
	s_xor_b32 s11, exec_lo, -1
; %bb.2763:                             ;   in Loop: Header=BB6_143 Depth=2
	s_or_b32 exec_lo, exec_lo, s28
	s_delay_alu instid0(SALU_CYCLE_1)
	s_and_b32 s11, s11, exec_lo
	s_or_saveexec_b32 s27, s27
	v_mov_b32_e32 v25, s26
	s_xor_b32 exec_lo, exec_lo, s27
	s_cbranch_execz .LBB6_1524
.LBB6_2764:                             ;   in Loop: Header=BB6_143 Depth=2
	v_cmp_ne_u16_e32 vcc_lo, 0, v44
	v_mov_b32_e32 v25, 0
	s_and_not1_b32 s11, s11, exec_lo
	s_and_b32 s26, vcc_lo, exec_lo
	s_delay_alu instid0(SALU_CYCLE_1)
	s_or_b32 s11, s11, s26
	s_or_b32 exec_lo, exec_lo, s27
	s_and_saveexec_b32 s26, s11
	s_cbranch_execnz .LBB6_1525
	s_branch .LBB6_1526
.LBB6_2765:                             ;   in Loop: Header=BB6_143 Depth=2
	s_mov_b32 s11, -1
	s_mov_b32 s28, exec_lo
                                        ; implicit-def: $sgpr26
	v_cmpx_eq_u16_e32 0x80, v44
; %bb.2766:                             ;   in Loop: Header=BB6_143 Depth=2
	s_mov_b32 s26, 0x7f800001
	s_xor_b32 s11, exec_lo, -1
; %bb.2767:                             ;   in Loop: Header=BB6_143 Depth=2
	s_or_b32 exec_lo, exec_lo, s28
	s_delay_alu instid0(SALU_CYCLE_1)
	s_and_b32 s11, s11, exec_lo
                                        ; implicit-def: $vgpr44
	s_or_saveexec_b32 s27, s27
	v_mov_b32_e32 v25, s26
	s_xor_b32 exec_lo, exec_lo, s27
	s_cbranch_execz .LBB6_1538
.LBB6_2768:                             ;   in Loop: Header=BB6_143 Depth=2
	v_cmp_ne_u16_e32 vcc_lo, 0, v44
	v_mov_b32_e32 v25, 0
	s_and_not1_b32 s11, s11, exec_lo
	s_and_b32 s26, vcc_lo, exec_lo
	s_delay_alu instid0(SALU_CYCLE_1)
	s_or_b32 s11, s11, s26
	s_or_b32 exec_lo, exec_lo, s27
	s_and_saveexec_b32 s26, s11
	s_cbranch_execnz .LBB6_1539
	s_branch .LBB6_1540
.LBB6_2769:                             ;   in Loop: Header=BB6_143 Depth=2
	s_mov_b32 s11, -1
	s_mov_b32 s28, exec_lo
                                        ; implicit-def: $sgpr26
	v_cmpx_eq_u16_e32 0x80, v45
; %bb.2770:                             ;   in Loop: Header=BB6_143 Depth=2
	s_mov_b32 s26, 0x7f800001
	s_xor_b32 s11, exec_lo, -1
; %bb.2771:                             ;   in Loop: Header=BB6_143 Depth=2
	s_or_b32 exec_lo, exec_lo, s28
	s_delay_alu instid0(SALU_CYCLE_1)
	s_and_b32 s11, s11, exec_lo
                                        ; implicit-def: $vgpr45
	s_or_saveexec_b32 s27, s27
	v_mov_b32_e32 v44, s26
	s_xor_b32 exec_lo, exec_lo, s27
	s_cbranch_execz .LBB6_1542
.LBB6_2772:                             ;   in Loop: Header=BB6_143 Depth=2
	v_cmp_ne_u16_e32 vcc_lo, 0, v45
	v_mov_b32_e32 v44, 0
	s_and_not1_b32 s11, s11, exec_lo
	s_and_b32 s26, vcc_lo, exec_lo
	s_delay_alu instid0(SALU_CYCLE_1)
	s_or_b32 s11, s11, s26
	s_or_b32 exec_lo, exec_lo, s27
	s_and_saveexec_b32 s26, s11
	s_cbranch_execnz .LBB6_1543
	s_branch .LBB6_1544
.LBB6_2773:                             ;   in Loop: Header=BB6_143 Depth=2
	s_mov_b32 s11, -1
	s_mov_b32 s28, exec_lo
                                        ; implicit-def: $sgpr26
	v_cmpx_eq_u16_e32 0x80, v44
; %bb.2774:                             ;   in Loop: Header=BB6_143 Depth=2
	s_mov_b32 s26, 0x7f800001
	s_xor_b32 s11, exec_lo, -1
; %bb.2775:                             ;   in Loop: Header=BB6_143 Depth=2
	s_or_b32 exec_lo, exec_lo, s28
	s_delay_alu instid0(SALU_CYCLE_1)
	s_and_b32 s11, s11, exec_lo
                                        ; implicit-def: $vgpr44
	s_or_saveexec_b32 s27, s27
	v_mov_b32_e32 v25, s26
	s_xor_b32 exec_lo, exec_lo, s27
	s_cbranch_execz .LBB6_1549
.LBB6_2776:                             ;   in Loop: Header=BB6_143 Depth=2
	v_cmp_ne_u16_e32 vcc_lo, 0, v44
	v_mov_b32_e32 v25, 0
	s_and_not1_b32 s11, s11, exec_lo
	s_and_b32 s26, vcc_lo, exec_lo
	s_delay_alu instid0(SALU_CYCLE_1)
	s_or_b32 s11, s11, s26
	s_or_b32 exec_lo, exec_lo, s27
	s_and_saveexec_b32 s26, s11
	s_cbranch_execnz .LBB6_1550
	s_branch .LBB6_1551
.LBB6_2777:                             ;   in Loop: Header=BB6_143 Depth=2
	s_mov_b32 s11, -1
	s_mov_b32 s28, exec_lo
                                        ; implicit-def: $sgpr26
	v_cmpx_eq_u16_e32 0x80, v45
; %bb.2778:                             ;   in Loop: Header=BB6_143 Depth=2
	s_mov_b32 s26, 0x7f800001
	s_xor_b32 s11, exec_lo, -1
; %bb.2779:                             ;   in Loop: Header=BB6_143 Depth=2
	s_or_b32 exec_lo, exec_lo, s28
	s_delay_alu instid0(SALU_CYCLE_1)
	s_and_b32 s11, s11, exec_lo
                                        ; implicit-def: $vgpr45
	s_or_saveexec_b32 s27, s27
	v_mov_b32_e32 v44, s26
	s_xor_b32 exec_lo, exec_lo, s27
	s_cbranch_execz .LBB6_1553
.LBB6_2780:                             ;   in Loop: Header=BB6_143 Depth=2
	v_cmp_ne_u16_e32 vcc_lo, 0, v45
	v_mov_b32_e32 v44, 0
	s_and_not1_b32 s11, s11, exec_lo
	s_and_b32 s26, vcc_lo, exec_lo
	s_delay_alu instid0(SALU_CYCLE_1)
	s_or_b32 s11, s11, s26
	s_or_b32 exec_lo, exec_lo, s27
	s_and_saveexec_b32 s26, s11
	s_cbranch_execnz .LBB6_1554
	s_branch .LBB6_1555
.LBB6_2781:                             ;   in Loop: Header=BB6_143 Depth=2
	s_mov_b32 s11, -1
	s_mov_b32 s28, exec_lo
                                        ; implicit-def: $sgpr26
	v_cmpx_eq_u16_e32 0x80, v45
; %bb.2782:                             ;   in Loop: Header=BB6_143 Depth=2
	s_mov_b32 s26, 0x7f800001
	s_xor_b32 s11, exec_lo, -1
; %bb.2783:                             ;   in Loop: Header=BB6_143 Depth=2
	s_or_b32 exec_lo, exec_lo, s28
	s_delay_alu instid0(SALU_CYCLE_1)
	s_and_b32 s11, s11, exec_lo
	s_or_saveexec_b32 s27, s27
	v_mov_b32_e32 v46, s26
	s_xor_b32 exec_lo, exec_lo, s27
	s_cbranch_execz .LBB6_1567
.LBB6_2784:                             ;   in Loop: Header=BB6_143 Depth=2
	v_cmp_ne_u16_e32 vcc_lo, 0, v45
	v_mov_b32_e32 v46, 0
	s_and_not1_b32 s11, s11, exec_lo
	s_and_b32 s26, vcc_lo, exec_lo
	s_delay_alu instid0(SALU_CYCLE_1)
	s_or_b32 s11, s11, s26
	s_or_b32 exec_lo, exec_lo, s27
	s_and_saveexec_b32 s26, s11
	s_cbranch_execnz .LBB6_1568
	s_branch .LBB6_1569
.LBB6_2785:                             ;   in Loop: Header=BB6_143 Depth=2
	s_mov_b32 s11, -1
	s_mov_b32 s28, exec_lo
                                        ; implicit-def: $sgpr26
	v_cmpx_eq_u16_e32 0x80, v44
; %bb.2786:                             ;   in Loop: Header=BB6_143 Depth=2
	s_mov_b32 s26, 0x7f800001
	s_xor_b32 s11, exec_lo, -1
; %bb.2787:                             ;   in Loop: Header=BB6_143 Depth=2
	s_or_b32 exec_lo, exec_lo, s28
	s_delay_alu instid0(SALU_CYCLE_1)
	s_and_b32 s11, s11, exec_lo
	s_or_saveexec_b32 s27, s27
	v_mov_b32_e32 v47, s26
	s_xor_b32 exec_lo, exec_lo, s27
	s_cbranch_execz .LBB6_1571
.LBB6_2788:                             ;   in Loop: Header=BB6_143 Depth=2
	v_cmp_ne_u16_e32 vcc_lo, 0, v44
	v_mov_b32_e32 v47, 0
	s_and_not1_b32 s11, s11, exec_lo
	s_and_b32 s26, vcc_lo, exec_lo
	s_delay_alu instid0(SALU_CYCLE_1)
	s_or_b32 s11, s11, s26
	s_or_b32 exec_lo, exec_lo, s27
	s_and_saveexec_b32 s26, s11
	s_cbranch_execnz .LBB6_1572
	s_branch .LBB6_1573
.LBB6_2789:                             ;   in Loop: Header=BB6_143 Depth=2
	s_mov_b32 s11, -1
	s_mov_b32 s28, exec_lo
                                        ; implicit-def: $sgpr26
	v_cmpx_eq_u16_e32 0x80, v45
; %bb.2790:                             ;   in Loop: Header=BB6_143 Depth=2
	s_mov_b32 s26, 0x7f800001
	s_xor_b32 s11, exec_lo, -1
; %bb.2791:                             ;   in Loop: Header=BB6_143 Depth=2
	s_or_b32 exec_lo, exec_lo, s28
	s_delay_alu instid0(SALU_CYCLE_1)
	s_and_b32 s11, s11, exec_lo
	s_or_saveexec_b32 s27, s27
	v_mov_b32_e32 v46, s26
	s_xor_b32 exec_lo, exec_lo, s27
	s_cbranch_execz .LBB6_1578
.LBB6_2792:                             ;   in Loop: Header=BB6_143 Depth=2
	v_cmp_ne_u16_e32 vcc_lo, 0, v45
	v_mov_b32_e32 v46, 0
	s_and_not1_b32 s11, s11, exec_lo
	s_and_b32 s26, vcc_lo, exec_lo
	s_delay_alu instid0(SALU_CYCLE_1)
	s_or_b32 s11, s11, s26
	s_or_b32 exec_lo, exec_lo, s27
	s_and_saveexec_b32 s26, s11
	s_cbranch_execnz .LBB6_1579
	s_branch .LBB6_1580
.LBB6_2793:                             ;   in Loop: Header=BB6_143 Depth=2
	s_mov_b32 s11, -1
	s_mov_b32 s28, exec_lo
                                        ; implicit-def: $sgpr26
	v_cmpx_eq_u16_e32 0x80, v44
; %bb.2794:                             ;   in Loop: Header=BB6_143 Depth=2
	s_mov_b32 s26, 0x7f800001
	s_xor_b32 s11, exec_lo, -1
; %bb.2795:                             ;   in Loop: Header=BB6_143 Depth=2
	s_or_b32 exec_lo, exec_lo, s28
	s_delay_alu instid0(SALU_CYCLE_1)
	s_and_b32 s11, s11, exec_lo
	s_or_saveexec_b32 s27, s27
	v_mov_b32_e32 v45, s26
	s_xor_b32 exec_lo, exec_lo, s27
	s_cbranch_execz .LBB6_1582
.LBB6_2796:                             ;   in Loop: Header=BB6_143 Depth=2
	v_cmp_ne_u16_e32 vcc_lo, 0, v44
	v_mov_b32_e32 v45, 0
	s_and_not1_b32 s11, s11, exec_lo
	s_and_b32 s26, vcc_lo, exec_lo
	s_delay_alu instid0(SALU_CYCLE_1)
	s_or_b32 s11, s11, s26
	s_or_b32 exec_lo, exec_lo, s27
	s_and_saveexec_b32 s26, s11
	s_cbranch_execnz .LBB6_1583
	s_branch .LBB6_1584
.LBB6_2797:                             ;   in Loop: Header=BB6_143 Depth=2
	s_mov_b32 s11, -1
	s_mov_b32 s28, exec_lo
                                        ; implicit-def: $sgpr26
	v_cmpx_eq_u16_e32 0x80, v56
; %bb.2798:                             ;   in Loop: Header=BB6_143 Depth=2
	s_mov_b32 s26, 0x7f800001
	s_xor_b32 s11, exec_lo, -1
; %bb.2799:                             ;   in Loop: Header=BB6_143 Depth=2
	s_or_b32 exec_lo, exec_lo, s28
	s_delay_alu instid0(SALU_CYCLE_1)
	s_and_b32 s11, s11, exec_lo
                                        ; implicit-def: $vgpr56
	s_or_saveexec_b32 s27, s27
	v_mov_b32_e32 v47, s26
	s_xor_b32 exec_lo, exec_lo, s27
	s_cbranch_execz .LBB6_1596
.LBB6_2800:                             ;   in Loop: Header=BB6_143 Depth=2
	v_cmp_ne_u16_e32 vcc_lo, 0, v56
	v_mov_b32_e32 v47, 0
	s_and_not1_b32 s11, s11, exec_lo
	s_and_b32 s26, vcc_lo, exec_lo
	s_delay_alu instid0(SALU_CYCLE_1)
	s_or_b32 s11, s11, s26
	s_or_b32 exec_lo, exec_lo, s27
	s_and_saveexec_b32 s26, s11
	s_cbranch_execnz .LBB6_1597
	s_branch .LBB6_1598
.LBB6_2801:                             ;   in Loop: Header=BB6_143 Depth=2
	s_mov_b32 s11, -1
	s_mov_b32 s28, exec_lo
                                        ; implicit-def: $sgpr26
	v_cmpx_eq_u16_e32 0x80, v57
; %bb.2802:                             ;   in Loop: Header=BB6_143 Depth=2
	s_mov_b32 s26, 0x7f800001
	s_xor_b32 s11, exec_lo, -1
; %bb.2803:                             ;   in Loop: Header=BB6_143 Depth=2
	s_or_b32 exec_lo, exec_lo, s28
	s_delay_alu instid0(SALU_CYCLE_1)
	s_and_b32 s11, s11, exec_lo
                                        ; implicit-def: $vgpr57
	s_or_saveexec_b32 s27, s27
	v_mov_b32_e32 v56, s26
	s_xor_b32 exec_lo, exec_lo, s27
	s_cbranch_execz .LBB6_1600
.LBB6_2804:                             ;   in Loop: Header=BB6_143 Depth=2
	v_cmp_ne_u16_e32 vcc_lo, 0, v57
	v_mov_b32_e32 v56, 0
	s_and_not1_b32 s11, s11, exec_lo
	s_and_b32 s26, vcc_lo, exec_lo
	s_delay_alu instid0(SALU_CYCLE_1)
	s_or_b32 s11, s11, s26
	s_or_b32 exec_lo, exec_lo, s27
	s_and_saveexec_b32 s26, s11
	s_cbranch_execnz .LBB6_1601
	s_branch .LBB6_1602
.LBB6_2805:                             ;   in Loop: Header=BB6_143 Depth=2
	s_mov_b32 s11, -1
	s_mov_b32 s28, exec_lo
                                        ; implicit-def: $sgpr26
	v_cmpx_eq_u16_e32 0x80, v56
; %bb.2806:                             ;   in Loop: Header=BB6_143 Depth=2
	s_mov_b32 s26, 0x7f800001
	s_xor_b32 s11, exec_lo, -1
; %bb.2807:                             ;   in Loop: Header=BB6_143 Depth=2
	s_or_b32 exec_lo, exec_lo, s28
	s_delay_alu instid0(SALU_CYCLE_1)
	s_and_b32 s11, s11, exec_lo
                                        ; implicit-def: $vgpr56
	s_or_saveexec_b32 s27, s27
	v_mov_b32_e32 v47, s26
	s_xor_b32 exec_lo, exec_lo, s27
	s_cbranch_execz .LBB6_1607
.LBB6_2808:                             ;   in Loop: Header=BB6_143 Depth=2
	v_cmp_ne_u16_e32 vcc_lo, 0, v56
	v_mov_b32_e32 v47, 0
	s_and_not1_b32 s11, s11, exec_lo
	s_and_b32 s26, vcc_lo, exec_lo
	s_delay_alu instid0(SALU_CYCLE_1)
	s_or_b32 s11, s11, s26
	s_or_b32 exec_lo, exec_lo, s27
	s_and_saveexec_b32 s26, s11
	s_cbranch_execnz .LBB6_1608
	s_branch .LBB6_1609
.LBB6_2809:                             ;   in Loop: Header=BB6_143 Depth=2
	s_mov_b32 s11, -1
	s_mov_b32 s28, exec_lo
                                        ; implicit-def: $sgpr26
	v_cmpx_eq_u16_e32 0x80, v56
; %bb.2810:                             ;   in Loop: Header=BB6_143 Depth=2
	s_mov_b32 s26, 0x7f800001
	s_xor_b32 s11, exec_lo, -1
; %bb.2811:                             ;   in Loop: Header=BB6_143 Depth=2
	s_or_b32 exec_lo, exec_lo, s28
	s_delay_alu instid0(SALU_CYCLE_1)
	s_and_b32 s11, s11, exec_lo
                                        ; implicit-def: $vgpr56
	s_or_saveexec_b32 s27, s27
	v_mov_b32_e32 v46, s26
	s_xor_b32 exec_lo, exec_lo, s27
	s_cbranch_execz .LBB6_1611
.LBB6_2812:                             ;   in Loop: Header=BB6_143 Depth=2
	v_cmp_ne_u16_e32 vcc_lo, 0, v56
	v_mov_b32_e32 v46, 0
	s_and_not1_b32 s11, s11, exec_lo
	s_and_b32 s26, vcc_lo, exec_lo
	s_delay_alu instid0(SALU_CYCLE_1)
	s_or_b32 s11, s11, s26
	s_or_b32 exec_lo, exec_lo, s27
	s_and_saveexec_b32 s26, s11
	s_cbranch_execnz .LBB6_1612
	s_branch .LBB6_1613
.LBB6_2813:                             ;   in Loop: Header=BB6_143 Depth=2
	s_mov_b32 s11, -1
	s_mov_b32 s28, exec_lo
                                        ; implicit-def: $sgpr26
	v_cmpx_eq_u16_e32 0x80, v47
; %bb.2814:                             ;   in Loop: Header=BB6_143 Depth=2
	s_mov_b32 s26, 0x7f800001
	s_xor_b32 s11, exec_lo, -1
; %bb.2815:                             ;   in Loop: Header=BB6_143 Depth=2
	s_or_b32 exec_lo, exec_lo, s28
	s_delay_alu instid0(SALU_CYCLE_1)
	s_and_b32 s11, s11, exec_lo
	s_or_saveexec_b32 s27, s27
	v_mov_b32_e32 v56, s26
	s_xor_b32 exec_lo, exec_lo, s27
	s_cbranch_execz .LBB6_1625
.LBB6_2816:                             ;   in Loop: Header=BB6_143 Depth=2
	v_cmp_ne_u16_e32 vcc_lo, 0, v47
	v_mov_b32_e32 v56, 0
	s_and_not1_b32 s11, s11, exec_lo
	s_and_b32 s26, vcc_lo, exec_lo
	s_delay_alu instid0(SALU_CYCLE_1)
	s_or_b32 s11, s11, s26
	s_or_b32 exec_lo, exec_lo, s27
	s_and_saveexec_b32 s26, s11
	s_cbranch_execnz .LBB6_1626
	s_branch .LBB6_1627
.LBB6_2817:                             ;   in Loop: Header=BB6_143 Depth=2
	s_mov_b32 s11, -1
	s_mov_b32 s28, exec_lo
                                        ; implicit-def: $sgpr26
	v_cmpx_eq_u16_e32 0x80, v46
; %bb.2818:                             ;   in Loop: Header=BB6_143 Depth=2
	s_mov_b32 s26, 0x7f800001
	s_xor_b32 s11, exec_lo, -1
; %bb.2819:                             ;   in Loop: Header=BB6_143 Depth=2
	s_or_b32 exec_lo, exec_lo, s28
	s_delay_alu instid0(SALU_CYCLE_1)
	s_and_b32 s11, s11, exec_lo
	s_or_saveexec_b32 s27, s27
	v_mov_b32_e32 v57, s26
	s_xor_b32 exec_lo, exec_lo, s27
	s_cbranch_execz .LBB6_1629
.LBB6_2820:                             ;   in Loop: Header=BB6_143 Depth=2
	v_cmp_ne_u16_e32 vcc_lo, 0, v46
	v_mov_b32_e32 v57, 0
	s_and_not1_b32 s11, s11, exec_lo
	s_and_b32 s26, vcc_lo, exec_lo
	s_delay_alu instid0(SALU_CYCLE_1)
	s_or_b32 s11, s11, s26
	s_or_b32 exec_lo, exec_lo, s27
	s_and_saveexec_b32 s26, s11
	s_cbranch_execnz .LBB6_1630
	s_branch .LBB6_1631
.LBB6_2821:                             ;   in Loop: Header=BB6_143 Depth=2
	s_mov_b32 s11, -1
	s_mov_b32 s28, exec_lo
                                        ; implicit-def: $sgpr26
	v_cmpx_eq_u16_e32 0x80, v47
; %bb.2822:                             ;   in Loop: Header=BB6_143 Depth=2
	s_mov_b32 s26, 0x7f800001
	s_xor_b32 s11, exec_lo, -1
; %bb.2823:                             ;   in Loop: Header=BB6_143 Depth=2
	s_or_b32 exec_lo, exec_lo, s28
	s_delay_alu instid0(SALU_CYCLE_1)
	s_and_b32 s11, s11, exec_lo
	s_or_saveexec_b32 s27, s27
	v_mov_b32_e32 v56, s26
	s_xor_b32 exec_lo, exec_lo, s27
	s_cbranch_execz .LBB6_1636
.LBB6_2824:                             ;   in Loop: Header=BB6_143 Depth=2
	v_cmp_ne_u16_e32 vcc_lo, 0, v47
	v_mov_b32_e32 v56, 0
	s_and_not1_b32 s11, s11, exec_lo
	s_and_b32 s26, vcc_lo, exec_lo
	s_delay_alu instid0(SALU_CYCLE_1)
	s_or_b32 s11, s11, s26
	s_or_b32 exec_lo, exec_lo, s27
	s_and_saveexec_b32 s26, s11
	s_cbranch_execnz .LBB6_1637
	s_branch .LBB6_1638
.LBB6_2825:                             ;   in Loop: Header=BB6_143 Depth=2
	s_mov_b32 s11, -1
	s_mov_b32 s28, exec_lo
                                        ; implicit-def: $sgpr26
	v_cmpx_eq_u16_e32 0x80, v46
; %bb.2826:                             ;   in Loop: Header=BB6_143 Depth=2
	s_mov_b32 s26, 0x7f800001
	s_xor_b32 s11, exec_lo, -1
; %bb.2827:                             ;   in Loop: Header=BB6_143 Depth=2
	s_or_b32 exec_lo, exec_lo, s28
	s_delay_alu instid0(SALU_CYCLE_1)
	s_and_b32 s11, s11, exec_lo
	s_or_saveexec_b32 s27, s27
	v_mov_b32_e32 v14, s26
	s_xor_b32 exec_lo, exec_lo, s27
	s_cbranch_execz .LBB6_1640
.LBB6_2828:                             ;   in Loop: Header=BB6_143 Depth=2
	v_cmp_ne_u16_e32 vcc_lo, 0, v46
	v_mov_b32_e32 v14, 0
	s_and_not1_b32 s11, s11, exec_lo
	s_and_b32 s26, vcc_lo, exec_lo
	s_delay_alu instid0(SALU_CYCLE_1)
	s_or_b32 s11, s11, s26
	s_or_b32 exec_lo, exec_lo, s27
	s_and_saveexec_b32 s26, s11
	s_cbranch_execnz .LBB6_1641
	s_branch .LBB6_1642
.LBB6_2829:                             ;   in Loop: Header=BB6_143 Depth=2
	s_mov_b32 s11, -1
	s_mov_b32 s28, exec_lo
                                        ; implicit-def: $sgpr26
	v_cmpx_eq_u16_e32 0x80, v46
; %bb.2830:                             ;   in Loop: Header=BB6_143 Depth=2
	s_mov_b32 s26, 0x7f800001
	s_xor_b32 s11, exec_lo, -1
; %bb.2831:                             ;   in Loop: Header=BB6_143 Depth=2
	s_or_b32 exec_lo, exec_lo, s28
	s_delay_alu instid0(SALU_CYCLE_1)
	s_and_b32 s11, s11, exec_lo
                                        ; implicit-def: $vgpr46
	s_or_saveexec_b32 s27, s27
	v_mov_b32_e32 v14, s26
	s_xor_b32 exec_lo, exec_lo, s27
	s_cbranch_execz .LBB6_1654
.LBB6_2832:                             ;   in Loop: Header=BB6_143 Depth=2
	v_cmp_ne_u16_e32 vcc_lo, 0, v46
	v_mov_b32_e32 v14, 0
	s_and_not1_b32 s11, s11, exec_lo
	s_and_b32 s26, vcc_lo, exec_lo
	s_delay_alu instid0(SALU_CYCLE_1)
	s_or_b32 s11, s11, s26
	s_or_b32 exec_lo, exec_lo, s27
	s_and_saveexec_b32 s26, s11
	s_cbranch_execnz .LBB6_1655
	s_branch .LBB6_1656
.LBB6_2833:                             ;   in Loop: Header=BB6_143 Depth=2
	s_mov_b32 s11, -1
	s_mov_b32 s28, exec_lo
                                        ; implicit-def: $sgpr26
	v_cmpx_eq_u16_e32 0x80, v47
; %bb.2834:                             ;   in Loop: Header=BB6_143 Depth=2
	s_mov_b32 s26, 0x7f800001
	s_xor_b32 s11, exec_lo, -1
; %bb.2835:                             ;   in Loop: Header=BB6_143 Depth=2
	s_or_b32 exec_lo, exec_lo, s28
	s_delay_alu instid0(SALU_CYCLE_1)
	s_and_b32 s11, s11, exec_lo
                                        ; implicit-def: $vgpr47
	s_or_saveexec_b32 s27, s27
	v_mov_b32_e32 v46, s26
	s_xor_b32 exec_lo, exec_lo, s27
	s_cbranch_execz .LBB6_1658
.LBB6_2836:                             ;   in Loop: Header=BB6_143 Depth=2
	v_cmp_ne_u16_e32 vcc_lo, 0, v47
	v_mov_b32_e32 v46, 0
	s_and_not1_b32 s11, s11, exec_lo
	s_and_b32 s26, vcc_lo, exec_lo
	s_delay_alu instid0(SALU_CYCLE_1)
	s_or_b32 s11, s11, s26
	s_or_b32 exec_lo, exec_lo, s27
	s_and_saveexec_b32 s26, s11
	s_cbranch_execnz .LBB6_1659
	s_branch .LBB6_1660
.LBB6_2837:                             ;   in Loop: Header=BB6_143 Depth=2
	s_mov_b32 s11, -1
	s_mov_b32 s28, exec_lo
                                        ; implicit-def: $sgpr26
	v_cmpx_eq_u16_e32 0x80, v46
; %bb.2838:                             ;   in Loop: Header=BB6_143 Depth=2
	s_mov_b32 s26, 0x7f800001
	s_xor_b32 s11, exec_lo, -1
; %bb.2839:                             ;   in Loop: Header=BB6_143 Depth=2
	s_or_b32 exec_lo, exec_lo, s28
	s_delay_alu instid0(SALU_CYCLE_1)
	s_and_b32 s11, s11, exec_lo
                                        ; implicit-def: $vgpr46
	s_or_saveexec_b32 s27, s27
	v_mov_b32_e32 v14, s26
	s_xor_b32 exec_lo, exec_lo, s27
	s_cbranch_execz .LBB6_1665
.LBB6_2840:                             ;   in Loop: Header=BB6_143 Depth=2
	v_cmp_ne_u16_e32 vcc_lo, 0, v46
	v_mov_b32_e32 v14, 0
	s_and_not1_b32 s11, s11, exec_lo
	s_and_b32 s26, vcc_lo, exec_lo
	s_delay_alu instid0(SALU_CYCLE_1)
	s_or_b32 s11, s11, s26
	s_or_b32 exec_lo, exec_lo, s27
	s_and_saveexec_b32 s26, s11
	s_cbranch_execnz .LBB6_1666
	s_branch .LBB6_1667
.LBB6_2841:                             ;   in Loop: Header=BB6_143 Depth=2
	s_mov_b32 s11, -1
	s_mov_b32 s28, exec_lo
                                        ; implicit-def: $sgpr26
	v_cmpx_eq_u16_e32 0x80, v47
; %bb.2842:                             ;   in Loop: Header=BB6_143 Depth=2
	s_mov_b32 s26, 0x7f800001
	s_xor_b32 s11, exec_lo, -1
; %bb.2843:                             ;   in Loop: Header=BB6_143 Depth=2
	s_or_b32 exec_lo, exec_lo, s28
	s_delay_alu instid0(SALU_CYCLE_1)
	s_and_b32 s11, s11, exec_lo
                                        ; implicit-def: $vgpr47
	s_or_saveexec_b32 s27, s27
	v_mov_b32_e32 v46, s26
	s_xor_b32 exec_lo, exec_lo, s27
	s_cbranch_execz .LBB6_1669
.LBB6_2844:                             ;   in Loop: Header=BB6_143 Depth=2
	v_cmp_ne_u16_e32 vcc_lo, 0, v47
	v_mov_b32_e32 v46, 0
	s_and_not1_b32 s11, s11, exec_lo
	s_and_b32 s26, vcc_lo, exec_lo
	s_delay_alu instid0(SALU_CYCLE_1)
	s_or_b32 s11, s11, s26
	s_or_b32 exec_lo, exec_lo, s27
	s_and_saveexec_b32 s26, s11
	s_cbranch_execnz .LBB6_1670
	s_branch .LBB6_1671
.LBB6_2845:                             ;   in Loop: Header=BB6_143 Depth=2
	s_mov_b32 s11, -1
	s_mov_b32 s28, exec_lo
                                        ; implicit-def: $sgpr26
	v_cmpx_eq_u16_e32 0x80, v47
; %bb.2846:                             ;   in Loop: Header=BB6_143 Depth=2
	s_mov_b32 s26, 0x7f800001
	s_xor_b32 s11, exec_lo, -1
; %bb.2847:                             ;   in Loop: Header=BB6_143 Depth=2
	s_or_b32 exec_lo, exec_lo, s28
	s_delay_alu instid0(SALU_CYCLE_1)
	s_and_b32 s11, s11, exec_lo
	s_or_saveexec_b32 s27, s27
	v_mov_b32_e32 v56, s26
	s_xor_b32 exec_lo, exec_lo, s27
	s_cbranch_execz .LBB6_1683
.LBB6_2848:                             ;   in Loop: Header=BB6_143 Depth=2
	v_cmp_ne_u16_e32 vcc_lo, 0, v47
	v_mov_b32_e32 v56, 0
	s_and_not1_b32 s11, s11, exec_lo
	s_and_b32 s26, vcc_lo, exec_lo
	s_delay_alu instid0(SALU_CYCLE_1)
	s_or_b32 s11, s11, s26
	s_or_b32 exec_lo, exec_lo, s27
	s_and_saveexec_b32 s26, s11
	s_cbranch_execnz .LBB6_1684
	s_branch .LBB6_1685
.LBB6_2849:                             ;   in Loop: Header=BB6_143 Depth=2
	s_mov_b32 s11, -1
	s_mov_b32 s28, exec_lo
                                        ; implicit-def: $sgpr26
	v_cmpx_eq_u16_e32 0x80, v46
; %bb.2850:                             ;   in Loop: Header=BB6_143 Depth=2
	s_mov_b32 s26, 0x7f800001
	s_xor_b32 s11, exec_lo, -1
; %bb.2851:                             ;   in Loop: Header=BB6_143 Depth=2
	s_or_b32 exec_lo, exec_lo, s28
	s_delay_alu instid0(SALU_CYCLE_1)
	s_and_b32 s11, s11, exec_lo
	s_or_saveexec_b32 s27, s27
	v_mov_b32_e32 v57, s26
	s_xor_b32 exec_lo, exec_lo, s27
	s_cbranch_execz .LBB6_1687
.LBB6_2852:                             ;   in Loop: Header=BB6_143 Depth=2
	v_cmp_ne_u16_e32 vcc_lo, 0, v46
	v_mov_b32_e32 v57, 0
	s_and_not1_b32 s11, s11, exec_lo
	s_and_b32 s26, vcc_lo, exec_lo
	s_delay_alu instid0(SALU_CYCLE_1)
	s_or_b32 s11, s11, s26
	s_or_b32 exec_lo, exec_lo, s27
	s_and_saveexec_b32 s26, s11
	s_cbranch_execnz .LBB6_1688
	s_branch .LBB6_1689
.LBB6_2853:                             ;   in Loop: Header=BB6_143 Depth=2
	s_mov_b32 s11, -1
	s_mov_b32 s28, exec_lo
                                        ; implicit-def: $sgpr26
	v_cmpx_eq_u16_e32 0x80, v47
; %bb.2854:                             ;   in Loop: Header=BB6_143 Depth=2
	s_mov_b32 s26, 0x7f800001
	s_xor_b32 s11, exec_lo, -1
; %bb.2855:                             ;   in Loop: Header=BB6_143 Depth=2
	s_or_b32 exec_lo, exec_lo, s28
	s_delay_alu instid0(SALU_CYCLE_1)
	s_and_b32 s11, s11, exec_lo
	s_or_saveexec_b32 s27, s27
	v_mov_b32_e32 v56, s26
	s_xor_b32 exec_lo, exec_lo, s27
	s_cbranch_execz .LBB6_1694
.LBB6_2856:                             ;   in Loop: Header=BB6_143 Depth=2
	v_cmp_ne_u16_e32 vcc_lo, 0, v47
	v_mov_b32_e32 v56, 0
	s_and_not1_b32 s11, s11, exec_lo
	s_and_b32 s26, vcc_lo, exec_lo
	s_delay_alu instid0(SALU_CYCLE_1)
	s_or_b32 s11, s11, s26
	s_or_b32 exec_lo, exec_lo, s27
	s_and_saveexec_b32 s26, s11
	s_cbranch_execnz .LBB6_1695
	s_branch .LBB6_1696
.LBB6_2857:                             ;   in Loop: Header=BB6_143 Depth=2
	s_mov_b32 s11, -1
	s_mov_b32 s28, exec_lo
                                        ; implicit-def: $sgpr26
	v_cmpx_eq_u16_e32 0x80, v46
; %bb.2858:                             ;   in Loop: Header=BB6_143 Depth=2
	s_mov_b32 s26, 0x7f800001
	s_xor_b32 s11, exec_lo, -1
; %bb.2859:                             ;   in Loop: Header=BB6_143 Depth=2
	s_or_b32 exec_lo, exec_lo, s28
	s_delay_alu instid0(SALU_CYCLE_1)
	s_and_b32 s11, s11, exec_lo
	s_or_saveexec_b32 s27, s27
	v_mov_b32_e32 v47, s26
	s_xor_b32 exec_lo, exec_lo, s27
	s_cbranch_execz .LBB6_1698
.LBB6_2860:                             ;   in Loop: Header=BB6_143 Depth=2
	v_cmp_ne_u16_e32 vcc_lo, 0, v46
	v_mov_b32_e32 v47, 0
	s_and_not1_b32 s11, s11, exec_lo
	s_and_b32 s26, vcc_lo, exec_lo
	s_delay_alu instid0(SALU_CYCLE_1)
	s_or_b32 s11, s11, s26
	s_or_b32 exec_lo, exec_lo, s27
	s_and_saveexec_b32 s26, s11
	s_cbranch_execnz .LBB6_1699
	s_branch .LBB6_1700
.LBB6_2861:                             ;   in Loop: Header=BB6_143 Depth=2
	s_mov_b32 s11, -1
	s_mov_b32 s28, exec_lo
                                        ; implicit-def: $sgpr26
	v_cmpx_eq_u16_e32 0x80, v58
; %bb.2862:                             ;   in Loop: Header=BB6_143 Depth=2
	s_mov_b32 s26, 0x7f800001
	s_xor_b32 s11, exec_lo, -1
; %bb.2863:                             ;   in Loop: Header=BB6_143 Depth=2
	s_or_b32 exec_lo, exec_lo, s28
	s_delay_alu instid0(SALU_CYCLE_1)
	s_and_b32 s11, s11, exec_lo
                                        ; implicit-def: $vgpr58
	s_or_saveexec_b32 s27, s27
	v_mov_b32_e32 v57, s26
	s_xor_b32 exec_lo, exec_lo, s27
	s_cbranch_execz .LBB6_1712
.LBB6_2864:                             ;   in Loop: Header=BB6_143 Depth=2
	v_cmp_ne_u16_e32 vcc_lo, 0, v58
	v_mov_b32_e32 v57, 0
	s_and_not1_b32 s11, s11, exec_lo
	s_and_b32 s26, vcc_lo, exec_lo
	s_delay_alu instid0(SALU_CYCLE_1)
	s_or_b32 s11, s11, s26
	s_or_b32 exec_lo, exec_lo, s27
	s_and_saveexec_b32 s26, s11
	s_cbranch_execnz .LBB6_1713
	s_branch .LBB6_1714
.LBB6_2865:                             ;   in Loop: Header=BB6_143 Depth=2
	s_mov_b32 s11, -1
	s_mov_b32 s28, exec_lo
                                        ; implicit-def: $sgpr26
	v_cmpx_eq_u16_e32 0x80, v59
; %bb.2866:                             ;   in Loop: Header=BB6_143 Depth=2
	s_mov_b32 s26, 0x7f800001
	s_xor_b32 s11, exec_lo, -1
; %bb.2867:                             ;   in Loop: Header=BB6_143 Depth=2
	s_or_b32 exec_lo, exec_lo, s28
	s_delay_alu instid0(SALU_CYCLE_1)
	s_and_b32 s11, s11, exec_lo
                                        ; implicit-def: $vgpr59
	s_or_saveexec_b32 s27, s27
	v_mov_b32_e32 v58, s26
	s_xor_b32 exec_lo, exec_lo, s27
	s_cbranch_execz .LBB6_1716
.LBB6_2868:                             ;   in Loop: Header=BB6_143 Depth=2
	v_cmp_ne_u16_e32 vcc_lo, 0, v59
	v_mov_b32_e32 v58, 0
	s_and_not1_b32 s11, s11, exec_lo
	s_and_b32 s26, vcc_lo, exec_lo
	s_delay_alu instid0(SALU_CYCLE_1)
	s_or_b32 s11, s11, s26
	s_or_b32 exec_lo, exec_lo, s27
	s_and_saveexec_b32 s26, s11
	s_cbranch_execnz .LBB6_1717
	s_branch .LBB6_1718
.LBB6_2869:                             ;   in Loop: Header=BB6_143 Depth=2
	s_mov_b32 s11, -1
	s_mov_b32 s28, exec_lo
                                        ; implicit-def: $sgpr26
	v_cmpx_eq_u16_e32 0x80, v58
; %bb.2870:                             ;   in Loop: Header=BB6_143 Depth=2
	s_mov_b32 s26, 0x7f800001
	s_xor_b32 s11, exec_lo, -1
; %bb.2871:                             ;   in Loop: Header=BB6_143 Depth=2
	s_or_b32 exec_lo, exec_lo, s28
	s_delay_alu instid0(SALU_CYCLE_1)
	s_and_b32 s11, s11, exec_lo
                                        ; implicit-def: $vgpr58
	s_or_saveexec_b32 s27, s27
	v_mov_b32_e32 v57, s26
	s_xor_b32 exec_lo, exec_lo, s27
	s_cbranch_execz .LBB6_1723
.LBB6_2872:                             ;   in Loop: Header=BB6_143 Depth=2
	v_cmp_ne_u16_e32 vcc_lo, 0, v58
	v_mov_b32_e32 v57, 0
	s_and_not1_b32 s11, s11, exec_lo
	s_and_b32 s26, vcc_lo, exec_lo
	s_delay_alu instid0(SALU_CYCLE_1)
	s_or_b32 s11, s11, s26
	s_or_b32 exec_lo, exec_lo, s27
	s_and_saveexec_b32 s26, s11
	s_cbranch_execnz .LBB6_1724
	s_branch .LBB6_1725
.LBB6_2873:                             ;   in Loop: Header=BB6_143 Depth=2
	s_mov_b32 s11, -1
	s_mov_b32 s28, exec_lo
                                        ; implicit-def: $sgpr26
	v_cmpx_eq_u16_e32 0x80, v58
; %bb.2874:                             ;   in Loop: Header=BB6_143 Depth=2
	s_mov_b32 s26, 0x7f800001
	s_xor_b32 s11, exec_lo, -1
; %bb.2875:                             ;   in Loop: Header=BB6_143 Depth=2
	s_or_b32 exec_lo, exec_lo, s28
	s_delay_alu instid0(SALU_CYCLE_1)
	s_and_b32 s11, s11, exec_lo
                                        ; implicit-def: $vgpr58
	s_or_saveexec_b32 s27, s27
	v_mov_b32_e32 v56, s26
	s_xor_b32 exec_lo, exec_lo, s27
	s_cbranch_execz .LBB6_1727
.LBB6_2876:                             ;   in Loop: Header=BB6_143 Depth=2
	v_cmp_ne_u16_e32 vcc_lo, 0, v58
	v_mov_b32_e32 v56, 0
	s_and_not1_b32 s11, s11, exec_lo
	s_and_b32 s26, vcc_lo, exec_lo
	s_delay_alu instid0(SALU_CYCLE_1)
	s_or_b32 s11, s11, s26
	s_or_b32 exec_lo, exec_lo, s27
	s_and_saveexec_b32 s26, s11
	s_cbranch_execnz .LBB6_1728
	s_branch .LBB6_1729
.LBB6_2877:                             ;   in Loop: Header=BB6_143 Depth=2
	s_mov_b32 s11, -1
	s_mov_b32 s28, exec_lo
                                        ; implicit-def: $sgpr26
	v_cmpx_eq_u16_e32 0x80, v57
; %bb.2878:                             ;   in Loop: Header=BB6_143 Depth=2
	s_mov_b32 s26, 0x7f800001
	s_xor_b32 s11, exec_lo, -1
; %bb.2879:                             ;   in Loop: Header=BB6_143 Depth=2
	s_or_b32 exec_lo, exec_lo, s28
	s_delay_alu instid0(SALU_CYCLE_1)
	s_and_b32 s11, s11, exec_lo
	s_or_saveexec_b32 s27, s27
	v_mov_b32_e32 v58, s26
	s_xor_b32 exec_lo, exec_lo, s27
	s_cbranch_execz .LBB6_1741
.LBB6_2880:                             ;   in Loop: Header=BB6_143 Depth=2
	v_cmp_ne_u16_e32 vcc_lo, 0, v57
	v_mov_b32_e32 v58, 0
	s_and_not1_b32 s11, s11, exec_lo
	s_and_b32 s26, vcc_lo, exec_lo
	s_delay_alu instid0(SALU_CYCLE_1)
	s_or_b32 s11, s11, s26
	s_or_b32 exec_lo, exec_lo, s27
	s_and_saveexec_b32 s26, s11
	s_cbranch_execnz .LBB6_1742
	s_branch .LBB6_1743
.LBB6_2881:                             ;   in Loop: Header=BB6_143 Depth=2
	s_mov_b32 s11, -1
	s_mov_b32 s28, exec_lo
                                        ; implicit-def: $sgpr26
	v_cmpx_eq_u16_e32 0x80, v56
; %bb.2882:                             ;   in Loop: Header=BB6_143 Depth=2
	s_mov_b32 s26, 0x7f800001
	s_xor_b32 s11, exec_lo, -1
; %bb.2883:                             ;   in Loop: Header=BB6_143 Depth=2
	s_or_b32 exec_lo, exec_lo, s28
	s_delay_alu instid0(SALU_CYCLE_1)
	s_and_b32 s11, s11, exec_lo
	s_or_saveexec_b32 s27, s27
	v_mov_b32_e32 v59, s26
	s_xor_b32 exec_lo, exec_lo, s27
	s_cbranch_execz .LBB6_1745
.LBB6_2884:                             ;   in Loop: Header=BB6_143 Depth=2
	v_cmp_ne_u16_e32 vcc_lo, 0, v56
	v_mov_b32_e32 v59, 0
	s_and_not1_b32 s11, s11, exec_lo
	s_and_b32 s26, vcc_lo, exec_lo
	s_delay_alu instid0(SALU_CYCLE_1)
	s_or_b32 s11, s11, s26
	s_or_b32 exec_lo, exec_lo, s27
	s_and_saveexec_b32 s26, s11
	s_cbranch_execnz .LBB6_1746
	s_branch .LBB6_1747
.LBB6_2885:                             ;   in Loop: Header=BB6_143 Depth=2
	s_mov_b32 s11, -1
	s_mov_b32 s28, exec_lo
                                        ; implicit-def: $sgpr26
	v_cmpx_eq_u16_e32 0x80, v57
; %bb.2886:                             ;   in Loop: Header=BB6_143 Depth=2
	s_mov_b32 s26, 0x7f800001
	s_xor_b32 s11, exec_lo, -1
; %bb.2887:                             ;   in Loop: Header=BB6_143 Depth=2
	s_or_b32 exec_lo, exec_lo, s28
	s_delay_alu instid0(SALU_CYCLE_1)
	s_and_b32 s11, s11, exec_lo
	s_or_saveexec_b32 s27, s27
	v_mov_b32_e32 v58, s26
	s_xor_b32 exec_lo, exec_lo, s27
	s_cbranch_execz .LBB6_1752
.LBB6_2888:                             ;   in Loop: Header=BB6_143 Depth=2
	v_cmp_ne_u16_e32 vcc_lo, 0, v57
	v_mov_b32_e32 v58, 0
	s_and_not1_b32 s11, s11, exec_lo
	s_and_b32 s26, vcc_lo, exec_lo
	s_delay_alu instid0(SALU_CYCLE_1)
	s_or_b32 s11, s11, s26
	s_or_b32 exec_lo, exec_lo, s27
	s_and_saveexec_b32 s26, s11
	s_cbranch_execnz .LBB6_1753
	s_branch .LBB6_1754
.LBB6_2889:                             ;   in Loop: Header=BB6_143 Depth=2
	s_mov_b32 s11, -1
	s_mov_b32 s28, exec_lo
                                        ; implicit-def: $sgpr26
	v_cmpx_eq_u16_e32 0x80, v56
; %bb.2890:                             ;   in Loop: Header=BB6_143 Depth=2
	s_mov_b32 s26, 0x7f800001
	s_xor_b32 s11, exec_lo, -1
; %bb.2891:                             ;   in Loop: Header=BB6_143 Depth=2
	s_or_b32 exec_lo, exec_lo, s28
	s_delay_alu instid0(SALU_CYCLE_1)
	s_and_b32 s11, s11, exec_lo
	s_or_saveexec_b32 s27, s27
	v_mov_b32_e32 v15, s26
	s_xor_b32 exec_lo, exec_lo, s27
	s_cbranch_execz .LBB6_1756
.LBB6_2892:                             ;   in Loop: Header=BB6_143 Depth=2
	v_cmp_ne_u16_e32 vcc_lo, 0, v56
	v_mov_b32_e32 v15, 0
	s_and_not1_b32 s11, s11, exec_lo
	s_and_b32 s26, vcc_lo, exec_lo
	s_delay_alu instid0(SALU_CYCLE_1)
	s_or_b32 s11, s11, s26
	s_or_b32 exec_lo, exec_lo, s27
	s_and_saveexec_b32 s26, s11
	s_cbranch_execnz .LBB6_1757
	s_branch .LBB6_1758
.LBB6_2893:                             ;   in Loop: Header=BB6_143 Depth=2
	s_mov_b32 s11, -1
	s_mov_b32 s28, exec_lo
                                        ; implicit-def: $sgpr26
	v_cmpx_eq_u16_e32 0x80, v56
; %bb.2894:                             ;   in Loop: Header=BB6_143 Depth=2
	s_mov_b32 s26, 0x7f800001
	s_xor_b32 s11, exec_lo, -1
; %bb.2895:                             ;   in Loop: Header=BB6_143 Depth=2
	s_or_b32 exec_lo, exec_lo, s28
	s_delay_alu instid0(SALU_CYCLE_1)
	s_and_b32 s11, s11, exec_lo
                                        ; implicit-def: $vgpr56
	s_or_saveexec_b32 s27, s27
	v_mov_b32_e32 v15, s26
	s_xor_b32 exec_lo, exec_lo, s27
	s_cbranch_execz .LBB6_1770
.LBB6_2896:                             ;   in Loop: Header=BB6_143 Depth=2
	v_cmp_ne_u16_e32 vcc_lo, 0, v56
	v_mov_b32_e32 v15, 0
	s_and_not1_b32 s11, s11, exec_lo
	s_and_b32 s26, vcc_lo, exec_lo
	s_delay_alu instid0(SALU_CYCLE_1)
	s_or_b32 s11, s11, s26
	s_or_b32 exec_lo, exec_lo, s27
	s_and_saveexec_b32 s26, s11
	s_cbranch_execnz .LBB6_1771
	s_branch .LBB6_1772
.LBB6_2897:                             ;   in Loop: Header=BB6_143 Depth=2
	s_mov_b32 s11, -1
	s_mov_b32 s28, exec_lo
                                        ; implicit-def: $sgpr26
	v_cmpx_eq_u16_e32 0x80, v57
; %bb.2898:                             ;   in Loop: Header=BB6_143 Depth=2
	s_mov_b32 s26, 0x7f800001
	s_xor_b32 s11, exec_lo, -1
; %bb.2899:                             ;   in Loop: Header=BB6_143 Depth=2
	s_or_b32 exec_lo, exec_lo, s28
	s_delay_alu instid0(SALU_CYCLE_1)
	s_and_b32 s11, s11, exec_lo
                                        ; implicit-def: $vgpr57
	s_or_saveexec_b32 s27, s27
	v_mov_b32_e32 v56, s26
	s_xor_b32 exec_lo, exec_lo, s27
	s_cbranch_execz .LBB6_1774
.LBB6_2900:                             ;   in Loop: Header=BB6_143 Depth=2
	v_cmp_ne_u16_e32 vcc_lo, 0, v57
	v_mov_b32_e32 v56, 0
	s_and_not1_b32 s11, s11, exec_lo
	s_and_b32 s26, vcc_lo, exec_lo
	s_delay_alu instid0(SALU_CYCLE_1)
	s_or_b32 s11, s11, s26
	s_or_b32 exec_lo, exec_lo, s27
	s_and_saveexec_b32 s26, s11
	s_cbranch_execnz .LBB6_1775
	s_branch .LBB6_1776
.LBB6_2901:                             ;   in Loop: Header=BB6_143 Depth=2
	s_mov_b32 s11, -1
	s_mov_b32 s28, exec_lo
                                        ; implicit-def: $sgpr26
	v_cmpx_eq_u16_e32 0x80, v56
; %bb.2902:                             ;   in Loop: Header=BB6_143 Depth=2
	s_mov_b32 s26, 0x7f800001
	s_xor_b32 s11, exec_lo, -1
; %bb.2903:                             ;   in Loop: Header=BB6_143 Depth=2
	s_or_b32 exec_lo, exec_lo, s28
	s_delay_alu instid0(SALU_CYCLE_1)
	s_and_b32 s11, s11, exec_lo
                                        ; implicit-def: $vgpr56
	s_or_saveexec_b32 s27, s27
	v_mov_b32_e32 v15, s26
	s_xor_b32 exec_lo, exec_lo, s27
	s_cbranch_execz .LBB6_1781
.LBB6_2904:                             ;   in Loop: Header=BB6_143 Depth=2
	v_cmp_ne_u16_e32 vcc_lo, 0, v56
	v_mov_b32_e32 v15, 0
	s_and_not1_b32 s11, s11, exec_lo
	s_and_b32 s26, vcc_lo, exec_lo
	s_delay_alu instid0(SALU_CYCLE_1)
	s_or_b32 s11, s11, s26
	s_or_b32 exec_lo, exec_lo, s27
	s_and_saveexec_b32 s26, s11
	s_cbranch_execnz .LBB6_1782
	s_branch .LBB6_1783
.LBB6_2905:                             ;   in Loop: Header=BB6_143 Depth=2
	s_mov_b32 s11, -1
	s_mov_b32 s28, exec_lo
                                        ; implicit-def: $sgpr26
	v_cmpx_eq_u16_e32 0x80, v57
; %bb.2906:                             ;   in Loop: Header=BB6_143 Depth=2
	s_mov_b32 s26, 0x7f800001
	s_xor_b32 s11, exec_lo, -1
; %bb.2907:                             ;   in Loop: Header=BB6_143 Depth=2
	s_or_b32 exec_lo, exec_lo, s28
	s_delay_alu instid0(SALU_CYCLE_1)
	s_and_b32 s11, s11, exec_lo
                                        ; implicit-def: $vgpr57
	s_or_saveexec_b32 s27, s27
	v_mov_b32_e32 v56, s26
	s_xor_b32 exec_lo, exec_lo, s27
	s_cbranch_execz .LBB6_1785
.LBB6_2908:                             ;   in Loop: Header=BB6_143 Depth=2
	v_cmp_ne_u16_e32 vcc_lo, 0, v57
	v_mov_b32_e32 v56, 0
	s_and_not1_b32 s11, s11, exec_lo
	s_and_b32 s26, vcc_lo, exec_lo
	s_delay_alu instid0(SALU_CYCLE_1)
	s_or_b32 s11, s11, s26
	s_or_b32 exec_lo, exec_lo, s27
	s_and_saveexec_b32 s26, s11
	s_cbranch_execnz .LBB6_1786
	s_branch .LBB6_1787
.LBB6_2909:                             ;   in Loop: Header=BB6_143 Depth=2
	s_mov_b32 s11, -1
	s_mov_b32 s28, exec_lo
                                        ; implicit-def: $sgpr26
	v_cmpx_eq_u16_e32 0x80, v57
; %bb.2910:                             ;   in Loop: Header=BB6_143 Depth=2
	s_mov_b32 s26, 0x7f800001
	s_xor_b32 s11, exec_lo, -1
; %bb.2911:                             ;   in Loop: Header=BB6_143 Depth=2
	s_or_b32 exec_lo, exec_lo, s28
	s_delay_alu instid0(SALU_CYCLE_1)
	s_and_b32 s11, s11, exec_lo
	s_or_saveexec_b32 s27, s27
	v_mov_b32_e32 v58, s26
	s_xor_b32 exec_lo, exec_lo, s27
	s_cbranch_execz .LBB6_1799
.LBB6_2912:                             ;   in Loop: Header=BB6_143 Depth=2
	v_cmp_ne_u16_e32 vcc_lo, 0, v57
	v_mov_b32_e32 v58, 0
	s_and_not1_b32 s11, s11, exec_lo
	s_and_b32 s26, vcc_lo, exec_lo
	s_delay_alu instid0(SALU_CYCLE_1)
	s_or_b32 s11, s11, s26
	s_or_b32 exec_lo, exec_lo, s27
	s_and_saveexec_b32 s26, s11
	s_cbranch_execnz .LBB6_1800
	s_branch .LBB6_1801
.LBB6_2913:                             ;   in Loop: Header=BB6_143 Depth=2
	s_mov_b32 s11, -1
	s_mov_b32 s28, exec_lo
                                        ; implicit-def: $sgpr26
	v_cmpx_eq_u16_e32 0x80, v56
; %bb.2914:                             ;   in Loop: Header=BB6_143 Depth=2
	s_mov_b32 s26, 0x7f800001
	s_xor_b32 s11, exec_lo, -1
; %bb.2915:                             ;   in Loop: Header=BB6_143 Depth=2
	s_or_b32 exec_lo, exec_lo, s28
	s_delay_alu instid0(SALU_CYCLE_1)
	s_and_b32 s11, s11, exec_lo
	s_or_saveexec_b32 s27, s27
	v_mov_b32_e32 v59, s26
	s_xor_b32 exec_lo, exec_lo, s27
	s_cbranch_execz .LBB6_1803
.LBB6_2916:                             ;   in Loop: Header=BB6_143 Depth=2
	v_cmp_ne_u16_e32 vcc_lo, 0, v56
	v_mov_b32_e32 v59, 0
	s_and_not1_b32 s11, s11, exec_lo
	s_and_b32 s26, vcc_lo, exec_lo
	s_delay_alu instid0(SALU_CYCLE_1)
	s_or_b32 s11, s11, s26
	s_or_b32 exec_lo, exec_lo, s27
	s_and_saveexec_b32 s26, s11
	s_cbranch_execnz .LBB6_1804
	s_branch .LBB6_1805
.LBB6_2917:                             ;   in Loop: Header=BB6_143 Depth=2
	s_mov_b32 s11, -1
	s_mov_b32 s28, exec_lo
                                        ; implicit-def: $sgpr26
	v_cmpx_eq_u16_e32 0x80, v57
; %bb.2918:                             ;   in Loop: Header=BB6_143 Depth=2
	s_mov_b32 s26, 0x7f800001
	s_xor_b32 s11, exec_lo, -1
; %bb.2919:                             ;   in Loop: Header=BB6_143 Depth=2
	s_or_b32 exec_lo, exec_lo, s28
	s_delay_alu instid0(SALU_CYCLE_1)
	s_and_b32 s11, s11, exec_lo
	s_or_saveexec_b32 s27, s27
	v_mov_b32_e32 v58, s26
	s_xor_b32 exec_lo, exec_lo, s27
	s_cbranch_execz .LBB6_1810
.LBB6_2920:                             ;   in Loop: Header=BB6_143 Depth=2
	v_cmp_ne_u16_e32 vcc_lo, 0, v57
	v_mov_b32_e32 v58, 0
	s_and_not1_b32 s11, s11, exec_lo
	s_and_b32 s26, vcc_lo, exec_lo
	s_delay_alu instid0(SALU_CYCLE_1)
	s_or_b32 s11, s11, s26
	s_or_b32 exec_lo, exec_lo, s27
	s_and_saveexec_b32 s26, s11
	s_cbranch_execnz .LBB6_1811
	s_branch .LBB6_1812
.LBB6_2921:                             ;   in Loop: Header=BB6_143 Depth=2
	s_mov_b32 s11, -1
	s_mov_b32 s28, exec_lo
                                        ; implicit-def: $sgpr26
	v_cmpx_eq_u16_e32 0x80, v56
; %bb.2922:                             ;   in Loop: Header=BB6_143 Depth=2
	s_mov_b32 s26, 0x7f800001
	s_xor_b32 s11, exec_lo, -1
; %bb.2923:                             ;   in Loop: Header=BB6_143 Depth=2
	s_or_b32 exec_lo, exec_lo, s28
	s_delay_alu instid0(SALU_CYCLE_1)
	s_and_b32 s11, s11, exec_lo
	s_or_saveexec_b32 s27, s27
	v_mov_b32_e32 v57, s26
	s_xor_b32 exec_lo, exec_lo, s27
	s_cbranch_execz .LBB6_1814
.LBB6_2924:                             ;   in Loop: Header=BB6_143 Depth=2
	v_cmp_ne_u16_e32 vcc_lo, 0, v56
	v_mov_b32_e32 v57, 0
	s_and_not1_b32 s11, s11, exec_lo
	s_and_b32 s26, vcc_lo, exec_lo
	s_delay_alu instid0(SALU_CYCLE_1)
	s_or_b32 s11, s11, s26
	s_or_b32 exec_lo, exec_lo, s27
	s_and_saveexec_b32 s26, s11
	s_cbranch_execnz .LBB6_1815
	s_branch .LBB6_1816
.LBB6_2925:                             ;   in Loop: Header=BB6_143 Depth=2
	s_mov_b32 s11, -1
	s_mov_b32 s28, exec_lo
                                        ; implicit-def: $sgpr26
	v_cmpx_eq_u16_e32 0x80, v60
; %bb.2926:                             ;   in Loop: Header=BB6_143 Depth=2
	s_mov_b32 s26, 0x7f800001
	s_xor_b32 s11, exec_lo, -1
; %bb.2927:                             ;   in Loop: Header=BB6_143 Depth=2
	s_or_b32 exec_lo, exec_lo, s28
	s_delay_alu instid0(SALU_CYCLE_1)
	s_and_b32 s11, s11, exec_lo
                                        ; implicit-def: $vgpr60
	s_or_saveexec_b32 s27, s27
	v_mov_b32_e32 v59, s26
	s_xor_b32 exec_lo, exec_lo, s27
	s_cbranch_execz .LBB6_1828
.LBB6_2928:                             ;   in Loop: Header=BB6_143 Depth=2
	v_cmp_ne_u16_e32 vcc_lo, 0, v60
	v_mov_b32_e32 v59, 0
	s_and_not1_b32 s11, s11, exec_lo
	s_and_b32 s26, vcc_lo, exec_lo
	s_delay_alu instid0(SALU_CYCLE_1)
	s_or_b32 s11, s11, s26
	s_or_b32 exec_lo, exec_lo, s27
	s_and_saveexec_b32 s26, s11
	s_cbranch_execnz .LBB6_1829
	s_branch .LBB6_1830
.LBB6_2929:                             ;   in Loop: Header=BB6_143 Depth=2
	s_mov_b32 s11, -1
	s_mov_b32 s28, exec_lo
                                        ; implicit-def: $sgpr26
	v_cmpx_eq_u16_e32 0x80, v61
; %bb.2930:                             ;   in Loop: Header=BB6_143 Depth=2
	s_mov_b32 s26, 0x7f800001
	s_xor_b32 s11, exec_lo, -1
; %bb.2931:                             ;   in Loop: Header=BB6_143 Depth=2
	s_or_b32 exec_lo, exec_lo, s28
	s_delay_alu instid0(SALU_CYCLE_1)
	s_and_b32 s11, s11, exec_lo
                                        ; implicit-def: $vgpr61
	s_or_saveexec_b32 s27, s27
	v_mov_b32_e32 v60, s26
	s_xor_b32 exec_lo, exec_lo, s27
	s_cbranch_execz .LBB6_1832
.LBB6_2932:                             ;   in Loop: Header=BB6_143 Depth=2
	v_cmp_ne_u16_e32 vcc_lo, 0, v61
	v_mov_b32_e32 v60, 0
	s_and_not1_b32 s11, s11, exec_lo
	s_and_b32 s26, vcc_lo, exec_lo
	s_delay_alu instid0(SALU_CYCLE_1)
	s_or_b32 s11, s11, s26
	s_or_b32 exec_lo, exec_lo, s27
	s_and_saveexec_b32 s26, s11
	s_cbranch_execnz .LBB6_1833
	s_branch .LBB6_1834
.LBB6_2933:                             ;   in Loop: Header=BB6_143 Depth=2
	s_mov_b32 s11, -1
	s_mov_b32 s28, exec_lo
                                        ; implicit-def: $sgpr26
	v_cmpx_eq_u16_e32 0x80, v60
; %bb.2934:                             ;   in Loop: Header=BB6_143 Depth=2
	s_mov_b32 s26, 0x7f800001
	s_xor_b32 s11, exec_lo, -1
; %bb.2935:                             ;   in Loop: Header=BB6_143 Depth=2
	s_or_b32 exec_lo, exec_lo, s28
	s_delay_alu instid0(SALU_CYCLE_1)
	s_and_b32 s11, s11, exec_lo
                                        ; implicit-def: $vgpr60
	s_or_saveexec_b32 s27, s27
	v_mov_b32_e32 v59, s26
	s_xor_b32 exec_lo, exec_lo, s27
	s_cbranch_execz .LBB6_1839
.LBB6_2936:                             ;   in Loop: Header=BB6_143 Depth=2
	v_cmp_ne_u16_e32 vcc_lo, 0, v60
	v_mov_b32_e32 v59, 0
	s_and_not1_b32 s11, s11, exec_lo
	s_and_b32 s26, vcc_lo, exec_lo
	s_delay_alu instid0(SALU_CYCLE_1)
	s_or_b32 s11, s11, s26
	s_or_b32 exec_lo, exec_lo, s27
	s_and_saveexec_b32 s26, s11
	s_cbranch_execnz .LBB6_1840
	s_branch .LBB6_1841
.LBB6_2937:                             ;   in Loop: Header=BB6_143 Depth=2
	s_mov_b32 s11, -1
	s_mov_b32 s28, exec_lo
                                        ; implicit-def: $sgpr26
	v_cmpx_eq_u16_e32 0x80, v60
; %bb.2938:                             ;   in Loop: Header=BB6_143 Depth=2
	s_mov_b32 s26, 0x7f800001
	s_xor_b32 s11, exec_lo, -1
; %bb.2939:                             ;   in Loop: Header=BB6_143 Depth=2
	s_or_b32 exec_lo, exec_lo, s28
	s_delay_alu instid0(SALU_CYCLE_1)
	s_and_b32 s11, s11, exec_lo
                                        ; implicit-def: $vgpr60
	s_or_saveexec_b32 s27, s27
	v_mov_b32_e32 v58, s26
	s_xor_b32 exec_lo, exec_lo, s27
	s_cbranch_execz .LBB6_1843
.LBB6_2940:                             ;   in Loop: Header=BB6_143 Depth=2
	v_cmp_ne_u16_e32 vcc_lo, 0, v60
	v_mov_b32_e32 v58, 0
	s_and_not1_b32 s11, s11, exec_lo
	s_and_b32 s26, vcc_lo, exec_lo
	s_delay_alu instid0(SALU_CYCLE_1)
	s_or_b32 s11, s11, s26
	s_or_b32 exec_lo, exec_lo, s27
	s_and_saveexec_b32 s26, s11
	s_cbranch_execnz .LBB6_1844
	s_branch .LBB6_1845
.LBB6_2941:                             ;   in Loop: Header=BB6_143 Depth=2
	s_mov_b32 s11, -1
	s_mov_b32 s28, exec_lo
                                        ; implicit-def: $sgpr26
	v_cmpx_eq_u16_e32 0x80, v59
; %bb.2942:                             ;   in Loop: Header=BB6_143 Depth=2
	s_mov_b32 s26, 0x7f800001
	s_xor_b32 s11, exec_lo, -1
; %bb.2943:                             ;   in Loop: Header=BB6_143 Depth=2
	s_or_b32 exec_lo, exec_lo, s28
	s_delay_alu instid0(SALU_CYCLE_1)
	s_and_b32 s11, s11, exec_lo
	s_or_saveexec_b32 s27, s27
	v_mov_b32_e32 v60, s26
	s_xor_b32 exec_lo, exec_lo, s27
	s_cbranch_execz .LBB6_1857
.LBB6_2944:                             ;   in Loop: Header=BB6_143 Depth=2
	v_cmp_ne_u16_e32 vcc_lo, 0, v59
	v_mov_b32_e32 v60, 0
	s_and_not1_b32 s11, s11, exec_lo
	s_and_b32 s26, vcc_lo, exec_lo
	s_delay_alu instid0(SALU_CYCLE_1)
	s_or_b32 s11, s11, s26
	s_or_b32 exec_lo, exec_lo, s27
	s_and_saveexec_b32 s26, s11
	s_cbranch_execnz .LBB6_1858
	s_branch .LBB6_1859
.LBB6_2945:                             ;   in Loop: Header=BB6_143 Depth=2
	s_mov_b32 s11, -1
	s_mov_b32 s28, exec_lo
                                        ; implicit-def: $sgpr26
	v_cmpx_eq_u16_e32 0x80, v58
; %bb.2946:                             ;   in Loop: Header=BB6_143 Depth=2
	s_mov_b32 s26, 0x7f800001
	s_xor_b32 s11, exec_lo, -1
; %bb.2947:                             ;   in Loop: Header=BB6_143 Depth=2
	s_or_b32 exec_lo, exec_lo, s28
	s_delay_alu instid0(SALU_CYCLE_1)
	s_and_b32 s11, s11, exec_lo
	s_or_saveexec_b32 s27, s27
	v_mov_b32_e32 v61, s26
	s_xor_b32 exec_lo, exec_lo, s27
	s_cbranch_execz .LBB6_1861
.LBB6_2948:                             ;   in Loop: Header=BB6_143 Depth=2
	v_cmp_ne_u16_e32 vcc_lo, 0, v58
	v_mov_b32_e32 v61, 0
	s_and_not1_b32 s11, s11, exec_lo
	s_and_b32 s26, vcc_lo, exec_lo
	s_delay_alu instid0(SALU_CYCLE_1)
	s_or_b32 s11, s11, s26
	s_or_b32 exec_lo, exec_lo, s27
	s_and_saveexec_b32 s26, s11
	s_cbranch_execnz .LBB6_1862
	s_branch .LBB6_1863
.LBB6_2949:                             ;   in Loop: Header=BB6_143 Depth=2
	s_mov_b32 s11, -1
	s_mov_b32 s28, exec_lo
                                        ; implicit-def: $sgpr26
	v_cmpx_eq_u16_e32 0x80, v59
; %bb.2950:                             ;   in Loop: Header=BB6_143 Depth=2
	s_mov_b32 s26, 0x7f800001
	s_xor_b32 s11, exec_lo, -1
; %bb.2951:                             ;   in Loop: Header=BB6_143 Depth=2
	s_or_b32 exec_lo, exec_lo, s28
	s_delay_alu instid0(SALU_CYCLE_1)
	s_and_b32 s11, s11, exec_lo
	s_or_saveexec_b32 s27, s27
	v_mov_b32_e32 v60, s26
	s_xor_b32 exec_lo, exec_lo, s27
	s_cbranch_execz .LBB6_1868
.LBB6_2952:                             ;   in Loop: Header=BB6_143 Depth=2
	v_cmp_ne_u16_e32 vcc_lo, 0, v59
	v_mov_b32_e32 v60, 0
	s_and_not1_b32 s11, s11, exec_lo
	s_and_b32 s26, vcc_lo, exec_lo
	s_delay_alu instid0(SALU_CYCLE_1)
	s_or_b32 s11, s11, s26
	s_or_b32 exec_lo, exec_lo, s27
	s_and_saveexec_b32 s26, s11
	s_cbranch_execnz .LBB6_1869
	s_branch .LBB6_1870
.LBB6_2953:                             ;   in Loop: Header=BB6_143 Depth=2
	s_mov_b32 s11, -1
	s_mov_b32 s28, exec_lo
                                        ; implicit-def: $sgpr26
	v_cmpx_eq_u16_e32 0x80, v58
; %bb.2954:                             ;   in Loop: Header=BB6_143 Depth=2
	s_mov_b32 s26, 0x7f800001
	s_xor_b32 s11, exec_lo, -1
; %bb.2955:                             ;   in Loop: Header=BB6_143 Depth=2
	s_or_b32 exec_lo, exec_lo, s28
	s_delay_alu instid0(SALU_CYCLE_1)
	s_and_b32 s11, s11, exec_lo
	s_or_saveexec_b32 s27, s27
	v_mov_b32_e32 v16, s26
	s_xor_b32 exec_lo, exec_lo, s27
	s_cbranch_execz .LBB6_1872
.LBB6_2956:                             ;   in Loop: Header=BB6_143 Depth=2
	v_cmp_ne_u16_e32 vcc_lo, 0, v58
	v_mov_b32_e32 v16, 0
	s_and_not1_b32 s11, s11, exec_lo
	s_and_b32 s26, vcc_lo, exec_lo
	s_delay_alu instid0(SALU_CYCLE_1)
	s_or_b32 s11, s11, s26
	s_or_b32 exec_lo, exec_lo, s27
	s_and_saveexec_b32 s26, s11
	s_cbranch_execnz .LBB6_1873
	s_branch .LBB6_1874
.LBB6_2957:                             ;   in Loop: Header=BB6_143 Depth=2
	s_mov_b32 s11, -1
	s_mov_b32 s28, exec_lo
                                        ; implicit-def: $sgpr26
	v_cmpx_eq_u16_e32 0x80, v58
; %bb.2958:                             ;   in Loop: Header=BB6_143 Depth=2
	s_mov_b32 s26, 0x7f800001
	s_xor_b32 s11, exec_lo, -1
; %bb.2959:                             ;   in Loop: Header=BB6_143 Depth=2
	s_or_b32 exec_lo, exec_lo, s28
	s_delay_alu instid0(SALU_CYCLE_1)
	s_and_b32 s11, s11, exec_lo
                                        ; implicit-def: $vgpr58
	s_or_saveexec_b32 s27, s27
	v_mov_b32_e32 v16, s26
	s_xor_b32 exec_lo, exec_lo, s27
	s_cbranch_execz .LBB6_1886
.LBB6_2960:                             ;   in Loop: Header=BB6_143 Depth=2
	v_cmp_ne_u16_e32 vcc_lo, 0, v58
	v_mov_b32_e32 v16, 0
	s_and_not1_b32 s11, s11, exec_lo
	s_and_b32 s26, vcc_lo, exec_lo
	s_delay_alu instid0(SALU_CYCLE_1)
	s_or_b32 s11, s11, s26
	s_or_b32 exec_lo, exec_lo, s27
	s_and_saveexec_b32 s26, s11
	s_cbranch_execnz .LBB6_1887
	s_branch .LBB6_1888
.LBB6_2961:                             ;   in Loop: Header=BB6_143 Depth=2
	s_mov_b32 s11, -1
	s_mov_b32 s28, exec_lo
                                        ; implicit-def: $sgpr26
	v_cmpx_eq_u16_e32 0x80, v59
; %bb.2962:                             ;   in Loop: Header=BB6_143 Depth=2
	s_mov_b32 s26, 0x7f800001
	s_xor_b32 s11, exec_lo, -1
; %bb.2963:                             ;   in Loop: Header=BB6_143 Depth=2
	s_or_b32 exec_lo, exec_lo, s28
	s_delay_alu instid0(SALU_CYCLE_1)
	s_and_b32 s11, s11, exec_lo
                                        ; implicit-def: $vgpr59
	s_or_saveexec_b32 s27, s27
	v_mov_b32_e32 v58, s26
	s_xor_b32 exec_lo, exec_lo, s27
	s_cbranch_execz .LBB6_1890
.LBB6_2964:                             ;   in Loop: Header=BB6_143 Depth=2
	v_cmp_ne_u16_e32 vcc_lo, 0, v59
	v_mov_b32_e32 v58, 0
	s_and_not1_b32 s11, s11, exec_lo
	s_and_b32 s26, vcc_lo, exec_lo
	s_delay_alu instid0(SALU_CYCLE_1)
	s_or_b32 s11, s11, s26
	s_or_b32 exec_lo, exec_lo, s27
	s_and_saveexec_b32 s26, s11
	s_cbranch_execnz .LBB6_1891
	s_branch .LBB6_1892
.LBB6_2965:                             ;   in Loop: Header=BB6_143 Depth=2
	s_mov_b32 s11, -1
	s_mov_b32 s28, exec_lo
                                        ; implicit-def: $sgpr26
	v_cmpx_eq_u16_e32 0x80, v58
; %bb.2966:                             ;   in Loop: Header=BB6_143 Depth=2
	s_mov_b32 s26, 0x7f800001
	s_xor_b32 s11, exec_lo, -1
; %bb.2967:                             ;   in Loop: Header=BB6_143 Depth=2
	s_or_b32 exec_lo, exec_lo, s28
	s_delay_alu instid0(SALU_CYCLE_1)
	s_and_b32 s11, s11, exec_lo
                                        ; implicit-def: $vgpr58
	s_or_saveexec_b32 s27, s27
	v_mov_b32_e32 v16, s26
	s_xor_b32 exec_lo, exec_lo, s27
	s_cbranch_execz .LBB6_1897
.LBB6_2968:                             ;   in Loop: Header=BB6_143 Depth=2
	v_cmp_ne_u16_e32 vcc_lo, 0, v58
	v_mov_b32_e32 v16, 0
	s_and_not1_b32 s11, s11, exec_lo
	s_and_b32 s26, vcc_lo, exec_lo
	s_delay_alu instid0(SALU_CYCLE_1)
	s_or_b32 s11, s11, s26
	s_or_b32 exec_lo, exec_lo, s27
	s_and_saveexec_b32 s26, s11
	s_cbranch_execnz .LBB6_1898
	s_branch .LBB6_1899
.LBB6_2969:                             ;   in Loop: Header=BB6_143 Depth=2
	s_mov_b32 s11, -1
	s_mov_b32 s28, exec_lo
                                        ; implicit-def: $sgpr26
	v_cmpx_eq_u16_e32 0x80, v59
; %bb.2970:                             ;   in Loop: Header=BB6_143 Depth=2
	s_mov_b32 s26, 0x7f800001
	s_xor_b32 s11, exec_lo, -1
; %bb.2971:                             ;   in Loop: Header=BB6_143 Depth=2
	s_or_b32 exec_lo, exec_lo, s28
	s_delay_alu instid0(SALU_CYCLE_1)
	s_and_b32 s11, s11, exec_lo
                                        ; implicit-def: $vgpr59
	s_or_saveexec_b32 s27, s27
	v_mov_b32_e32 v58, s26
	s_xor_b32 exec_lo, exec_lo, s27
	s_cbranch_execz .LBB6_1901
.LBB6_2972:                             ;   in Loop: Header=BB6_143 Depth=2
	v_cmp_ne_u16_e32 vcc_lo, 0, v59
	v_mov_b32_e32 v58, 0
	s_and_not1_b32 s11, s11, exec_lo
	s_and_b32 s26, vcc_lo, exec_lo
	s_delay_alu instid0(SALU_CYCLE_1)
	s_or_b32 s11, s11, s26
	s_or_b32 exec_lo, exec_lo, s27
	s_and_saveexec_b32 s26, s11
	s_cbranch_execnz .LBB6_1902
	s_branch .LBB6_1903
.LBB6_2973:                             ;   in Loop: Header=BB6_143 Depth=2
	s_mov_b32 s11, -1
	s_mov_b32 s28, exec_lo
                                        ; implicit-def: $sgpr26
	v_cmpx_eq_u16_e32 0x80, v59
; %bb.2974:                             ;   in Loop: Header=BB6_143 Depth=2
	s_mov_b32 s26, 0x7f800001
	s_xor_b32 s11, exec_lo, -1
; %bb.2975:                             ;   in Loop: Header=BB6_143 Depth=2
	s_or_b32 exec_lo, exec_lo, s28
	s_delay_alu instid0(SALU_CYCLE_1)
	s_and_b32 s11, s11, exec_lo
	s_or_saveexec_b32 s27, s27
	v_mov_b32_e32 v60, s26
	s_xor_b32 exec_lo, exec_lo, s27
	s_cbranch_execz .LBB6_1915
.LBB6_2976:                             ;   in Loop: Header=BB6_143 Depth=2
	v_cmp_ne_u16_e32 vcc_lo, 0, v59
	v_mov_b32_e32 v60, 0
	s_and_not1_b32 s11, s11, exec_lo
	s_and_b32 s26, vcc_lo, exec_lo
	s_delay_alu instid0(SALU_CYCLE_1)
	s_or_b32 s11, s11, s26
	s_or_b32 exec_lo, exec_lo, s27
	s_and_saveexec_b32 s26, s11
	s_cbranch_execnz .LBB6_1916
	s_branch .LBB6_1917
.LBB6_2977:                             ;   in Loop: Header=BB6_143 Depth=2
	s_mov_b32 s11, -1
	s_mov_b32 s28, exec_lo
                                        ; implicit-def: $sgpr26
	v_cmpx_eq_u16_e32 0x80, v58
; %bb.2978:                             ;   in Loop: Header=BB6_143 Depth=2
	s_mov_b32 s26, 0x7f800001
	s_xor_b32 s11, exec_lo, -1
; %bb.2979:                             ;   in Loop: Header=BB6_143 Depth=2
	s_or_b32 exec_lo, exec_lo, s28
	s_delay_alu instid0(SALU_CYCLE_1)
	s_and_b32 s11, s11, exec_lo
	s_or_saveexec_b32 s27, s27
	v_mov_b32_e32 v61, s26
	s_xor_b32 exec_lo, exec_lo, s27
	s_cbranch_execz .LBB6_1919
.LBB6_2980:                             ;   in Loop: Header=BB6_143 Depth=2
	v_cmp_ne_u16_e32 vcc_lo, 0, v58
	v_mov_b32_e32 v61, 0
	s_and_not1_b32 s11, s11, exec_lo
	s_and_b32 s26, vcc_lo, exec_lo
	s_delay_alu instid0(SALU_CYCLE_1)
	s_or_b32 s11, s11, s26
	s_or_b32 exec_lo, exec_lo, s27
	s_and_saveexec_b32 s26, s11
	s_cbranch_execnz .LBB6_1920
	s_branch .LBB6_1921
.LBB6_2981:                             ;   in Loop: Header=BB6_143 Depth=2
	s_mov_b32 s11, -1
	s_mov_b32 s28, exec_lo
                                        ; implicit-def: $sgpr26
	v_cmpx_eq_u16_e32 0x80, v59
; %bb.2982:                             ;   in Loop: Header=BB6_143 Depth=2
	s_mov_b32 s26, 0x7f800001
	s_xor_b32 s11, exec_lo, -1
; %bb.2983:                             ;   in Loop: Header=BB6_143 Depth=2
	s_or_b32 exec_lo, exec_lo, s28
	s_delay_alu instid0(SALU_CYCLE_1)
	s_and_b32 s11, s11, exec_lo
	s_or_saveexec_b32 s27, s27
	v_mov_b32_e32 v60, s26
	s_xor_b32 exec_lo, exec_lo, s27
	s_cbranch_execz .LBB6_1926
.LBB6_2984:                             ;   in Loop: Header=BB6_143 Depth=2
	v_cmp_ne_u16_e32 vcc_lo, 0, v59
	v_mov_b32_e32 v60, 0
	s_and_not1_b32 s11, s11, exec_lo
	s_and_b32 s26, vcc_lo, exec_lo
	s_delay_alu instid0(SALU_CYCLE_1)
	s_or_b32 s11, s11, s26
	s_or_b32 exec_lo, exec_lo, s27
	s_and_saveexec_b32 s26, s11
	s_cbranch_execnz .LBB6_1927
	s_branch .LBB6_1928
.LBB6_2985:                             ;   in Loop: Header=BB6_143 Depth=2
	s_mov_b32 s11, -1
	s_mov_b32 s28, exec_lo
                                        ; implicit-def: $sgpr26
	v_cmpx_eq_u16_e32 0x80, v58
; %bb.2986:                             ;   in Loop: Header=BB6_143 Depth=2
	s_mov_b32 s26, 0x7f800001
	s_xor_b32 s11, exec_lo, -1
; %bb.2987:                             ;   in Loop: Header=BB6_143 Depth=2
	s_or_b32 exec_lo, exec_lo, s28
	s_delay_alu instid0(SALU_CYCLE_1)
	s_and_b32 s11, s11, exec_lo
	s_or_saveexec_b32 s27, s27
	v_mov_b32_e32 v59, s26
	s_xor_b32 exec_lo, exec_lo, s27
	s_cbranch_execz .LBB6_1930
.LBB6_2988:                             ;   in Loop: Header=BB6_143 Depth=2
	v_cmp_ne_u16_e32 vcc_lo, 0, v58
	v_mov_b32_e32 v59, 0
	s_and_not1_b32 s11, s11, exec_lo
	s_and_b32 s26, vcc_lo, exec_lo
	s_delay_alu instid0(SALU_CYCLE_1)
	s_or_b32 s11, s11, s26
	s_or_b32 exec_lo, exec_lo, s27
	s_and_saveexec_b32 s26, s11
	s_cbranch_execnz .LBB6_1931
	s_branch .LBB6_1932
.LBB6_2989:                             ;   in Loop: Header=BB6_143 Depth=2
	s_mov_b32 s11, -1
	s_mov_b32 s28, exec_lo
                                        ; implicit-def: $sgpr26
	v_cmpx_eq_u16_e32 0x80, v62
; %bb.2990:                             ;   in Loop: Header=BB6_143 Depth=2
	s_mov_b32 s26, 0x7f800001
	s_xor_b32 s11, exec_lo, -1
; %bb.2991:                             ;   in Loop: Header=BB6_143 Depth=2
	s_or_b32 exec_lo, exec_lo, s28
	s_delay_alu instid0(SALU_CYCLE_1)
	s_and_b32 s11, s11, exec_lo
                                        ; implicit-def: $vgpr62
	s_or_saveexec_b32 s27, s27
	v_mov_b32_e32 v61, s26
	s_xor_b32 exec_lo, exec_lo, s27
	s_cbranch_execz .LBB6_1944
.LBB6_2992:                             ;   in Loop: Header=BB6_143 Depth=2
	v_cmp_ne_u16_e32 vcc_lo, 0, v62
	v_mov_b32_e32 v61, 0
	s_and_not1_b32 s11, s11, exec_lo
	s_and_b32 s26, vcc_lo, exec_lo
	s_delay_alu instid0(SALU_CYCLE_1)
	s_or_b32 s11, s11, s26
	s_or_b32 exec_lo, exec_lo, s27
	s_and_saveexec_b32 s26, s11
	s_cbranch_execnz .LBB6_1945
	s_branch .LBB6_1946
.LBB6_2993:                             ;   in Loop: Header=BB6_143 Depth=2
	s_mov_b32 s11, -1
	s_mov_b32 s28, exec_lo
                                        ; implicit-def: $sgpr26
	v_cmpx_eq_u16_e32 0x80, v63
; %bb.2994:                             ;   in Loop: Header=BB6_143 Depth=2
	s_mov_b32 s26, 0x7f800001
	s_xor_b32 s11, exec_lo, -1
; %bb.2995:                             ;   in Loop: Header=BB6_143 Depth=2
	s_or_b32 exec_lo, exec_lo, s28
	s_delay_alu instid0(SALU_CYCLE_1)
	s_and_b32 s11, s11, exec_lo
                                        ; implicit-def: $vgpr63
	s_or_saveexec_b32 s27, s27
	v_mov_b32_e32 v62, s26
	s_xor_b32 exec_lo, exec_lo, s27
	s_cbranch_execz .LBB6_1948
.LBB6_2996:                             ;   in Loop: Header=BB6_143 Depth=2
	v_cmp_ne_u16_e32 vcc_lo, 0, v63
	v_mov_b32_e32 v62, 0
	s_and_not1_b32 s11, s11, exec_lo
	s_and_b32 s26, vcc_lo, exec_lo
	s_delay_alu instid0(SALU_CYCLE_1)
	s_or_b32 s11, s11, s26
	s_or_b32 exec_lo, exec_lo, s27
	s_and_saveexec_b32 s26, s11
	s_cbranch_execnz .LBB6_1949
	s_branch .LBB6_1950
.LBB6_2997:                             ;   in Loop: Header=BB6_143 Depth=2
	s_mov_b32 s11, -1
	s_mov_b32 s28, exec_lo
                                        ; implicit-def: $sgpr26
	v_cmpx_eq_u16_e32 0x80, v62
; %bb.2998:                             ;   in Loop: Header=BB6_143 Depth=2
	s_mov_b32 s26, 0x7f800001
	s_xor_b32 s11, exec_lo, -1
; %bb.2999:                             ;   in Loop: Header=BB6_143 Depth=2
	s_or_b32 exec_lo, exec_lo, s28
	s_delay_alu instid0(SALU_CYCLE_1)
	s_and_b32 s11, s11, exec_lo
                                        ; implicit-def: $vgpr62
	s_or_saveexec_b32 s27, s27
	v_mov_b32_e32 v61, s26
	s_xor_b32 exec_lo, exec_lo, s27
	s_cbranch_execz .LBB6_1955
.LBB6_3000:                             ;   in Loop: Header=BB6_143 Depth=2
	v_cmp_ne_u16_e32 vcc_lo, 0, v62
	v_mov_b32_e32 v61, 0
	s_and_not1_b32 s11, s11, exec_lo
	s_and_b32 s26, vcc_lo, exec_lo
	s_delay_alu instid0(SALU_CYCLE_1)
	s_or_b32 s11, s11, s26
	s_or_b32 exec_lo, exec_lo, s27
	s_and_saveexec_b32 s26, s11
	s_cbranch_execnz .LBB6_1956
	s_branch .LBB6_1957
.LBB6_3001:                             ;   in Loop: Header=BB6_143 Depth=2
	s_mov_b32 s11, -1
	s_mov_b32 s28, exec_lo
                                        ; implicit-def: $sgpr26
	v_cmpx_eq_u16_e32 0x80, v62
; %bb.3002:                             ;   in Loop: Header=BB6_143 Depth=2
	s_mov_b32 s26, 0x7f800001
	s_xor_b32 s11, exec_lo, -1
; %bb.3003:                             ;   in Loop: Header=BB6_143 Depth=2
	s_or_b32 exec_lo, exec_lo, s28
	s_delay_alu instid0(SALU_CYCLE_1)
	s_and_b32 s11, s11, exec_lo
                                        ; implicit-def: $vgpr62
	s_or_saveexec_b32 s27, s27
	v_mov_b32_e32 v60, s26
	s_xor_b32 exec_lo, exec_lo, s27
	s_cbranch_execz .LBB6_1959
.LBB6_3004:                             ;   in Loop: Header=BB6_143 Depth=2
	v_cmp_ne_u16_e32 vcc_lo, 0, v62
	v_mov_b32_e32 v60, 0
	s_and_not1_b32 s11, s11, exec_lo
	s_and_b32 s26, vcc_lo, exec_lo
	s_delay_alu instid0(SALU_CYCLE_1)
	s_or_b32 s11, s11, s26
	s_or_b32 exec_lo, exec_lo, s27
	s_and_saveexec_b32 s26, s11
	s_cbranch_execnz .LBB6_1960
	s_branch .LBB6_1961
.LBB6_3005:                             ;   in Loop: Header=BB6_143 Depth=2
	s_mov_b32 s11, -1
	s_mov_b32 s28, exec_lo
                                        ; implicit-def: $sgpr26
	v_cmpx_eq_u16_e32 0x80, v61
; %bb.3006:                             ;   in Loop: Header=BB6_143 Depth=2
	s_mov_b32 s26, 0x7f800001
	s_xor_b32 s11, exec_lo, -1
; %bb.3007:                             ;   in Loop: Header=BB6_143 Depth=2
	s_or_b32 exec_lo, exec_lo, s28
	s_delay_alu instid0(SALU_CYCLE_1)
	s_and_b32 s11, s11, exec_lo
	s_or_saveexec_b32 s27, s27
	v_mov_b32_e32 v62, s26
	s_xor_b32 exec_lo, exec_lo, s27
	s_cbranch_execz .LBB6_1973
.LBB6_3008:                             ;   in Loop: Header=BB6_143 Depth=2
	v_cmp_ne_u16_e32 vcc_lo, 0, v61
	v_mov_b32_e32 v62, 0
	s_and_not1_b32 s11, s11, exec_lo
	s_and_b32 s26, vcc_lo, exec_lo
	s_delay_alu instid0(SALU_CYCLE_1)
	s_or_b32 s11, s11, s26
	s_or_b32 exec_lo, exec_lo, s27
	s_and_saveexec_b32 s26, s11
	s_cbranch_execnz .LBB6_1974
	s_branch .LBB6_1975
.LBB6_3009:                             ;   in Loop: Header=BB6_143 Depth=2
	s_mov_b32 s11, -1
	s_mov_b32 s28, exec_lo
                                        ; implicit-def: $sgpr26
	v_cmpx_eq_u16_e32 0x80, v60
; %bb.3010:                             ;   in Loop: Header=BB6_143 Depth=2
	s_mov_b32 s26, 0x7f800001
	s_xor_b32 s11, exec_lo, -1
; %bb.3011:                             ;   in Loop: Header=BB6_143 Depth=2
	s_or_b32 exec_lo, exec_lo, s28
	s_delay_alu instid0(SALU_CYCLE_1)
	s_and_b32 s11, s11, exec_lo
	s_or_saveexec_b32 s27, s27
	v_mov_b32_e32 v63, s26
	s_xor_b32 exec_lo, exec_lo, s27
	s_cbranch_execz .LBB6_1977
.LBB6_3012:                             ;   in Loop: Header=BB6_143 Depth=2
	v_cmp_ne_u16_e32 vcc_lo, 0, v60
	v_mov_b32_e32 v63, 0
	s_and_not1_b32 s11, s11, exec_lo
	s_and_b32 s26, vcc_lo, exec_lo
	s_delay_alu instid0(SALU_CYCLE_1)
	s_or_b32 s11, s11, s26
	s_or_b32 exec_lo, exec_lo, s27
	s_and_saveexec_b32 s26, s11
	s_cbranch_execnz .LBB6_1978
	s_branch .LBB6_1979
.LBB6_3013:                             ;   in Loop: Header=BB6_143 Depth=2
	s_mov_b32 s11, -1
	s_mov_b32 s28, exec_lo
                                        ; implicit-def: $sgpr26
	v_cmpx_eq_u16_e32 0x80, v61
; %bb.3014:                             ;   in Loop: Header=BB6_143 Depth=2
	s_mov_b32 s26, 0x7f800001
	s_xor_b32 s11, exec_lo, -1
; %bb.3015:                             ;   in Loop: Header=BB6_143 Depth=2
	s_or_b32 exec_lo, exec_lo, s28
	s_delay_alu instid0(SALU_CYCLE_1)
	s_and_b32 s11, s11, exec_lo
	s_or_saveexec_b32 s27, s27
	v_mov_b32_e32 v62, s26
	s_xor_b32 exec_lo, exec_lo, s27
	s_cbranch_execz .LBB6_1984
.LBB6_3016:                             ;   in Loop: Header=BB6_143 Depth=2
	v_cmp_ne_u16_e32 vcc_lo, 0, v61
	v_mov_b32_e32 v62, 0
	s_and_not1_b32 s11, s11, exec_lo
	s_and_b32 s26, vcc_lo, exec_lo
	s_delay_alu instid0(SALU_CYCLE_1)
	s_or_b32 s11, s11, s26
	s_or_b32 exec_lo, exec_lo, s27
	s_and_saveexec_b32 s26, s11
	s_cbranch_execnz .LBB6_1985
	s_branch .LBB6_1986
.LBB6_3017:                             ;   in Loop: Header=BB6_143 Depth=2
	s_mov_b32 s11, -1
	s_mov_b32 s28, exec_lo
                                        ; implicit-def: $sgpr26
	v_cmpx_eq_u16_e32 0x80, v60
; %bb.3018:                             ;   in Loop: Header=BB6_143 Depth=2
	s_mov_b32 s26, 0x7f800001
	s_xor_b32 s11, exec_lo, -1
; %bb.3019:                             ;   in Loop: Header=BB6_143 Depth=2
	s_or_b32 exec_lo, exec_lo, s28
	s_delay_alu instid0(SALU_CYCLE_1)
	s_and_b32 s11, s11, exec_lo
	s_or_saveexec_b32 s27, s27
	v_mov_b32_e32 v17, s26
	s_xor_b32 exec_lo, exec_lo, s27
	s_cbranch_execz .LBB6_1988
.LBB6_3020:                             ;   in Loop: Header=BB6_143 Depth=2
	v_cmp_ne_u16_e32 vcc_lo, 0, v60
	v_mov_b32_e32 v17, 0
	s_and_not1_b32 s11, s11, exec_lo
	s_and_b32 s26, vcc_lo, exec_lo
	s_delay_alu instid0(SALU_CYCLE_1)
	s_or_b32 s11, s11, s26
	s_or_b32 exec_lo, exec_lo, s27
	s_and_saveexec_b32 s26, s11
	s_cbranch_execnz .LBB6_1989
	s_branch .LBB6_1990
.LBB6_3021:                             ;   in Loop: Header=BB6_53 Depth=1
	s_or_b32 exec_lo, exec_lo, s24
.LBB6_3022:                             ;   in Loop: Header=BB6_53 Depth=1
	s_delay_alu instid0(SALU_CYCLE_1) | instskip(SKIP_3) | instid1(VALU_DEP_1)
	s_or_b32 exec_lo, exec_lo, s12
	v_dual_mov_b32 v16, 0 :: v_dual_and_b32 v11, 0x3ffff800, v87
	s_mov_b32 s11, 0
	s_mov_b32 s24, exec_lo
                                        ; implicit-def: $vgpr17
                                        ; implicit-def: $vgpr18
                                        ; implicit-def: $vgpr10
	v_cmpx_ne_u32_e64 v11, v87
	s_cbranch_execz .LBB6_3751
; %bb.3023:                             ;   in Loop: Header=BB6_53 Depth=1
	v_lshlrev_b32_e32 v10, 5, v146
	v_bfe_u32 v15, v87, 9, 2
	s_mov_b32 s25, exec_lo
	s_delay_alu instid0(VALU_DEP_2) | instskip(NEXT) | instid1(VALU_DEP_1)
	v_sub_nc_u32_e32 v10, v118, v10
	v_ashrrev_i32_e32 v12, 31, v10
	s_delay_alu instid0(VALU_DEP_1) | instskip(NEXT) | instid1(VALU_DEP_1)
	v_lshrrev_b32_e32 v12, 27, v12
	v_add_nc_u32_e32 v12, v10, v12
	s_delay_alu instid0(VALU_DEP_1) | instskip(SKIP_1) | instid1(VALU_DEP_2)
	v_and_b32_e32 v13, 0xffffffe0, v12
	v_ashrrev_i32_e32 v12, 5, v12
	v_sub_nc_u32_e32 v24, v10, v13
	v_and_b32_e32 v13, 0x7ff, v87
	v_and_b32_e32 v10, 0x600, v87
	s_delay_alu instid0(VALU_DEP_3) | instskip(NEXT) | instid1(VALU_DEP_2)
	v_lshlrev_b32_e32 v14, 4, v24
	v_sub_nc_u32_e32 v25, v13, v10
	s_delay_alu instid0(VALU_DEP_2) | instskip(NEXT) | instid1(VALU_DEP_2)
	v_lshl_add_u32 v10, v12, 9, v14
	v_cmp_lt_i32_e64 s11, 15, v25
	s_delay_alu instid0(VALU_DEP_2) | instskip(NEXT) | instid1(VALU_DEP_2)
	v_sub_nc_u32_e32 v27, v13, v10
	v_add_co_ci_u32_e64 v14, vcc_lo, 0, v15, s11
	s_delay_alu instid0(VALU_DEP_1) | instskip(NEXT) | instid1(VALU_DEP_3)
	v_sub_nc_u32_e32 v26, v14, v12
	v_cmpx_lt_i32_e32 15, v27
	s_cbranch_execz .LBB6_3748
; %bb.3024:                             ;   in Loop: Header=BB6_53 Depth=1
	s_cbranch_execz .LBB6_3025
; %bb.11193:
	s_getpc_b64 s[34:35]
.Lpost_getpc115:
	s_add_u32 s34, s34, (.LBB6_11083-.Lpost_getpc115)&4294967295
	s_addc_u32 s35, s35, (.LBB6_11083-.Lpost_getpc115)>>32
	s_setpc_b64 s[34:35]
.LBB6_3025:                             ;   in Loop: Header=BB6_53 Depth=1
	ds_load_b128 v[12:15], v0
	ds_load_b64 v[16:17], v0
	v_add_nc_u32_e32 v10, v10, v11
	s_bitcmp1_b32 s23, 0
	s_mov_b32 s26, 0
	s_cselect_b32 s27, -1, 0
	s_delay_alu instid0(VALU_DEP_1) | instskip(SKIP_3) | instid1(VALU_DEP_2)
	v_ashrrev_i32_e32 v11, 31, v10
	s_waitcnt lgkmcnt(1)
	v_add_co_u32 v18, vcc_lo, v12, v10
	s_waitcnt vmcnt(0)
	v_add_co_ci_u32_e32 v19, vcc_lo, v13, v11, vcc_lo
	v_add_co_u32 v20, vcc_lo, v14, v10
	v_add_co_ci_u32_e32 v21, vcc_lo, v15, v11, vcc_lo
	s_waitcnt lgkmcnt(0)
	v_add_co_u32 v22, vcc_lo, v16, v10
	v_add_co_ci_u32_e32 v23, vcc_lo, v17, v11, vcc_lo
	s_branch .LBB6_3029
.LBB6_3026:                             ;   in Loop: Header=BB6_3029 Depth=2
	s_or_b32 exec_lo, exec_lo, s12
	s_delay_alu instid0(VALU_DEP_1) | instskip(NEXT) | instid1(VALU_DEP_2)
	v_lshrrev_b32_e32 v17, 20, v17
	v_min_i32_e32 v39, 15, v13
	v_cmp_gt_i32_e32 vcc_lo, 16, v13
	v_lshrrev_b32_e32 v48, 24, v49
	s_delay_alu instid0(VALU_DEP_3) | instskip(NEXT) | instid1(VALU_DEP_2)
	v_lshlrev_b32_e32 v39, 3, v39
	v_dual_cndmask_b32 v17, 7, v17 :: v_dual_and_b32 v48, 0x80, v48
	s_delay_alu instid0(VALU_DEP_2) | instskip(NEXT) | instid1(VALU_DEP_2)
	v_and_b32_e32 v39, 0xf8, v39
	v_and_b32_e32 v49, 7, v17
	v_or_b32_e32 v13, v13, v17
	s_delay_alu instid0(VALU_DEP_2) | instskip(NEXT) | instid1(VALU_DEP_2)
	v_or3_b32 v39, v48, v39, v49
	v_cmp_ne_u32_e32 vcc_lo, 0, v13
	s_delay_alu instid0(VALU_DEP_2) | instskip(NEXT) | instid1(VALU_DEP_1)
	v_lshlrev_b32_e32 v17, 8, v39
	v_cndmask_b32_e32 v13, 0, v17, vcc_lo
.LBB6_3027:                             ;   in Loop: Header=BB6_3029 Depth=2
	s_or_b32 exec_lo, exec_lo, s29
.LBB6_3028:                             ;   in Loop: Header=BB6_3029 Depth=2
	s_delay_alu instid0(SALU_CYCLE_1)
	s_or_b32 exec_lo, exec_lo, s28
	v_lshlrev_b32_e32 v17, 8, v33
	v_and_b32_e32 v32, 0xff, v32
	v_or_b32_e32 v11, v11, v34
	v_lshlrev_b32_e32 v29, 8, v29
	v_lshlrev_b32_e32 v33, 8, v35
	v_perm_b32 v14, v17, v14, 0xc0c0500
	v_lshlrev_b32_e32 v17, 16, v32
	v_and_b32_e32 v32, 0xff, v36
	v_lshlrev_b32_e32 v34, 8, v37
	v_lshlrev_b32_e32 v10, 24, v10
	v_perm_b32 v28, v29, v28, 0xc0c0500
	v_lshlrev_b32_e32 v12, 24, v12
	v_lshlrev_b32_e32 v29, 16, v32
	v_perm_b32 v15, v33, v15, 0xc0c0500
	v_perm_b32 v16, v34, v16, 0xc0c0500
	v_or_b32_e32 v13, v13, v38
	v_add_co_u32 v18, vcc_lo, v18, v131
	v_lshl_or_b32 v11, v11, 16, v14
	v_or3_b32 v10, v10, v17, v28
	v_or3_b32 v12, v12, v29, v15
	v_lshl_or_b32 v13, v13, 16, v16
	v_sub_nc_u32_e32 v27, v27, v117
	v_add_co_ci_u32_e32 v19, vcc_lo, v19, v132, vcc_lo
	v_add_co_u32 v20, vcc_lo, v20, v131
	v_add_co_ci_u32_e32 v21, vcc_lo, v21, v132, vcc_lo
	global_store_b128 v[22:23], v[10:13], off glc slc dlc
	v_cmp_gt_i32_e32 vcc_lo, 16, v27
	v_add_co_u32 v22, s12, v22, v131
	s_delay_alu instid0(VALU_DEP_1) | instskip(SKIP_2) | instid1(SALU_CYCLE_1)
	v_add_co_ci_u32_e64 v23, s12, v23, v132, s12
	v_sub_nc_u32_e32 v26, v26, v115
	s_or_b32 s26, vcc_lo, s26
	s_and_not1_b32 exec_lo, exec_lo, s26
	s_cbranch_execz .LBB6_3747
.LBB6_3029:                             ;   Parent Loop BB6_53 Depth=1
                                        ; =>  This Inner Loop Header: Depth=2
	global_load_b128 v[14:17], v[18:19], off slc dlc
	global_load_b128 v[10:13], v[20:21], off slc dlc
	s_and_b32 vcc_lo, exec_lo, s27
	s_waitcnt vmcnt(1)
	v_and_b32_e32 v28, 0xff, v14
	s_delay_alu instid0(VALU_DEP_1)
	v_cmp_lt_i16_e64 s12, 0x7f, v28
	s_cbranch_vccz .LBB6_3039
; %bb.3030:                             ;   in Loop: Header=BB6_3029 Depth=2
	s_mov_b32 s28, 0
                                        ; implicit-def: $sgpr29
	s_delay_alu instid0(VALU_DEP_1) | instskip(NEXT) | instid1(SALU_CYCLE_1)
	s_and_saveexec_b32 vcc_lo, s12
	s_xor_b32 s12, exec_lo, vcc_lo
	s_cbranch_execnz .LBB6_3491
; %bb.3031:                             ;   in Loop: Header=BB6_3029 Depth=2
	s_or_saveexec_b32 s12, s12
	v_mov_b32_e32 v29, s29
	s_xor_b32 exec_lo, exec_lo, s12
	s_cbranch_execnz .LBB6_3494
.LBB6_3032:                             ;   in Loop: Header=BB6_3029 Depth=2
	s_or_b32 exec_lo, exec_lo, s12
	s_and_saveexec_b32 s12, s28
	s_cbranch_execz .LBB6_3034
.LBB6_3033:                             ;   in Loop: Header=BB6_3029 Depth=2
	v_bfe_u32 v34, v14, 3, 4
	v_lshlrev_b32_e32 v35, 24, v14
	s_delay_alu instid0(VALU_DEP_2) | instskip(SKIP_1) | instid1(VALU_DEP_1)
	v_cmp_eq_u32_e32 vcc_lo, 0, v34
	v_and_b32_e32 v29, 7, v14
	v_clz_i32_u32_e32 v32, v29
	s_delay_alu instid0(VALU_DEP_1) | instskip(NEXT) | instid1(VALU_DEP_1)
	v_min_u32_e32 v32, 32, v32
	v_subrev_nc_u32_e32 v33, 28, v32
	v_sub_nc_u32_e32 v32, 29, v32
	s_delay_alu instid0(VALU_DEP_1) | instskip(NEXT) | instid1(VALU_DEP_1)
	v_dual_cndmask_b32 v32, v34, v32 :: v_dual_lshlrev_b32 v33, v33, v14
	v_and_b32_e32 v33, 7, v33
	s_delay_alu instid0(VALU_DEP_2) | instskip(NEXT) | instid1(VALU_DEP_2)
	v_lshl_add_u32 v32, v32, 23, 0x3b800000
	v_cndmask_b32_e32 v29, v29, v33, vcc_lo
	v_and_b32_e32 v33, 0x80000000, v35
	s_delay_alu instid0(VALU_DEP_2) | instskip(NEXT) | instid1(VALU_DEP_1)
	v_lshlrev_b32_e32 v29, 20, v29
	v_or3_b32 v29, v33, v32, v29
.LBB6_3034:                             ;   in Loop: Header=BB6_3029 Depth=2
	s_or_b32 exec_lo, exec_lo, s12
	s_waitcnt vmcnt(0)
	v_and_b32_e32 v33, 0xff, v10
	s_mov_b32 s12, 0
	s_mov_b32 s29, exec_lo
                                        ; implicit-def: $sgpr28
	s_delay_alu instid0(VALU_DEP_1)
	v_cmpx_lt_i16_e32 0x7f, v33
	s_xor_b32 s29, exec_lo, s29
	s_cbranch_execnz .LBB6_3495
; %bb.3035:                             ;   in Loop: Header=BB6_3029 Depth=2
	s_or_saveexec_b32 s29, s29
	v_mov_b32_e32 v32, s28
	s_xor_b32 exec_lo, exec_lo, s29
	s_cbranch_execnz .LBB6_3498
.LBB6_3036:                             ;   in Loop: Header=BB6_3029 Depth=2
	s_or_b32 exec_lo, exec_lo, s29
	s_and_saveexec_b32 s28, s12
	s_cbranch_execz .LBB6_3038
.LBB6_3037:                             ;   in Loop: Header=BB6_3029 Depth=2
	v_bfe_u32 v35, v10, 3, 4
	v_lshlrev_b32_e32 v36, 24, v10
	s_delay_alu instid0(VALU_DEP_2) | instskip(SKIP_1) | instid1(VALU_DEP_1)
	v_cmp_eq_u32_e32 vcc_lo, 0, v35
	v_and_b32_e32 v32, 7, v10
	v_clz_i32_u32_e32 v33, v32
	s_delay_alu instid0(VALU_DEP_1) | instskip(NEXT) | instid1(VALU_DEP_1)
	v_min_u32_e32 v33, 32, v33
	v_subrev_nc_u32_e32 v34, 28, v33
	v_sub_nc_u32_e32 v33, 29, v33
	s_delay_alu instid0(VALU_DEP_1) | instskip(NEXT) | instid1(VALU_DEP_1)
	v_dual_cndmask_b32 v33, v35, v33 :: v_dual_lshlrev_b32 v34, v34, v10
	v_and_b32_e32 v34, 7, v34
	s_delay_alu instid0(VALU_DEP_2) | instskip(NEXT) | instid1(VALU_DEP_2)
	v_lshl_add_u32 v33, v33, 23, 0x3b800000
	v_cndmask_b32_e32 v32, v32, v34, vcc_lo
	v_and_b32_e32 v34, 0x80000000, v36
	s_delay_alu instid0(VALU_DEP_2) | instskip(NEXT) | instid1(VALU_DEP_1)
	v_lshlrev_b32_e32 v32, 20, v32
	v_or3_b32 v32, v34, v33, v32
.LBB6_3038:                             ;   in Loop: Header=BB6_3029 Depth=2
	s_or_b32 exec_lo, exec_lo, s28
	s_delay_alu instid0(VALU_DEP_1) | instskip(SKIP_1) | instid1(VALU_DEP_1)
	v_dual_max_f32 v32, v32, v32 :: v_dual_max_f32 v29, v29, v29
	s_mov_b32 s12, 0
	v_max_f32_e32 v29, v29, v32
	s_branch .LBB6_3040
.LBB6_3039:                             ;   in Loop: Header=BB6_3029 Depth=2
	s_mov_b32 s12, -1
                                        ; implicit-def: $vgpr29
.LBB6_3040:                             ;   in Loop: Header=BB6_3029 Depth=2
	s_delay_alu instid0(SALU_CYCLE_1)
	s_and_b32 vcc_lo, exec_lo, s12
	s_cbranch_vccz .LBB6_3050
; %bb.3041:                             ;   in Loop: Header=BB6_3029 Depth=2
	s_mov_b32 s12, 0
	s_mov_b32 s29, exec_lo
                                        ; implicit-def: $sgpr28
	v_cmpx_lt_i16_e32 0x7f, v28
	s_xor_b32 s29, exec_lo, s29
	s_cbranch_execnz .LBB6_3499
; %bb.3042:                             ;   in Loop: Header=BB6_3029 Depth=2
	s_or_saveexec_b32 s29, s29
	v_mov_b32_e32 v29, s28
	s_xor_b32 exec_lo, exec_lo, s29
	s_cbranch_execnz .LBB6_3502
.LBB6_3043:                             ;   in Loop: Header=BB6_3029 Depth=2
	s_or_b32 exec_lo, exec_lo, s29
	s_and_saveexec_b32 s28, s12
	s_cbranch_execz .LBB6_3045
.LBB6_3044:                             ;   in Loop: Header=BB6_3029 Depth=2
	v_bfe_u32 v33, v14, 3, 4
	v_lshlrev_b32_e32 v34, 24, v14
	s_delay_alu instid0(VALU_DEP_2) | instskip(SKIP_1) | instid1(VALU_DEP_1)
	v_cmp_eq_u32_e32 vcc_lo, 0, v33
	v_and_b32_e32 v28, 7, v14
	v_clz_i32_u32_e32 v29, v28
	s_delay_alu instid0(VALU_DEP_1) | instskip(NEXT) | instid1(VALU_DEP_1)
	v_min_u32_e32 v29, 32, v29
	v_subrev_nc_u32_e32 v32, 28, v29
	v_sub_nc_u32_e32 v29, 29, v29
	s_delay_alu instid0(VALU_DEP_1) | instskip(NEXT) | instid1(VALU_DEP_1)
	v_dual_cndmask_b32 v29, v33, v29 :: v_dual_lshlrev_b32 v32, v32, v14
	v_and_b32_e32 v32, 7, v32
	s_delay_alu instid0(VALU_DEP_2) | instskip(NEXT) | instid1(VALU_DEP_2)
	v_lshl_add_u32 v29, v29, 23, 0x3b800000
	v_cndmask_b32_e32 v28, v28, v32, vcc_lo
	v_and_b32_e32 v32, 0x80000000, v34
	s_delay_alu instid0(VALU_DEP_2) | instskip(NEXT) | instid1(VALU_DEP_1)
	v_lshlrev_b32_e32 v28, 20, v28
	v_or3_b32 v29, v32, v29, v28
.LBB6_3045:                             ;   in Loop: Header=BB6_3029 Depth=2
	s_or_b32 exec_lo, exec_lo, s28
	s_waitcnt vmcnt(0)
	v_and_b32_e32 v32, 0xff, v10
	s_mov_b32 s12, 0
	s_mov_b32 s29, exec_lo
                                        ; implicit-def: $sgpr28
	s_delay_alu instid0(VALU_DEP_1)
	v_cmpx_lt_i16_e32 0x7f, v32
	s_xor_b32 s29, exec_lo, s29
	s_cbranch_execnz .LBB6_3503
; %bb.3046:                             ;   in Loop: Header=BB6_3029 Depth=2
	s_or_saveexec_b32 s29, s29
	v_mov_b32_e32 v28, s28
	s_xor_b32 exec_lo, exec_lo, s29
	s_cbranch_execnz .LBB6_3506
.LBB6_3047:                             ;   in Loop: Header=BB6_3029 Depth=2
	s_or_b32 exec_lo, exec_lo, s29
	s_and_saveexec_b32 s28, s12
	s_cbranch_execz .LBB6_3049
.LBB6_3048:                             ;   in Loop: Header=BB6_3029 Depth=2
	v_and_b32_e32 v28, 7, v10
	v_bfe_u32 v34, v10, 3, 4
	s_delay_alu instid0(VALU_DEP_2) | instskip(NEXT) | instid1(VALU_DEP_2)
	v_clz_i32_u32_e32 v32, v28
	v_cmp_eq_u32_e32 vcc_lo, 0, v34
	s_delay_alu instid0(VALU_DEP_2) | instskip(NEXT) | instid1(VALU_DEP_1)
	v_min_u32_e32 v32, 32, v32
	v_subrev_nc_u32_e32 v33, 28, v32
	v_sub_nc_u32_e32 v32, 29, v32
	s_delay_alu instid0(VALU_DEP_1) | instskip(NEXT) | instid1(VALU_DEP_1)
	v_dual_cndmask_b32 v32, v34, v32 :: v_dual_lshlrev_b32 v33, v33, v10
	v_and_b32_e32 v33, 7, v33
	v_lshlrev_b32_e32 v35, 24, v10
	s_delay_alu instid0(VALU_DEP_3) | instskip(NEXT) | instid1(VALU_DEP_2)
	v_lshl_add_u32 v32, v32, 23, 0x3b800000
	v_dual_cndmask_b32 v28, v28, v33 :: v_dual_and_b32 v33, 0x80000000, v35
	s_delay_alu instid0(VALU_DEP_1) | instskip(NEXT) | instid1(VALU_DEP_1)
	v_lshlrev_b32_e32 v28, 20, v28
	v_or3_b32 v28, v33, v32, v28
.LBB6_3049:                             ;   in Loop: Header=BB6_3029 Depth=2
	s_or_b32 exec_lo, exec_lo, s28
	s_delay_alu instid0(VALU_DEP_1) | instskip(NEXT) | instid1(VALU_DEP_1)
	v_dual_max_f32 v28, v28, v28 :: v_dual_max_f32 v29, v29, v29
	v_min_f32_e32 v29, v29, v28
.LBB6_3050:                             ;   in Loop: Header=BB6_3029 Depth=2
	s_delay_alu instid0(VALU_DEP_1) | instskip(NEXT) | instid1(VALU_DEP_1)
	v_and_b32_e32 v28, 0x7f800000, v29
	v_cmp_ne_u32_e32 vcc_lo, 0x7f800000, v28
	v_mov_b32_e32 v28, 0x80
	s_and_saveexec_b32 s28, vcc_lo
	s_cbranch_execz .LBB6_3058
; %bb.3051:                             ;   in Loop: Header=BB6_3029 Depth=2
	v_mov_b32_e32 v28, 0
	s_mov_b32 s29, exec_lo
	v_cmpx_ne_u32_e32 0, v29
	s_cbranch_execz .LBB6_3057
; %bb.3052:                             ;   in Loop: Header=BB6_3029 Depth=2
	v_bfe_u32 v28, v29, 23, 8
	v_and_b32_e32 v32, 0x7fffff, v29
	s_delay_alu instid0(VALU_DEP_2) | instskip(SKIP_1) | instid1(VALU_DEP_3)
	v_sub_nc_u32_e32 v33, 0x78, v28
	v_cmp_gt_u32_e32 vcc_lo, 0x79, v28
	v_or_b32_e32 v34, 0x800000, v32
	s_delay_alu instid0(VALU_DEP_3) | instskip(SKIP_2) | instid1(VALU_DEP_4)
	v_cndmask_b32_e32 v33, 0, v33, vcc_lo
	v_cmp_eq_u32_e32 vcc_lo, 0, v28
	v_add_nc_u32_e32 v28, 0xffffff89, v28
	v_cndmask_b32_e32 v32, v34, v32, vcc_lo
	s_delay_alu instid0(VALU_DEP_4) | instskip(NEXT) | instid1(VALU_DEP_3)
	v_cndmask_b32_e64 v33, v33, 0x77, vcc_lo
	v_cndmask_b32_e64 v28, v28, 0xffffff8a, vcc_lo
	s_delay_alu instid0(VALU_DEP_2) | instskip(SKIP_2) | instid1(VALU_DEP_4)
	v_lshrrev_b32_e32 v35, v33, v32
	v_lshl_add_u32 v34, 0x100000, v33, -1
	v_lshlrev_b32_e64 v37, v33, 0x80000
	v_add_nc_u32_e32 v33, v33, v28
	s_delay_alu instid0(VALU_DEP_4) | instskip(NEXT) | instid1(VALU_DEP_4)
	v_bfe_u32 v36, v35, 20, 1
	v_and_b32_e32 v32, v34, v32
	s_delay_alu instid0(VALU_DEP_2) | instskip(NEXT) | instid1(VALU_DEP_2)
	v_add_nc_u32_e32 v34, -1, v36
	v_cmp_eq_u32_e64 s12, v32, v37
	s_delay_alu instid0(VALU_DEP_1) | instskip(SKIP_2) | instid1(VALU_DEP_2)
	v_cndmask_b32_e64 v32, 0, v34, s12
	v_lshrrev_b32_e32 v34, 23, v35
	s_mov_b32 s12, exec_lo
	v_add_nc_u32_e32 v32, v32, v35
	s_delay_alu instid0(VALU_DEP_2) | instskip(NEXT) | instid1(VALU_DEP_2)
	v_xor_b32_e32 v34, 1, v34
	v_and_b32_e32 v28, 0xfffff, v32
	s_delay_alu instid0(VALU_DEP_1) | instskip(NEXT) | instid1(VALU_DEP_3)
	v_add_nc_u32_e32 v32, v28, v35
                                        ; implicit-def: $vgpr28
	v_cmpx_ne_u32_e64 v33, v34
	s_xor_b32 s12, exec_lo, s12
; %bb.3053:                             ;   in Loop: Header=BB6_3029 Depth=2
	s_delay_alu instid0(VALU_DEP_2) | instskip(SKIP_2) | instid1(VALU_DEP_2)
	v_cmp_lt_u32_e32 vcc_lo, 0xffffff, v32
	v_sub_nc_u32_e32 v28, v33, v34
	v_cndmask_b32_e64 v33, 0, 1, vcc_lo
	v_add_co_ci_u32_e32 v28, vcc_lo, 0, v28, vcc_lo
	s_delay_alu instid0(VALU_DEP_2)
	v_lshrrev_b32_e32 v32, v33, v32
; %bb.3054:                             ;   in Loop: Header=BB6_3029 Depth=2
	s_and_not1_saveexec_b32 s12, s12
; %bb.3055:                             ;   in Loop: Header=BB6_3029 Depth=2
	s_delay_alu instid0(VALU_DEP_1)
	v_bfe_u32 v28, v32, 23, 1
; %bb.3056:                             ;   in Loop: Header=BB6_3029 Depth=2
	s_or_b32 exec_lo, exec_lo, s12
	v_lshrrev_b32_e32 v32, 20, v32
	s_delay_alu instid0(VALU_DEP_2) | instskip(SKIP_2) | instid1(VALU_DEP_2)
	v_cmp_gt_i32_e32 vcc_lo, 16, v28
	v_lshrrev_b32_e32 v29, 24, v29
	v_min_i32_e32 v33, 15, v28
	v_dual_cndmask_b32 v32, 7, v32 :: v_dual_and_b32 v29, 0x80, v29
	s_delay_alu instid0(VALU_DEP_2) | instskip(NEXT) | instid1(VALU_DEP_2)
	v_lshlrev_b32_e32 v33, 3, v33
	v_and_b32_e32 v34, 7, v32
	v_or_b32_e32 v28, v28, v32
	s_delay_alu instid0(VALU_DEP_2) | instskip(NEXT) | instid1(VALU_DEP_2)
	v_or3_b32 v29, v33, v29, v34
	v_cmp_ne_u32_e32 vcc_lo, 0, v28
	s_delay_alu instid0(VALU_DEP_2)
	v_cndmask_b32_e32 v28, 0, v29, vcc_lo
.LBB6_3057:                             ;   in Loop: Header=BB6_3029 Depth=2
	s_or_b32 exec_lo, exec_lo, s29
.LBB6_3058:                             ;   in Loop: Header=BB6_3029 Depth=2
	s_delay_alu instid0(SALU_CYCLE_1) | instskip(SKIP_4) | instid1(VALU_DEP_2)
	s_or_b32 exec_lo, exec_lo, s28
	v_lshrrev_b16 v32, 8, v14
	s_waitcnt vmcnt(0)
	v_lshrrev_b16 v29, 8, v10
	s_and_b32 vcc_lo, exec_lo, s27
	v_cmp_lt_i16_e64 s12, 0x7f, v32
	s_cbranch_vccz .LBB6_3068
; %bb.3059:                             ;   in Loop: Header=BB6_3029 Depth=2
	s_mov_b32 s28, 0
                                        ; implicit-def: $sgpr29
	s_delay_alu instid0(VALU_DEP_1) | instskip(NEXT) | instid1(SALU_CYCLE_1)
	s_and_saveexec_b32 vcc_lo, s12
	s_xor_b32 s12, exec_lo, vcc_lo
	s_cbranch_execnz .LBB6_3507
; %bb.3060:                             ;   in Loop: Header=BB6_3029 Depth=2
	s_or_saveexec_b32 s12, s12
	v_mov_b32_e32 v33, s29
	s_xor_b32 exec_lo, exec_lo, s12
	s_cbranch_execnz .LBB6_3510
.LBB6_3061:                             ;   in Loop: Header=BB6_3029 Depth=2
	s_or_b32 exec_lo, exec_lo, s12
	s_and_saveexec_b32 s12, s28
	s_cbranch_execz .LBB6_3063
.LBB6_3062:                             ;   in Loop: Header=BB6_3029 Depth=2
	v_and_b32_e32 v33, 0xffff, v32
	s_delay_alu instid0(VALU_DEP_1) | instskip(NEXT) | instid1(VALU_DEP_1)
	v_and_b32_e32 v34, 7, v33
	v_clz_i32_u32_e32 v35, v34
	s_delay_alu instid0(VALU_DEP_1) | instskip(NEXT) | instid1(VALU_DEP_1)
	v_min_u32_e32 v35, 32, v35
	v_subrev_nc_u32_e32 v36, 28, v35
	v_sub_nc_u32_e32 v35, 29, v35
	s_delay_alu instid0(VALU_DEP_2) | instskip(SKIP_1) | instid1(VALU_DEP_2)
	v_lshlrev_b32_e32 v36, v36, v33
	v_bfe_u32 v33, v33, 3, 4
	v_and_b32_e32 v36, 7, v36
	s_delay_alu instid0(VALU_DEP_2) | instskip(SKIP_1) | instid1(VALU_DEP_3)
	v_cmp_eq_u32_e32 vcc_lo, 0, v33
	v_cndmask_b32_e32 v33, v33, v35, vcc_lo
	v_dual_cndmask_b32 v34, v34, v36 :: v_dual_lshlrev_b32 v37, 16, v14
	s_delay_alu instid0(VALU_DEP_2) | instskip(NEXT) | instid1(VALU_DEP_2)
	v_lshl_add_u32 v33, v33, 23, 0x3b800000
	v_and_b32_e32 v35, 0x80000000, v37
	s_delay_alu instid0(VALU_DEP_3) | instskip(NEXT) | instid1(VALU_DEP_1)
	v_lshlrev_b32_e32 v34, 20, v34
	v_or3_b32 v33, v35, v33, v34
.LBB6_3063:                             ;   in Loop: Header=BB6_3029 Depth=2
	s_or_b32 exec_lo, exec_lo, s12
	s_mov_b32 s12, 0
	s_mov_b32 s29, exec_lo
                                        ; implicit-def: $sgpr28
	v_cmpx_lt_i16_e32 0x7f, v29
	s_xor_b32 s29, exec_lo, s29
	s_cbranch_execnz .LBB6_3511
; %bb.3064:                             ;   in Loop: Header=BB6_3029 Depth=2
	s_or_saveexec_b32 s29, s29
	v_mov_b32_e32 v34, s28
	s_xor_b32 exec_lo, exec_lo, s29
	s_cbranch_execnz .LBB6_3514
.LBB6_3065:                             ;   in Loop: Header=BB6_3029 Depth=2
	s_or_b32 exec_lo, exec_lo, s29
	s_and_saveexec_b32 s28, s12
	s_cbranch_execz .LBB6_3067
.LBB6_3066:                             ;   in Loop: Header=BB6_3029 Depth=2
	v_and_b32_e32 v34, 0xffff, v29
	s_delay_alu instid0(VALU_DEP_1) | instskip(NEXT) | instid1(VALU_DEP_1)
	v_and_b32_e32 v35, 7, v34
	v_clz_i32_u32_e32 v36, v35
	s_delay_alu instid0(VALU_DEP_1) | instskip(NEXT) | instid1(VALU_DEP_1)
	v_min_u32_e32 v36, 32, v36
	v_subrev_nc_u32_e32 v37, 28, v36
	v_sub_nc_u32_e32 v36, 29, v36
	s_delay_alu instid0(VALU_DEP_2) | instskip(SKIP_1) | instid1(VALU_DEP_2)
	v_lshlrev_b32_e32 v37, v37, v34
	v_bfe_u32 v34, v34, 3, 4
	v_and_b32_e32 v37, 7, v37
	s_delay_alu instid0(VALU_DEP_2) | instskip(SKIP_1) | instid1(VALU_DEP_3)
	v_cmp_eq_u32_e32 vcc_lo, 0, v34
	v_cndmask_b32_e32 v34, v34, v36, vcc_lo
	v_dual_cndmask_b32 v35, v35, v37 :: v_dual_lshlrev_b32 v38, 16, v10
	s_delay_alu instid0(VALU_DEP_2) | instskip(NEXT) | instid1(VALU_DEP_2)
	v_lshl_add_u32 v34, v34, 23, 0x3b800000
	v_and_b32_e32 v36, 0x80000000, v38
	s_delay_alu instid0(VALU_DEP_3) | instskip(NEXT) | instid1(VALU_DEP_1)
	v_lshlrev_b32_e32 v35, 20, v35
	v_or3_b32 v34, v36, v34, v35
.LBB6_3067:                             ;   in Loop: Header=BB6_3029 Depth=2
	s_or_b32 exec_lo, exec_lo, s28
	s_delay_alu instid0(VALU_DEP_1) | instskip(SKIP_1) | instid1(VALU_DEP_1)
	v_dual_max_f32 v34, v34, v34 :: v_dual_max_f32 v33, v33, v33
	s_mov_b32 s12, 0
	v_max_f32_e32 v33, v33, v34
	s_branch .LBB6_3069
.LBB6_3068:                             ;   in Loop: Header=BB6_3029 Depth=2
	s_mov_b32 s12, -1
                                        ; implicit-def: $vgpr33
.LBB6_3069:                             ;   in Loop: Header=BB6_3029 Depth=2
	s_delay_alu instid0(SALU_CYCLE_1)
	s_and_b32 vcc_lo, exec_lo, s12
	s_cbranch_vccz .LBB6_3079
; %bb.3070:                             ;   in Loop: Header=BB6_3029 Depth=2
	s_mov_b32 s12, 0
	s_mov_b32 s29, exec_lo
                                        ; implicit-def: $sgpr28
	v_cmpx_lt_i16_e32 0x7f, v32
	s_xor_b32 s29, exec_lo, s29
	s_cbranch_execnz .LBB6_3515
; %bb.3071:                             ;   in Loop: Header=BB6_3029 Depth=2
	s_or_saveexec_b32 s29, s29
	v_mov_b32_e32 v33, s28
	s_xor_b32 exec_lo, exec_lo, s29
	s_cbranch_execnz .LBB6_3518
.LBB6_3072:                             ;   in Loop: Header=BB6_3029 Depth=2
	s_or_b32 exec_lo, exec_lo, s29
	s_and_saveexec_b32 s28, s12
	s_cbranch_execz .LBB6_3074
.LBB6_3073:                             ;   in Loop: Header=BB6_3029 Depth=2
	v_and_b32_e32 v32, 0xffff, v32
	v_lshlrev_b32_e32 v36, 16, v14
	s_delay_alu instid0(VALU_DEP_2) | instskip(NEXT) | instid1(VALU_DEP_1)
	v_and_b32_e32 v33, 7, v32
	v_clz_i32_u32_e32 v34, v33
	s_delay_alu instid0(VALU_DEP_1) | instskip(NEXT) | instid1(VALU_DEP_1)
	v_min_u32_e32 v34, 32, v34
	v_subrev_nc_u32_e32 v35, 28, v34
	v_sub_nc_u32_e32 v34, 29, v34
	s_delay_alu instid0(VALU_DEP_2) | instskip(SKIP_1) | instid1(VALU_DEP_2)
	v_lshlrev_b32_e32 v35, v35, v32
	v_bfe_u32 v32, v32, 3, 4
	v_and_b32_e32 v35, 7, v35
	s_delay_alu instid0(VALU_DEP_2) | instskip(NEXT) | instid1(VALU_DEP_2)
	v_cmp_eq_u32_e32 vcc_lo, 0, v32
	v_dual_cndmask_b32 v32, v32, v34 :: v_dual_cndmask_b32 v33, v33, v35
	v_and_b32_e32 v34, 0x80000000, v36
	s_delay_alu instid0(VALU_DEP_2) | instskip(NEXT) | instid1(VALU_DEP_3)
	v_lshl_add_u32 v32, v32, 23, 0x3b800000
	v_lshlrev_b32_e32 v33, 20, v33
	s_delay_alu instid0(VALU_DEP_1)
	v_or3_b32 v33, v34, v32, v33
.LBB6_3074:                             ;   in Loop: Header=BB6_3029 Depth=2
	s_or_b32 exec_lo, exec_lo, s28
	s_mov_b32 s12, 0
	s_mov_b32 s29, exec_lo
                                        ; implicit-def: $sgpr28
	v_cmpx_lt_i16_e32 0x7f, v29
	s_xor_b32 s29, exec_lo, s29
	s_cbranch_execnz .LBB6_3519
; %bb.3075:                             ;   in Loop: Header=BB6_3029 Depth=2
	s_or_saveexec_b32 s29, s29
	v_mov_b32_e32 v32, s28
	s_xor_b32 exec_lo, exec_lo, s29
	s_cbranch_execnz .LBB6_3522
.LBB6_3076:                             ;   in Loop: Header=BB6_3029 Depth=2
	s_or_b32 exec_lo, exec_lo, s29
	s_and_saveexec_b32 s28, s12
	s_cbranch_execz .LBB6_3078
.LBB6_3077:                             ;   in Loop: Header=BB6_3029 Depth=2
	v_and_b32_e32 v29, 0xffff, v29
	v_lshlrev_b32_e32 v36, 16, v10
	s_delay_alu instid0(VALU_DEP_2) | instskip(NEXT) | instid1(VALU_DEP_1)
	v_and_b32_e32 v32, 7, v29
	v_clz_i32_u32_e32 v34, v32
	s_delay_alu instid0(VALU_DEP_1) | instskip(NEXT) | instid1(VALU_DEP_1)
	v_min_u32_e32 v34, 32, v34
	v_subrev_nc_u32_e32 v35, 28, v34
	v_sub_nc_u32_e32 v34, 29, v34
	s_delay_alu instid0(VALU_DEP_2) | instskip(SKIP_1) | instid1(VALU_DEP_2)
	v_lshlrev_b32_e32 v35, v35, v29
	v_bfe_u32 v29, v29, 3, 4
	v_and_b32_e32 v35, 7, v35
	s_delay_alu instid0(VALU_DEP_2) | instskip(NEXT) | instid1(VALU_DEP_2)
	v_cmp_eq_u32_e32 vcc_lo, 0, v29
	v_dual_cndmask_b32 v29, v29, v34 :: v_dual_cndmask_b32 v32, v32, v35
	v_and_b32_e32 v34, 0x80000000, v36
	s_delay_alu instid0(VALU_DEP_2) | instskip(NEXT) | instid1(VALU_DEP_3)
	v_lshl_add_u32 v29, v29, 23, 0x3b800000
	v_lshlrev_b32_e32 v32, 20, v32
	s_delay_alu instid0(VALU_DEP_1)
	v_or3_b32 v32, v34, v29, v32
.LBB6_3078:                             ;   in Loop: Header=BB6_3029 Depth=2
	s_or_b32 exec_lo, exec_lo, s28
	s_delay_alu instid0(VALU_DEP_1) | instskip(NEXT) | instid1(VALU_DEP_1)
	v_dual_max_f32 v29, v32, v32 :: v_dual_max_f32 v32, v33, v33
	v_min_f32_e32 v33, v32, v29
.LBB6_3079:                             ;   in Loop: Header=BB6_3029 Depth=2
	s_delay_alu instid0(VALU_DEP_1) | instskip(NEXT) | instid1(VALU_DEP_1)
	v_and_b32_e32 v29, 0x7f800000, v33
	v_cmp_ne_u32_e32 vcc_lo, 0x7f800000, v29
	v_mov_b32_e32 v29, 0x80
	s_and_saveexec_b32 s28, vcc_lo
	s_cbranch_execz .LBB6_3087
; %bb.3080:                             ;   in Loop: Header=BB6_3029 Depth=2
	v_mov_b32_e32 v29, 0
	s_mov_b32 s29, exec_lo
	v_cmpx_ne_u32_e32 0, v33
	s_cbranch_execz .LBB6_3086
; %bb.3081:                             ;   in Loop: Header=BB6_3029 Depth=2
	v_bfe_u32 v29, v33, 23, 8
	v_and_b32_e32 v32, 0x7fffff, v33
	s_delay_alu instid0(VALU_DEP_2) | instskip(SKIP_1) | instid1(VALU_DEP_3)
	v_sub_nc_u32_e32 v34, 0x78, v29
	v_cmp_gt_u32_e32 vcc_lo, 0x79, v29
	v_or_b32_e32 v35, 0x800000, v32
	s_delay_alu instid0(VALU_DEP_3) | instskip(SKIP_2) | instid1(VALU_DEP_3)
	v_cndmask_b32_e32 v34, 0, v34, vcc_lo
	v_cmp_eq_u32_e32 vcc_lo, 0, v29
	v_add_nc_u32_e32 v29, 0xffffff89, v29
	v_cndmask_b32_e64 v34, v34, 0x77, vcc_lo
	v_cndmask_b32_e32 v32, v35, v32, vcc_lo
	s_delay_alu instid0(VALU_DEP_3) | instskip(NEXT) | instid1(VALU_DEP_3)
	v_cndmask_b32_e64 v29, v29, 0xffffff8a, vcc_lo
	v_lshl_add_u32 v35, 0x100000, v34, -1
	s_delay_alu instid0(VALU_DEP_3) | instskip(SKIP_1) | instid1(VALU_DEP_4)
	v_lshrrev_b32_e32 v36, v34, v32
	v_lshlrev_b32_e64 v38, v34, 0x80000
	v_add_nc_u32_e32 v34, v34, v29
	s_delay_alu instid0(VALU_DEP_4) | instskip(NEXT) | instid1(VALU_DEP_4)
	v_and_b32_e32 v32, v35, v32
	v_bfe_u32 v37, v36, 20, 1
	s_delay_alu instid0(VALU_DEP_2) | instskip(NEXT) | instid1(VALU_DEP_2)
	v_cmp_eq_u32_e64 s12, v32, v38
	v_add_nc_u32_e32 v35, -1, v37
	s_delay_alu instid0(VALU_DEP_1) | instskip(SKIP_2) | instid1(VALU_DEP_2)
	v_cndmask_b32_e64 v32, 0, v35, s12
	v_lshrrev_b32_e32 v35, 23, v36
	s_mov_b32 s12, exec_lo
	v_add_nc_u32_e32 v32, v32, v36
	s_delay_alu instid0(VALU_DEP_2) | instskip(NEXT) | instid1(VALU_DEP_2)
	v_xor_b32_e32 v35, 1, v35
	v_and_b32_e32 v29, 0xfffff, v32
	s_delay_alu instid0(VALU_DEP_1) | instskip(NEXT) | instid1(VALU_DEP_3)
	v_add_nc_u32_e32 v32, v29, v36
                                        ; implicit-def: $vgpr29
	v_cmpx_ne_u32_e64 v34, v35
	s_xor_b32 s12, exec_lo, s12
; %bb.3082:                             ;   in Loop: Header=BB6_3029 Depth=2
	s_delay_alu instid0(VALU_DEP_2) | instskip(SKIP_2) | instid1(VALU_DEP_2)
	v_cmp_lt_u32_e32 vcc_lo, 0xffffff, v32
	v_sub_nc_u32_e32 v29, v34, v35
	v_cndmask_b32_e64 v34, 0, 1, vcc_lo
	v_add_co_ci_u32_e32 v29, vcc_lo, 0, v29, vcc_lo
	s_delay_alu instid0(VALU_DEP_2)
	v_lshrrev_b32_e32 v32, v34, v32
; %bb.3083:                             ;   in Loop: Header=BB6_3029 Depth=2
	s_and_not1_saveexec_b32 s12, s12
; %bb.3084:                             ;   in Loop: Header=BB6_3029 Depth=2
	s_delay_alu instid0(VALU_DEP_1)
	v_bfe_u32 v29, v32, 23, 1
; %bb.3085:                             ;   in Loop: Header=BB6_3029 Depth=2
	s_or_b32 exec_lo, exec_lo, s12
	v_lshrrev_b32_e32 v32, 20, v32
	s_delay_alu instid0(VALU_DEP_2) | instskip(SKIP_2) | instid1(VALU_DEP_2)
	v_cmp_gt_i32_e32 vcc_lo, 16, v29
	v_lshrrev_b32_e32 v33, 24, v33
	v_min_i32_e32 v34, 15, v29
	v_dual_cndmask_b32 v32, 7, v32 :: v_dual_and_b32 v33, 0x80, v33
	s_delay_alu instid0(VALU_DEP_1) | instskip(SKIP_1) | instid1(VALU_DEP_2)
	v_or_b32_e32 v29, v29, v32
	v_and_b32_e32 v35, 7, v32
	v_cmp_ne_u32_e32 vcc_lo, 0, v29
	v_lshlrev_b32_e32 v34, 3, v34
	s_delay_alu instid0(VALU_DEP_1) | instskip(NEXT) | instid1(VALU_DEP_1)
	v_or3_b32 v32, v34, v33, v35
	v_cndmask_b32_e32 v29, 0, v32, vcc_lo
.LBB6_3086:                             ;   in Loop: Header=BB6_3029 Depth=2
	s_or_b32 exec_lo, exec_lo, s29
.LBB6_3087:                             ;   in Loop: Header=BB6_3029 Depth=2
	s_delay_alu instid0(SALU_CYCLE_1) | instskip(SKIP_3) | instid1(VALU_DEP_2)
	s_or_b32 exec_lo, exec_lo, s28
	v_lshrrev_b32_e32 v33, 16, v14
	v_lshrrev_b32_e32 v32, 16, v10
	s_and_b32 vcc_lo, exec_lo, s27
	v_and_b32_e32 v34, 0xff, v33
	s_delay_alu instid0(VALU_DEP_1)
	v_cmp_lt_i16_e64 s12, 0x7f, v34
	s_cbranch_vccz .LBB6_3097
; %bb.3088:                             ;   in Loop: Header=BB6_3029 Depth=2
	s_mov_b32 s28, 0
                                        ; implicit-def: $sgpr29
	s_delay_alu instid0(VALU_DEP_1) | instskip(NEXT) | instid1(SALU_CYCLE_1)
	s_and_saveexec_b32 vcc_lo, s12
	s_xor_b32 s12, exec_lo, vcc_lo
	s_cbranch_execnz .LBB6_3523
; %bb.3089:                             ;   in Loop: Header=BB6_3029 Depth=2
	s_or_saveexec_b32 s12, s12
	v_mov_b32_e32 v35, s29
	s_xor_b32 exec_lo, exec_lo, s12
	s_cbranch_execnz .LBB6_3526
.LBB6_3090:                             ;   in Loop: Header=BB6_3029 Depth=2
	s_or_b32 exec_lo, exec_lo, s12
	s_and_saveexec_b32 s12, s28
	s_cbranch_execz .LBB6_3092
.LBB6_3091:                             ;   in Loop: Header=BB6_3029 Depth=2
	v_bfe_u32 v35, v14, 16, 3
	v_bfe_u32 v38, v14, 19, 4
	v_lshlrev_b32_e32 v39, 24, v33
	s_delay_alu instid0(VALU_DEP_3) | instskip(NEXT) | instid1(VALU_DEP_3)
	v_clz_i32_u32_e32 v36, v35
	v_cmp_eq_u32_e32 vcc_lo, 0, v38
	s_delay_alu instid0(VALU_DEP_2) | instskip(NEXT) | instid1(VALU_DEP_1)
	v_min_u32_e32 v36, 32, v36
	v_subrev_nc_u32_e32 v37, 28, v36
	v_sub_nc_u32_e32 v36, 29, v36
	s_delay_alu instid0(VALU_DEP_1) | instskip(NEXT) | instid1(VALU_DEP_1)
	v_dual_cndmask_b32 v36, v38, v36 :: v_dual_lshlrev_b32 v37, v37, v33
	v_and_b32_e32 v37, 7, v37
	s_delay_alu instid0(VALU_DEP_2) | instskip(NEXT) | instid1(VALU_DEP_2)
	v_lshl_add_u32 v36, v36, 23, 0x3b800000
	v_cndmask_b32_e32 v35, v35, v37, vcc_lo
	v_and_b32_e32 v37, 0x80000000, v39
	s_delay_alu instid0(VALU_DEP_2) | instskip(NEXT) | instid1(VALU_DEP_1)
	v_lshlrev_b32_e32 v35, 20, v35
	v_or3_b32 v35, v37, v36, v35
.LBB6_3092:                             ;   in Loop: Header=BB6_3029 Depth=2
	s_or_b32 exec_lo, exec_lo, s12
	v_and_b32_e32 v37, 0xff, v32
	s_mov_b32 s12, 0
	s_mov_b32 s29, exec_lo
                                        ; implicit-def: $sgpr28
	s_delay_alu instid0(VALU_DEP_1)
	v_cmpx_lt_i16_e32 0x7f, v37
	s_xor_b32 s29, exec_lo, s29
	s_cbranch_execnz .LBB6_3527
; %bb.3093:                             ;   in Loop: Header=BB6_3029 Depth=2
	s_or_saveexec_b32 s29, s29
	v_mov_b32_e32 v36, s28
	s_xor_b32 exec_lo, exec_lo, s29
	s_cbranch_execnz .LBB6_3530
.LBB6_3094:                             ;   in Loop: Header=BB6_3029 Depth=2
	s_or_b32 exec_lo, exec_lo, s29
	s_and_saveexec_b32 s28, s12
	s_cbranch_execz .LBB6_3096
.LBB6_3095:                             ;   in Loop: Header=BB6_3029 Depth=2
	v_bfe_u32 v36, v10, 16, 3
	v_bfe_u32 v39, v10, 19, 4
	v_lshlrev_b32_e32 v48, 24, v32
	s_delay_alu instid0(VALU_DEP_3) | instskip(NEXT) | instid1(VALU_DEP_3)
	v_clz_i32_u32_e32 v37, v36
	v_cmp_eq_u32_e32 vcc_lo, 0, v39
	s_delay_alu instid0(VALU_DEP_2) | instskip(NEXT) | instid1(VALU_DEP_1)
	v_min_u32_e32 v37, 32, v37
	v_subrev_nc_u32_e32 v38, 28, v37
	v_sub_nc_u32_e32 v37, 29, v37
	s_delay_alu instid0(VALU_DEP_1) | instskip(NEXT) | instid1(VALU_DEP_1)
	v_dual_cndmask_b32 v37, v39, v37 :: v_dual_lshlrev_b32 v38, v38, v32
	v_and_b32_e32 v38, 7, v38
	s_delay_alu instid0(VALU_DEP_2) | instskip(NEXT) | instid1(VALU_DEP_2)
	v_lshl_add_u32 v37, v37, 23, 0x3b800000
	v_cndmask_b32_e32 v36, v36, v38, vcc_lo
	v_and_b32_e32 v38, 0x80000000, v48
	s_delay_alu instid0(VALU_DEP_2) | instskip(NEXT) | instid1(VALU_DEP_1)
	v_lshlrev_b32_e32 v36, 20, v36
	v_or3_b32 v36, v38, v37, v36
.LBB6_3096:                             ;   in Loop: Header=BB6_3029 Depth=2
	s_or_b32 exec_lo, exec_lo, s28
	s_delay_alu instid0(VALU_DEP_1) | instskip(SKIP_1) | instid1(VALU_DEP_1)
	v_dual_max_f32 v36, v36, v36 :: v_dual_max_f32 v35, v35, v35
	s_mov_b32 s12, 0
	v_max_f32_e32 v35, v35, v36
	s_branch .LBB6_3098
.LBB6_3097:                             ;   in Loop: Header=BB6_3029 Depth=2
	s_mov_b32 s12, -1
                                        ; implicit-def: $vgpr35
.LBB6_3098:                             ;   in Loop: Header=BB6_3029 Depth=2
	s_delay_alu instid0(SALU_CYCLE_1)
	s_and_b32 vcc_lo, exec_lo, s12
	s_cbranch_vccz .LBB6_3108
; %bb.3099:                             ;   in Loop: Header=BB6_3029 Depth=2
	s_mov_b32 s12, 0
	s_mov_b32 s29, exec_lo
                                        ; implicit-def: $sgpr28
	v_cmpx_lt_i16_e32 0x7f, v34
	s_xor_b32 s29, exec_lo, s29
	s_cbranch_execnz .LBB6_3531
; %bb.3100:                             ;   in Loop: Header=BB6_3029 Depth=2
	s_or_saveexec_b32 s29, s29
	v_mov_b32_e32 v35, s28
	s_xor_b32 exec_lo, exec_lo, s29
	s_cbranch_execnz .LBB6_3534
.LBB6_3101:                             ;   in Loop: Header=BB6_3029 Depth=2
	s_or_b32 exec_lo, exec_lo, s29
	s_and_saveexec_b32 s28, s12
	s_cbranch_execz .LBB6_3103
.LBB6_3102:                             ;   in Loop: Header=BB6_3029 Depth=2
	v_bfe_u32 v34, v14, 16, 3
	v_bfe_u32 v37, v14, 19, 4
	s_delay_alu instid0(VALU_DEP_2) | instskip(NEXT) | instid1(VALU_DEP_2)
	v_clz_i32_u32_e32 v35, v34
	v_cmp_eq_u32_e32 vcc_lo, 0, v37
	s_delay_alu instid0(VALU_DEP_2) | instskip(NEXT) | instid1(VALU_DEP_1)
	v_min_u32_e32 v35, 32, v35
	v_subrev_nc_u32_e32 v36, 28, v35
	v_sub_nc_u32_e32 v35, 29, v35
	s_delay_alu instid0(VALU_DEP_1) | instskip(NEXT) | instid1(VALU_DEP_1)
	v_dual_cndmask_b32 v35, v37, v35 :: v_dual_lshlrev_b32 v36, v36, v33
	v_and_b32_e32 v36, 7, v36
	v_lshlrev_b32_e32 v33, 24, v33
	s_delay_alu instid0(VALU_DEP_3) | instskip(NEXT) | instid1(VALU_DEP_2)
	v_lshl_add_u32 v35, v35, 23, 0x3b800000
	v_dual_cndmask_b32 v34, v34, v36 :: v_dual_and_b32 v33, 0x80000000, v33
	s_delay_alu instid0(VALU_DEP_1) | instskip(NEXT) | instid1(VALU_DEP_1)
	v_lshlrev_b32_e32 v34, 20, v34
	v_or3_b32 v35, v33, v35, v34
.LBB6_3103:                             ;   in Loop: Header=BB6_3029 Depth=2
	s_or_b32 exec_lo, exec_lo, s28
	v_and_b32_e32 v34, 0xff, v32
	s_mov_b32 s12, 0
	s_mov_b32 s29, exec_lo
                                        ; implicit-def: $sgpr28
	s_delay_alu instid0(VALU_DEP_1)
	v_cmpx_lt_i16_e32 0x7f, v34
	s_xor_b32 s29, exec_lo, s29
	s_cbranch_execnz .LBB6_3535
; %bb.3104:                             ;   in Loop: Header=BB6_3029 Depth=2
	s_or_saveexec_b32 s29, s29
	v_mov_b32_e32 v33, s28
	s_xor_b32 exec_lo, exec_lo, s29
	s_cbranch_execnz .LBB6_3538
.LBB6_3105:                             ;   in Loop: Header=BB6_3029 Depth=2
	s_or_b32 exec_lo, exec_lo, s29
	s_and_saveexec_b32 s28, s12
	s_cbranch_execz .LBB6_3107
.LBB6_3106:                             ;   in Loop: Header=BB6_3029 Depth=2
	v_bfe_u32 v33, v10, 16, 3
	v_bfe_u32 v37, v10, 19, 4
	s_delay_alu instid0(VALU_DEP_2) | instskip(NEXT) | instid1(VALU_DEP_2)
	v_clz_i32_u32_e32 v34, v33
	v_cmp_eq_u32_e32 vcc_lo, 0, v37
	s_delay_alu instid0(VALU_DEP_2) | instskip(NEXT) | instid1(VALU_DEP_1)
	v_min_u32_e32 v34, 32, v34
	v_subrev_nc_u32_e32 v36, 28, v34
	v_sub_nc_u32_e32 v34, 29, v34
	s_delay_alu instid0(VALU_DEP_2) | instskip(SKIP_1) | instid1(VALU_DEP_2)
	v_lshlrev_b32_e32 v36, v36, v32
	v_lshlrev_b32_e32 v32, 24, v32
	v_and_b32_e32 v36, 7, v36
	s_delay_alu instid0(VALU_DEP_2) | instskip(NEXT) | instid1(VALU_DEP_2)
	v_and_b32_e32 v32, 0x80000000, v32
	v_cndmask_b32_e32 v33, v33, v36, vcc_lo
	s_delay_alu instid0(VALU_DEP_1) | instskip(NEXT) | instid1(VALU_DEP_1)
	v_dual_cndmask_b32 v34, v37, v34 :: v_dual_lshlrev_b32 v33, 20, v33
	v_lshl_add_u32 v34, v34, 23, 0x3b800000
	s_delay_alu instid0(VALU_DEP_1)
	v_or3_b32 v33, v32, v34, v33
.LBB6_3107:                             ;   in Loop: Header=BB6_3029 Depth=2
	s_or_b32 exec_lo, exec_lo, s28
	s_delay_alu instid0(VALU_DEP_1) | instskip(NEXT) | instid1(VALU_DEP_1)
	v_dual_max_f32 v32, v33, v33 :: v_dual_max_f32 v33, v35, v35
	v_min_f32_e32 v35, v33, v32
.LBB6_3108:                             ;   in Loop: Header=BB6_3029 Depth=2
	s_delay_alu instid0(VALU_DEP_1) | instskip(NEXT) | instid1(VALU_DEP_1)
	v_and_b32_e32 v32, 0x7f800000, v35
	v_cmp_ne_u32_e32 vcc_lo, 0x7f800000, v32
	v_mov_b32_e32 v32, 0x80
	s_and_saveexec_b32 s28, vcc_lo
	s_cbranch_execz .LBB6_3116
; %bb.3109:                             ;   in Loop: Header=BB6_3029 Depth=2
	v_mov_b32_e32 v32, 0
	s_mov_b32 s29, exec_lo
	v_cmpx_ne_u32_e32 0, v35
	s_cbranch_execz .LBB6_3115
; %bb.3110:                             ;   in Loop: Header=BB6_3029 Depth=2
	v_bfe_u32 v32, v35, 23, 8
	s_delay_alu instid0(VALU_DEP_1) | instskip(SKIP_1) | instid1(VALU_DEP_2)
	v_sub_nc_u32_e32 v34, 0x78, v32
	v_cmp_gt_u32_e32 vcc_lo, 0x79, v32
	v_dual_cndmask_b32 v34, 0, v34 :: v_dual_and_b32 v33, 0x7fffff, v35
	s_delay_alu instid0(VALU_DEP_1) | instskip(SKIP_2) | instid1(VALU_DEP_4)
	v_or_b32_e32 v36, 0x800000, v33
	v_cmp_eq_u32_e32 vcc_lo, 0, v32
	v_add_nc_u32_e32 v32, 0xffffff89, v32
	v_cndmask_b32_e64 v34, v34, 0x77, vcc_lo
	s_delay_alu instid0(VALU_DEP_4) | instskip(NEXT) | instid1(VALU_DEP_3)
	v_cndmask_b32_e32 v33, v36, v33, vcc_lo
	v_cndmask_b32_e64 v32, v32, 0xffffff8a, vcc_lo
	s_delay_alu instid0(VALU_DEP_3) | instskip(NEXT) | instid1(VALU_DEP_3)
	v_lshl_add_u32 v36, 0x100000, v34, -1
	v_lshrrev_b32_e32 v37, v34, v33
	v_lshlrev_b32_e64 v39, v34, 0x80000
	s_delay_alu instid0(VALU_DEP_4) | instskip(NEXT) | instid1(VALU_DEP_4)
	v_add_nc_u32_e32 v34, v34, v32
	v_and_b32_e32 v33, v36, v33
	s_delay_alu instid0(VALU_DEP_4) | instskip(NEXT) | instid1(VALU_DEP_2)
	v_bfe_u32 v38, v37, 20, 1
	v_cmp_eq_u32_e64 s12, v33, v39
	s_delay_alu instid0(VALU_DEP_2) | instskip(NEXT) | instid1(VALU_DEP_1)
	v_add_nc_u32_e32 v36, -1, v38
	v_cndmask_b32_e64 v33, 0, v36, s12
	v_lshrrev_b32_e32 v36, 23, v37
	s_mov_b32 s12, exec_lo
	s_delay_alu instid0(VALU_DEP_2) | instskip(NEXT) | instid1(VALU_DEP_2)
	v_add_nc_u32_e32 v33, v33, v37
	v_xor_b32_e32 v36, 1, v36
	s_delay_alu instid0(VALU_DEP_2) | instskip(NEXT) | instid1(VALU_DEP_1)
	v_and_b32_e32 v32, 0xfffff, v33
	v_add_nc_u32_e32 v33, v32, v37
                                        ; implicit-def: $vgpr32
	s_delay_alu instid0(VALU_DEP_3)
	v_cmpx_ne_u32_e64 v34, v36
	s_xor_b32 s12, exec_lo, s12
; %bb.3111:                             ;   in Loop: Header=BB6_3029 Depth=2
	s_delay_alu instid0(VALU_DEP_2) | instskip(SKIP_2) | instid1(VALU_DEP_2)
	v_cmp_lt_u32_e32 vcc_lo, 0xffffff, v33
	v_sub_nc_u32_e32 v32, v34, v36
	v_cndmask_b32_e64 v34, 0, 1, vcc_lo
	v_add_co_ci_u32_e32 v32, vcc_lo, 0, v32, vcc_lo
	s_delay_alu instid0(VALU_DEP_2)
	v_lshrrev_b32_e32 v33, v34, v33
; %bb.3112:                             ;   in Loop: Header=BB6_3029 Depth=2
	s_and_not1_saveexec_b32 s12, s12
; %bb.3113:                             ;   in Loop: Header=BB6_3029 Depth=2
	s_delay_alu instid0(VALU_DEP_1)
	v_bfe_u32 v32, v33, 23, 1
; %bb.3114:                             ;   in Loop: Header=BB6_3029 Depth=2
	s_or_b32 exec_lo, exec_lo, s12
	v_lshrrev_b32_e32 v33, 20, v33
	s_delay_alu instid0(VALU_DEP_2) | instskip(SKIP_2) | instid1(VALU_DEP_2)
	v_cmp_gt_i32_e32 vcc_lo, 16, v32
	v_lshrrev_b32_e32 v34, 24, v35
	v_min_i32_e32 v35, 15, v32
	v_dual_cndmask_b32 v33, 7, v33 :: v_dual_and_b32 v34, 0x80, v34
	s_delay_alu instid0(VALU_DEP_1) | instskip(SKIP_1) | instid1(VALU_DEP_2)
	v_or_b32_e32 v32, v32, v33
	v_and_b32_e32 v36, 7, v33
	v_cmp_ne_u32_e32 vcc_lo, 0, v32
	v_lshlrev_b32_e32 v35, 3, v35
	s_delay_alu instid0(VALU_DEP_1) | instskip(NEXT) | instid1(VALU_DEP_1)
	v_or3_b32 v33, v35, v34, v36
	v_cndmask_b32_e32 v32, 0, v33, vcc_lo
.LBB6_3115:                             ;   in Loop: Header=BB6_3029 Depth=2
	s_or_b32 exec_lo, exec_lo, s29
.LBB6_3116:                             ;   in Loop: Header=BB6_3029 Depth=2
	s_delay_alu instid0(SALU_CYCLE_1) | instskip(SKIP_3) | instid1(VALU_DEP_2)
	s_or_b32 exec_lo, exec_lo, s28
	v_lshrrev_b32_e32 v34, 24, v14
	v_lshrrev_b32_e32 v33, 24, v10
	s_and_b32 vcc_lo, exec_lo, s27
	v_cmp_lt_i16_e64 s12, 0x7f, v34
	s_cbranch_vccz .LBB6_3126
; %bb.3117:                             ;   in Loop: Header=BB6_3029 Depth=2
	s_mov_b32 s28, 0
                                        ; implicit-def: $sgpr29
	s_delay_alu instid0(VALU_DEP_1) | instskip(NEXT) | instid1(SALU_CYCLE_1)
	s_and_saveexec_b32 vcc_lo, s12
	s_xor_b32 s12, exec_lo, vcc_lo
	s_cbranch_execnz .LBB6_3539
; %bb.3118:                             ;   in Loop: Header=BB6_3029 Depth=2
	s_or_saveexec_b32 s12, s12
	v_mov_b32_e32 v35, s29
	s_xor_b32 exec_lo, exec_lo, s12
	s_cbranch_execnz .LBB6_3542
.LBB6_3119:                             ;   in Loop: Header=BB6_3029 Depth=2
	s_or_b32 exec_lo, exec_lo, s12
	s_and_saveexec_b32 s12, s28
	s_cbranch_execz .LBB6_3121
.LBB6_3120:                             ;   in Loop: Header=BB6_3029 Depth=2
	v_bfe_u32 v35, v14, 24, 3
	v_bfe_u32 v38, v14, 27, 4
	s_delay_alu instid0(VALU_DEP_2) | instskip(NEXT) | instid1(VALU_DEP_2)
	v_clz_i32_u32_e32 v36, v35
	v_cmp_eq_u32_e32 vcc_lo, 0, v38
	s_delay_alu instid0(VALU_DEP_2) | instskip(NEXT) | instid1(VALU_DEP_1)
	v_min_u32_e32 v36, 32, v36
	v_subrev_nc_u32_e32 v37, 28, v36
	v_sub_nc_u32_e32 v36, 29, v36
	s_delay_alu instid0(VALU_DEP_1) | instskip(NEXT) | instid1(VALU_DEP_1)
	v_dual_cndmask_b32 v36, v38, v36 :: v_dual_lshlrev_b32 v37, v37, v34
	v_and_b32_e32 v37, 7, v37
	s_delay_alu instid0(VALU_DEP_2) | instskip(NEXT) | instid1(VALU_DEP_2)
	v_lshl_add_u32 v36, v36, 23, 0x3b800000
	v_cndmask_b32_e32 v35, v35, v37, vcc_lo
	v_and_b32_e32 v37, 0x80000000, v14
	s_delay_alu instid0(VALU_DEP_2) | instskip(NEXT) | instid1(VALU_DEP_1)
	v_lshlrev_b32_e32 v35, 20, v35
	v_or3_b32 v35, v37, v36, v35
.LBB6_3121:                             ;   in Loop: Header=BB6_3029 Depth=2
	s_or_b32 exec_lo, exec_lo, s12
	s_mov_b32 s12, 0
	s_mov_b32 s29, exec_lo
                                        ; implicit-def: $sgpr28
	v_cmpx_lt_i16_e32 0x7f, v33
	s_xor_b32 s29, exec_lo, s29
	s_cbranch_execnz .LBB6_3543
; %bb.3122:                             ;   in Loop: Header=BB6_3029 Depth=2
	s_or_saveexec_b32 s29, s29
	v_mov_b32_e32 v36, s28
	s_xor_b32 exec_lo, exec_lo, s29
	s_cbranch_execnz .LBB6_3546
.LBB6_3123:                             ;   in Loop: Header=BB6_3029 Depth=2
	s_or_b32 exec_lo, exec_lo, s29
	s_and_saveexec_b32 s28, s12
	s_cbranch_execz .LBB6_3125
.LBB6_3124:                             ;   in Loop: Header=BB6_3029 Depth=2
	v_bfe_u32 v36, v10, 24, 3
	v_bfe_u32 v39, v10, 27, 4
	s_delay_alu instid0(VALU_DEP_2) | instskip(NEXT) | instid1(VALU_DEP_2)
	v_clz_i32_u32_e32 v37, v36
	v_cmp_eq_u32_e32 vcc_lo, 0, v39
	s_delay_alu instid0(VALU_DEP_2) | instskip(NEXT) | instid1(VALU_DEP_1)
	v_min_u32_e32 v37, 32, v37
	v_subrev_nc_u32_e32 v38, 28, v37
	v_sub_nc_u32_e32 v37, 29, v37
	s_delay_alu instid0(VALU_DEP_2) | instskip(NEXT) | instid1(VALU_DEP_1)
	v_lshlrev_b32_e32 v38, v38, v33
	v_dual_cndmask_b32 v37, v39, v37 :: v_dual_and_b32 v38, 7, v38
	s_delay_alu instid0(VALU_DEP_1) | instskip(NEXT) | instid1(VALU_DEP_2)
	v_lshl_add_u32 v37, v37, 23, 0x3b800000
	v_cndmask_b32_e32 v36, v36, v38, vcc_lo
	v_and_b32_e32 v38, 0x80000000, v10
	s_delay_alu instid0(VALU_DEP_2) | instskip(NEXT) | instid1(VALU_DEP_1)
	v_lshlrev_b32_e32 v36, 20, v36
	v_or3_b32 v36, v38, v37, v36
.LBB6_3125:                             ;   in Loop: Header=BB6_3029 Depth=2
	s_or_b32 exec_lo, exec_lo, s28
	s_delay_alu instid0(VALU_DEP_1) | instskip(SKIP_1) | instid1(VALU_DEP_1)
	v_dual_max_f32 v36, v36, v36 :: v_dual_max_f32 v35, v35, v35
	s_mov_b32 s12, 0
	v_max_f32_e32 v35, v35, v36
	s_branch .LBB6_3127
.LBB6_3126:                             ;   in Loop: Header=BB6_3029 Depth=2
	s_mov_b32 s12, -1
                                        ; implicit-def: $vgpr35
.LBB6_3127:                             ;   in Loop: Header=BB6_3029 Depth=2
	s_delay_alu instid0(SALU_CYCLE_1)
	s_and_b32 vcc_lo, exec_lo, s12
	s_cbranch_vccz .LBB6_3137
; %bb.3128:                             ;   in Loop: Header=BB6_3029 Depth=2
	s_mov_b32 s12, 0
	s_mov_b32 s29, exec_lo
                                        ; implicit-def: $sgpr28
	v_cmpx_lt_i16_e32 0x7f, v34
	s_xor_b32 s29, exec_lo, s29
	s_cbranch_execnz .LBB6_3547
; %bb.3129:                             ;   in Loop: Header=BB6_3029 Depth=2
	s_or_saveexec_b32 s29, s29
	v_mov_b32_e32 v35, s28
	s_xor_b32 exec_lo, exec_lo, s29
	s_cbranch_execnz .LBB6_3550
.LBB6_3130:                             ;   in Loop: Header=BB6_3029 Depth=2
	s_or_b32 exec_lo, exec_lo, s29
	s_and_saveexec_b32 s28, s12
	s_cbranch_execz .LBB6_3132
.LBB6_3131:                             ;   in Loop: Header=BB6_3029 Depth=2
	v_bfe_u32 v35, v14, 24, 3
	s_delay_alu instid0(VALU_DEP_1) | instskip(NEXT) | instid1(VALU_DEP_1)
	v_clz_i32_u32_e32 v36, v35
	v_min_u32_e32 v36, 32, v36
	s_delay_alu instid0(VALU_DEP_1) | instskip(SKIP_1) | instid1(VALU_DEP_2)
	v_subrev_nc_u32_e32 v37, 28, v36
	v_sub_nc_u32_e32 v36, 29, v36
	v_lshlrev_b32_e32 v34, v37, v34
	v_bfe_u32 v37, v14, 27, 4
	v_and_b32_e32 v14, 0x80000000, v14
	s_delay_alu instid0(VALU_DEP_3) | instskip(NEXT) | instid1(VALU_DEP_3)
	v_and_b32_e32 v34, 7, v34
	v_cmp_eq_u32_e32 vcc_lo, 0, v37
	v_cndmask_b32_e32 v36, v37, v36, vcc_lo
	s_delay_alu instid0(VALU_DEP_3) | instskip(NEXT) | instid1(VALU_DEP_2)
	v_cndmask_b32_e32 v34, v35, v34, vcc_lo
	v_lshl_add_u32 v35, v36, 23, 0x3b800000
	s_delay_alu instid0(VALU_DEP_2) | instskip(NEXT) | instid1(VALU_DEP_1)
	v_lshlrev_b32_e32 v34, 20, v34
	v_or3_b32 v35, v14, v35, v34
.LBB6_3132:                             ;   in Loop: Header=BB6_3029 Depth=2
	s_or_b32 exec_lo, exec_lo, s28
	s_mov_b32 s12, 0
	s_mov_b32 s29, exec_lo
                                        ; implicit-def: $sgpr28
	v_cmpx_lt_i16_e32 0x7f, v33
	s_xor_b32 s29, exec_lo, s29
	s_cbranch_execnz .LBB6_3551
; %bb.3133:                             ;   in Loop: Header=BB6_3029 Depth=2
	s_or_saveexec_b32 s29, s29
	v_mov_b32_e32 v14, s28
	s_xor_b32 exec_lo, exec_lo, s29
	s_cbranch_execnz .LBB6_3554
.LBB6_3134:                             ;   in Loop: Header=BB6_3029 Depth=2
	s_or_b32 exec_lo, exec_lo, s29
	s_and_saveexec_b32 s28, s12
	s_cbranch_execz .LBB6_3136
.LBB6_3135:                             ;   in Loop: Header=BB6_3029 Depth=2
	v_bfe_u32 v14, v10, 24, 3
	s_delay_alu instid0(VALU_DEP_1) | instskip(NEXT) | instid1(VALU_DEP_1)
	v_clz_i32_u32_e32 v34, v14
	v_min_u32_e32 v34, 32, v34
	s_delay_alu instid0(VALU_DEP_1) | instskip(SKIP_1) | instid1(VALU_DEP_2)
	v_subrev_nc_u32_e32 v36, 28, v34
	v_sub_nc_u32_e32 v34, 29, v34
	v_lshlrev_b32_e32 v33, v36, v33
	v_bfe_u32 v36, v10, 27, 4
	v_and_b32_e32 v10, 0x80000000, v10
	s_delay_alu instid0(VALU_DEP_2) | instskip(NEXT) | instid1(VALU_DEP_4)
	v_cmp_eq_u32_e32 vcc_lo, 0, v36
	v_dual_cndmask_b32 v34, v36, v34 :: v_dual_and_b32 v33, 7, v33
	s_delay_alu instid0(VALU_DEP_1) | instskip(NEXT) | instid1(VALU_DEP_2)
	v_cndmask_b32_e32 v14, v14, v33, vcc_lo
	v_lshl_add_u32 v33, v34, 23, 0x3b800000
	s_delay_alu instid0(VALU_DEP_2) | instskip(NEXT) | instid1(VALU_DEP_1)
	v_lshlrev_b32_e32 v14, 20, v14
	v_or3_b32 v14, v10, v33, v14
.LBB6_3136:                             ;   in Loop: Header=BB6_3029 Depth=2
	s_or_b32 exec_lo, exec_lo, s28
	s_delay_alu instid0(VALU_DEP_1) | instskip(SKIP_1) | instid1(VALU_DEP_1)
	v_max_f32_e32 v10, v14, v14
	v_max_f32_e32 v14, v35, v35
	v_min_f32_e32 v35, v14, v10
.LBB6_3137:                             ;   in Loop: Header=BB6_3029 Depth=2
	s_delay_alu instid0(VALU_DEP_1) | instskip(NEXT) | instid1(VALU_DEP_1)
	v_and_b32_e32 v10, 0x7f800000, v35
	v_cmp_ne_u32_e32 vcc_lo, 0x7f800000, v10
	v_mov_b32_e32 v10, 0x80
	s_and_saveexec_b32 s28, vcc_lo
	s_cbranch_execz .LBB6_3145
; %bb.3138:                             ;   in Loop: Header=BB6_3029 Depth=2
	v_mov_b32_e32 v10, 0
	s_mov_b32 s29, exec_lo
	v_cmpx_ne_u32_e32 0, v35
	s_cbranch_execz .LBB6_3144
; %bb.3139:                             ;   in Loop: Header=BB6_3029 Depth=2
	v_bfe_u32 v10, v35, 23, 8
	s_delay_alu instid0(VALU_DEP_1) | instskip(SKIP_1) | instid1(VALU_DEP_2)
	v_sub_nc_u32_e32 v33, 0x78, v10
	v_cmp_gt_u32_e32 vcc_lo, 0x79, v10
	v_dual_cndmask_b32 v33, 0, v33 :: v_dual_and_b32 v14, 0x7fffff, v35
	s_delay_alu instid0(VALU_DEP_1) | instskip(SKIP_2) | instid1(VALU_DEP_4)
	v_or_b32_e32 v34, 0x800000, v14
	v_cmp_eq_u32_e32 vcc_lo, 0, v10
	v_add_nc_u32_e32 v10, 0xffffff89, v10
	v_cndmask_b32_e64 v33, v33, 0x77, vcc_lo
	s_delay_alu instid0(VALU_DEP_4) | instskip(NEXT) | instid1(VALU_DEP_3)
	v_cndmask_b32_e32 v14, v34, v14, vcc_lo
	v_cndmask_b32_e64 v10, v10, 0xffffff8a, vcc_lo
	s_delay_alu instid0(VALU_DEP_3) | instskip(NEXT) | instid1(VALU_DEP_3)
	v_lshl_add_u32 v34, 0x100000, v33, -1
	v_lshrrev_b32_e32 v36, v33, v14
	v_lshlrev_b32_e64 v38, v33, 0x80000
	s_delay_alu instid0(VALU_DEP_4) | instskip(NEXT) | instid1(VALU_DEP_4)
	v_add_nc_u32_e32 v33, v33, v10
	v_and_b32_e32 v14, v34, v14
	s_delay_alu instid0(VALU_DEP_4) | instskip(NEXT) | instid1(VALU_DEP_2)
	v_bfe_u32 v37, v36, 20, 1
	v_cmp_eq_u32_e64 s12, v14, v38
	s_delay_alu instid0(VALU_DEP_2) | instskip(NEXT) | instid1(VALU_DEP_1)
	v_add_nc_u32_e32 v34, -1, v37
	v_cndmask_b32_e64 v14, 0, v34, s12
	v_lshrrev_b32_e32 v34, 23, v36
	s_mov_b32 s12, exec_lo
	s_delay_alu instid0(VALU_DEP_2) | instskip(NEXT) | instid1(VALU_DEP_2)
	v_add_nc_u32_e32 v14, v14, v36
	v_xor_b32_e32 v34, 1, v34
	s_delay_alu instid0(VALU_DEP_2) | instskip(NEXT) | instid1(VALU_DEP_1)
	v_and_b32_e32 v10, 0xfffff, v14
	v_add_nc_u32_e32 v14, v10, v36
                                        ; implicit-def: $vgpr10
	s_delay_alu instid0(VALU_DEP_3)
	v_cmpx_ne_u32_e64 v33, v34
	s_xor_b32 s12, exec_lo, s12
; %bb.3140:                             ;   in Loop: Header=BB6_3029 Depth=2
	s_delay_alu instid0(VALU_DEP_2) | instskip(SKIP_2) | instid1(VALU_DEP_2)
	v_cmp_lt_u32_e32 vcc_lo, 0xffffff, v14
	v_sub_nc_u32_e32 v10, v33, v34
	v_cndmask_b32_e64 v33, 0, 1, vcc_lo
	v_add_co_ci_u32_e32 v10, vcc_lo, 0, v10, vcc_lo
	s_delay_alu instid0(VALU_DEP_2)
	v_lshrrev_b32_e32 v14, v33, v14
; %bb.3141:                             ;   in Loop: Header=BB6_3029 Depth=2
	s_and_not1_saveexec_b32 s12, s12
; %bb.3142:                             ;   in Loop: Header=BB6_3029 Depth=2
	s_delay_alu instid0(VALU_DEP_1)
	v_bfe_u32 v10, v14, 23, 1
; %bb.3143:                             ;   in Loop: Header=BB6_3029 Depth=2
	s_or_b32 exec_lo, exec_lo, s12
	v_lshrrev_b32_e32 v14, 20, v14
	s_delay_alu instid0(VALU_DEP_2) | instskip(SKIP_2) | instid1(VALU_DEP_2)
	v_cmp_gt_i32_e32 vcc_lo, 16, v10
	v_lshrrev_b32_e32 v33, 24, v35
	v_min_i32_e32 v34, 15, v10
	v_dual_cndmask_b32 v14, 7, v14 :: v_dual_and_b32 v33, 0x80, v33
	s_delay_alu instid0(VALU_DEP_2) | instskip(NEXT) | instid1(VALU_DEP_2)
	v_lshlrev_b32_e32 v34, 3, v34
	v_and_b32_e32 v35, 7, v14
	v_or_b32_e32 v10, v10, v14
	s_delay_alu instid0(VALU_DEP_2) | instskip(NEXT) | instid1(VALU_DEP_2)
	v_or3_b32 v14, v34, v33, v35
	v_cmp_ne_u32_e32 vcc_lo, 0, v10
	s_delay_alu instid0(VALU_DEP_2)
	v_cndmask_b32_e32 v10, 0, v14, vcc_lo
.LBB6_3144:                             ;   in Loop: Header=BB6_3029 Depth=2
	s_or_b32 exec_lo, exec_lo, s29
.LBB6_3145:                             ;   in Loop: Header=BB6_3029 Depth=2
	s_delay_alu instid0(SALU_CYCLE_1) | instskip(SKIP_2) | instid1(VALU_DEP_1)
	s_or_b32 exec_lo, exec_lo, s28
	v_and_b32_e32 v14, 0xff, v15
	s_and_b32 vcc_lo, exec_lo, s27
	v_cmp_lt_i16_e64 s12, 0x7f, v14
	s_cbranch_vccz .LBB6_3155
; %bb.3146:                             ;   in Loop: Header=BB6_3029 Depth=2
	s_mov_b32 s28, 0
                                        ; implicit-def: $sgpr29
	s_delay_alu instid0(VALU_DEP_1) | instskip(NEXT) | instid1(SALU_CYCLE_1)
	s_and_saveexec_b32 vcc_lo, s12
	s_xor_b32 s12, exec_lo, vcc_lo
	s_cbranch_execnz .LBB6_3555
; %bb.3147:                             ;   in Loop: Header=BB6_3029 Depth=2
	s_or_saveexec_b32 s12, s12
	v_mov_b32_e32 v33, s29
	s_xor_b32 exec_lo, exec_lo, s12
	s_cbranch_execnz .LBB6_3558
.LBB6_3148:                             ;   in Loop: Header=BB6_3029 Depth=2
	s_or_b32 exec_lo, exec_lo, s12
	s_and_saveexec_b32 s12, s28
	s_cbranch_execz .LBB6_3150
.LBB6_3149:                             ;   in Loop: Header=BB6_3029 Depth=2
	v_bfe_u32 v36, v15, 3, 4
	v_lshlrev_b32_e32 v37, 24, v15
	s_delay_alu instid0(VALU_DEP_2) | instskip(SKIP_1) | instid1(VALU_DEP_1)
	v_cmp_eq_u32_e32 vcc_lo, 0, v36
	v_and_b32_e32 v33, 7, v15
	v_clz_i32_u32_e32 v34, v33
	s_delay_alu instid0(VALU_DEP_1) | instskip(NEXT) | instid1(VALU_DEP_1)
	v_min_u32_e32 v34, 32, v34
	v_subrev_nc_u32_e32 v35, 28, v34
	v_sub_nc_u32_e32 v34, 29, v34
	s_delay_alu instid0(VALU_DEP_1) | instskip(NEXT) | instid1(VALU_DEP_1)
	v_dual_cndmask_b32 v34, v36, v34 :: v_dual_lshlrev_b32 v35, v35, v15
	v_and_b32_e32 v35, 7, v35
	s_delay_alu instid0(VALU_DEP_2) | instskip(NEXT) | instid1(VALU_DEP_2)
	v_lshl_add_u32 v34, v34, 23, 0x3b800000
	v_cndmask_b32_e32 v33, v33, v35, vcc_lo
	v_and_b32_e32 v35, 0x80000000, v37
	s_delay_alu instid0(VALU_DEP_2) | instskip(NEXT) | instid1(VALU_DEP_1)
	v_lshlrev_b32_e32 v33, 20, v33
	v_or3_b32 v33, v35, v34, v33
.LBB6_3150:                             ;   in Loop: Header=BB6_3029 Depth=2
	s_or_b32 exec_lo, exec_lo, s12
	v_and_b32_e32 v35, 0xff, v11
	s_mov_b32 s12, 0
	s_mov_b32 s29, exec_lo
                                        ; implicit-def: $sgpr28
	s_delay_alu instid0(VALU_DEP_1)
	v_cmpx_lt_i16_e32 0x7f, v35
	s_xor_b32 s29, exec_lo, s29
	s_cbranch_execnz .LBB6_3559
; %bb.3151:                             ;   in Loop: Header=BB6_3029 Depth=2
	s_or_saveexec_b32 s29, s29
	v_mov_b32_e32 v34, s28
	s_xor_b32 exec_lo, exec_lo, s29
	s_cbranch_execnz .LBB6_3562
.LBB6_3152:                             ;   in Loop: Header=BB6_3029 Depth=2
	s_or_b32 exec_lo, exec_lo, s29
	s_and_saveexec_b32 s28, s12
	s_cbranch_execz .LBB6_3154
.LBB6_3153:                             ;   in Loop: Header=BB6_3029 Depth=2
	v_and_b32_e32 v34, 7, v11
	v_bfe_u32 v37, v11, 3, 4
	v_lshlrev_b32_e32 v38, 24, v11
	s_delay_alu instid0(VALU_DEP_3) | instskip(NEXT) | instid1(VALU_DEP_3)
	v_clz_i32_u32_e32 v35, v34
	v_cmp_eq_u32_e32 vcc_lo, 0, v37
	s_delay_alu instid0(VALU_DEP_2) | instskip(NEXT) | instid1(VALU_DEP_1)
	v_min_u32_e32 v35, 32, v35
	v_subrev_nc_u32_e32 v36, 28, v35
	v_sub_nc_u32_e32 v35, 29, v35
	s_delay_alu instid0(VALU_DEP_2) | instskip(NEXT) | instid1(VALU_DEP_1)
	v_lshlrev_b32_e32 v36, v36, v11
	v_dual_cndmask_b32 v35, v37, v35 :: v_dual_and_b32 v36, 7, v36
	s_delay_alu instid0(VALU_DEP_1) | instskip(NEXT) | instid1(VALU_DEP_2)
	v_lshl_add_u32 v35, v35, 23, 0x3b800000
	v_cndmask_b32_e32 v34, v34, v36, vcc_lo
	v_and_b32_e32 v36, 0x80000000, v38
	s_delay_alu instid0(VALU_DEP_2) | instskip(NEXT) | instid1(VALU_DEP_1)
	v_lshlrev_b32_e32 v34, 20, v34
	v_or3_b32 v34, v36, v35, v34
.LBB6_3154:                             ;   in Loop: Header=BB6_3029 Depth=2
	s_or_b32 exec_lo, exec_lo, s28
	s_delay_alu instid0(VALU_DEP_1) | instskip(SKIP_1) | instid1(VALU_DEP_1)
	v_dual_max_f32 v34, v34, v34 :: v_dual_max_f32 v33, v33, v33
	s_mov_b32 s12, 0
	v_max_f32_e32 v33, v33, v34
	s_branch .LBB6_3156
.LBB6_3155:                             ;   in Loop: Header=BB6_3029 Depth=2
	s_mov_b32 s12, -1
                                        ; implicit-def: $vgpr33
.LBB6_3156:                             ;   in Loop: Header=BB6_3029 Depth=2
	s_delay_alu instid0(SALU_CYCLE_1)
	s_and_b32 vcc_lo, exec_lo, s12
	s_cbranch_vccz .LBB6_3166
; %bb.3157:                             ;   in Loop: Header=BB6_3029 Depth=2
	s_mov_b32 s12, 0
	s_mov_b32 s29, exec_lo
                                        ; implicit-def: $sgpr28
	v_cmpx_lt_i16_e32 0x7f, v14
	s_xor_b32 s29, exec_lo, s29
	s_cbranch_execnz .LBB6_3563
; %bb.3158:                             ;   in Loop: Header=BB6_3029 Depth=2
	s_or_saveexec_b32 s29, s29
	v_mov_b32_e32 v33, s28
	s_xor_b32 exec_lo, exec_lo, s29
	s_cbranch_execnz .LBB6_3566
.LBB6_3159:                             ;   in Loop: Header=BB6_3029 Depth=2
	s_or_b32 exec_lo, exec_lo, s29
	s_and_saveexec_b32 s28, s12
	s_cbranch_execz .LBB6_3161
.LBB6_3160:                             ;   in Loop: Header=BB6_3029 Depth=2
	v_bfe_u32 v35, v15, 3, 4
	v_lshlrev_b32_e32 v36, 24, v15
	s_delay_alu instid0(VALU_DEP_2) | instskip(SKIP_1) | instid1(VALU_DEP_1)
	v_cmp_eq_u32_e32 vcc_lo, 0, v35
	v_and_b32_e32 v14, 7, v15
	v_clz_i32_u32_e32 v33, v14
	s_delay_alu instid0(VALU_DEP_1) | instskip(NEXT) | instid1(VALU_DEP_1)
	v_min_u32_e32 v33, 32, v33
	v_subrev_nc_u32_e32 v34, 28, v33
	v_sub_nc_u32_e32 v33, 29, v33
	s_delay_alu instid0(VALU_DEP_1) | instskip(NEXT) | instid1(VALU_DEP_1)
	v_dual_cndmask_b32 v33, v35, v33 :: v_dual_lshlrev_b32 v34, v34, v15
	v_and_b32_e32 v34, 7, v34
	s_delay_alu instid0(VALU_DEP_2) | instskip(NEXT) | instid1(VALU_DEP_2)
	v_lshl_add_u32 v33, v33, 23, 0x3b800000
	v_cndmask_b32_e32 v14, v14, v34, vcc_lo
	v_and_b32_e32 v34, 0x80000000, v36
	s_delay_alu instid0(VALU_DEP_2) | instskip(NEXT) | instid1(VALU_DEP_1)
	v_lshlrev_b32_e32 v14, 20, v14
	v_or3_b32 v33, v34, v33, v14
.LBB6_3161:                             ;   in Loop: Header=BB6_3029 Depth=2
	s_or_b32 exec_lo, exec_lo, s28
	v_and_b32_e32 v34, 0xff, v11
	s_mov_b32 s12, 0
	s_mov_b32 s29, exec_lo
                                        ; implicit-def: $sgpr28
	s_delay_alu instid0(VALU_DEP_1)
	v_cmpx_lt_i16_e32 0x7f, v34
	s_xor_b32 s29, exec_lo, s29
	s_cbranch_execnz .LBB6_3567
; %bb.3162:                             ;   in Loop: Header=BB6_3029 Depth=2
	s_or_saveexec_b32 s29, s29
	v_mov_b32_e32 v14, s28
	s_xor_b32 exec_lo, exec_lo, s29
	s_cbranch_execnz .LBB6_3570
.LBB6_3163:                             ;   in Loop: Header=BB6_3029 Depth=2
	s_or_b32 exec_lo, exec_lo, s29
	s_and_saveexec_b32 s28, s12
	s_cbranch_execz .LBB6_3165
.LBB6_3164:                             ;   in Loop: Header=BB6_3029 Depth=2
	v_and_b32_e32 v14, 7, v11
	v_bfe_u32 v36, v11, 3, 4
	v_lshlrev_b32_e32 v37, 24, v11
	s_delay_alu instid0(VALU_DEP_3) | instskip(NEXT) | instid1(VALU_DEP_3)
	v_clz_i32_u32_e32 v34, v14
	v_cmp_eq_u32_e32 vcc_lo, 0, v36
	s_delay_alu instid0(VALU_DEP_2) | instskip(NEXT) | instid1(VALU_DEP_1)
	v_min_u32_e32 v34, 32, v34
	v_subrev_nc_u32_e32 v35, 28, v34
	v_sub_nc_u32_e32 v34, 29, v34
	s_delay_alu instid0(VALU_DEP_1) | instskip(NEXT) | instid1(VALU_DEP_1)
	v_dual_cndmask_b32 v34, v36, v34 :: v_dual_lshlrev_b32 v35, v35, v11
	v_and_b32_e32 v35, 7, v35
	s_delay_alu instid0(VALU_DEP_2) | instskip(NEXT) | instid1(VALU_DEP_2)
	v_lshl_add_u32 v34, v34, 23, 0x3b800000
	v_dual_cndmask_b32 v14, v14, v35 :: v_dual_and_b32 v35, 0x80000000, v37
	s_delay_alu instid0(VALU_DEP_1) | instskip(NEXT) | instid1(VALU_DEP_1)
	v_lshlrev_b32_e32 v14, 20, v14
	v_or3_b32 v14, v35, v34, v14
.LBB6_3165:                             ;   in Loop: Header=BB6_3029 Depth=2
	s_or_b32 exec_lo, exec_lo, s28
	s_delay_alu instid0(VALU_DEP_1) | instskip(NEXT) | instid1(VALU_DEP_1)
	v_dual_max_f32 v14, v14, v14 :: v_dual_max_f32 v33, v33, v33
	v_min_f32_e32 v33, v33, v14
.LBB6_3166:                             ;   in Loop: Header=BB6_3029 Depth=2
	s_delay_alu instid0(VALU_DEP_1) | instskip(NEXT) | instid1(VALU_DEP_1)
	v_and_b32_e32 v14, 0x7f800000, v33
	v_cmp_ne_u32_e32 vcc_lo, 0x7f800000, v14
	v_mov_b32_e32 v14, 0x80
	s_and_saveexec_b32 s28, vcc_lo
	s_cbranch_execz .LBB6_3174
; %bb.3167:                             ;   in Loop: Header=BB6_3029 Depth=2
	v_mov_b32_e32 v14, 0
	s_mov_b32 s29, exec_lo
	v_cmpx_ne_u32_e32 0, v33
	s_cbranch_execz .LBB6_3173
; %bb.3168:                             ;   in Loop: Header=BB6_3029 Depth=2
	v_bfe_u32 v14, v33, 23, 8
	s_delay_alu instid0(VALU_DEP_1) | instskip(SKIP_1) | instid1(VALU_DEP_2)
	v_sub_nc_u32_e32 v35, 0x78, v14
	v_cmp_gt_u32_e32 vcc_lo, 0x79, v14
	v_dual_cndmask_b32 v35, 0, v35 :: v_dual_and_b32 v34, 0x7fffff, v33
	s_delay_alu instid0(VALU_DEP_1) | instskip(SKIP_2) | instid1(VALU_DEP_4)
	v_or_b32_e32 v36, 0x800000, v34
	v_cmp_eq_u32_e32 vcc_lo, 0, v14
	v_add_nc_u32_e32 v14, 0xffffff89, v14
	v_cndmask_b32_e64 v35, v35, 0x77, vcc_lo
	s_delay_alu instid0(VALU_DEP_4) | instskip(NEXT) | instid1(VALU_DEP_3)
	v_cndmask_b32_e32 v34, v36, v34, vcc_lo
	v_cndmask_b32_e64 v14, v14, 0xffffff8a, vcc_lo
	s_delay_alu instid0(VALU_DEP_3) | instskip(NEXT) | instid1(VALU_DEP_3)
	v_lshl_add_u32 v36, 0x100000, v35, -1
	v_lshrrev_b32_e32 v37, v35, v34
	v_lshlrev_b32_e64 v39, v35, 0x80000
	s_delay_alu instid0(VALU_DEP_4) | instskip(NEXT) | instid1(VALU_DEP_4)
	v_add_nc_u32_e32 v35, v35, v14
	v_and_b32_e32 v34, v36, v34
	s_delay_alu instid0(VALU_DEP_4) | instskip(NEXT) | instid1(VALU_DEP_2)
	v_bfe_u32 v38, v37, 20, 1
	v_cmp_eq_u32_e64 s12, v34, v39
	s_delay_alu instid0(VALU_DEP_2) | instskip(NEXT) | instid1(VALU_DEP_1)
	v_add_nc_u32_e32 v36, -1, v38
	v_cndmask_b32_e64 v34, 0, v36, s12
	v_lshrrev_b32_e32 v36, 23, v37
	s_mov_b32 s12, exec_lo
	s_delay_alu instid0(VALU_DEP_2) | instskip(NEXT) | instid1(VALU_DEP_2)
	v_add_nc_u32_e32 v34, v34, v37
	v_xor_b32_e32 v36, 1, v36
	s_delay_alu instid0(VALU_DEP_2) | instskip(NEXT) | instid1(VALU_DEP_1)
	v_and_b32_e32 v14, 0xfffff, v34
	v_add_nc_u32_e32 v34, v14, v37
                                        ; implicit-def: $vgpr14
	s_delay_alu instid0(VALU_DEP_3)
	v_cmpx_ne_u32_e64 v35, v36
	s_xor_b32 s12, exec_lo, s12
; %bb.3169:                             ;   in Loop: Header=BB6_3029 Depth=2
	s_delay_alu instid0(VALU_DEP_2) | instskip(SKIP_2) | instid1(VALU_DEP_2)
	v_cmp_lt_u32_e32 vcc_lo, 0xffffff, v34
	v_sub_nc_u32_e32 v14, v35, v36
	v_cndmask_b32_e64 v35, 0, 1, vcc_lo
	v_add_co_ci_u32_e32 v14, vcc_lo, 0, v14, vcc_lo
	s_delay_alu instid0(VALU_DEP_2)
	v_lshrrev_b32_e32 v34, v35, v34
; %bb.3170:                             ;   in Loop: Header=BB6_3029 Depth=2
	s_and_not1_saveexec_b32 s12, s12
; %bb.3171:                             ;   in Loop: Header=BB6_3029 Depth=2
	s_delay_alu instid0(VALU_DEP_1)
	v_bfe_u32 v14, v34, 23, 1
; %bb.3172:                             ;   in Loop: Header=BB6_3029 Depth=2
	s_or_b32 exec_lo, exec_lo, s12
	v_lshrrev_b32_e32 v34, 20, v34
	s_delay_alu instid0(VALU_DEP_2) | instskip(SKIP_2) | instid1(VALU_DEP_2)
	v_cmp_gt_i32_e32 vcc_lo, 16, v14
	v_lshrrev_b32_e32 v33, 24, v33
	v_min_i32_e32 v35, 15, v14
	v_dual_cndmask_b32 v34, 7, v34 :: v_dual_and_b32 v33, 0x80, v33
	s_delay_alu instid0(VALU_DEP_1) | instskip(SKIP_1) | instid1(VALU_DEP_2)
	v_or_b32_e32 v14, v14, v34
	v_and_b32_e32 v36, 7, v34
	v_cmp_ne_u32_e32 vcc_lo, 0, v14
	v_lshlrev_b32_e32 v35, 3, v35
	s_delay_alu instid0(VALU_DEP_1) | instskip(NEXT) | instid1(VALU_DEP_1)
	v_or3_b32 v33, v35, v33, v36
	v_cndmask_b32_e32 v14, 0, v33, vcc_lo
.LBB6_3173:                             ;   in Loop: Header=BB6_3029 Depth=2
	s_or_b32 exec_lo, exec_lo, s29
.LBB6_3174:                             ;   in Loop: Header=BB6_3029 Depth=2
	s_delay_alu instid0(SALU_CYCLE_1) | instskip(SKIP_3) | instid1(VALU_DEP_2)
	s_or_b32 exec_lo, exec_lo, s28
	v_lshrrev_b16 v34, 8, v15
	v_lshrrev_b16 v33, 8, v11
	s_and_b32 vcc_lo, exec_lo, s27
	v_cmp_lt_i16_e64 s12, 0x7f, v34
	s_cbranch_vccz .LBB6_3184
; %bb.3175:                             ;   in Loop: Header=BB6_3029 Depth=2
	s_mov_b32 s28, 0
                                        ; implicit-def: $sgpr29
	s_delay_alu instid0(VALU_DEP_1) | instskip(NEXT) | instid1(SALU_CYCLE_1)
	s_and_saveexec_b32 vcc_lo, s12
	s_xor_b32 s12, exec_lo, vcc_lo
	s_cbranch_execnz .LBB6_3571
; %bb.3176:                             ;   in Loop: Header=BB6_3029 Depth=2
	s_or_saveexec_b32 s12, s12
	v_mov_b32_e32 v35, s29
	s_xor_b32 exec_lo, exec_lo, s12
	s_cbranch_execnz .LBB6_3574
.LBB6_3177:                             ;   in Loop: Header=BB6_3029 Depth=2
	s_or_b32 exec_lo, exec_lo, s12
	s_and_saveexec_b32 s12, s28
	s_cbranch_execz .LBB6_3179
.LBB6_3178:                             ;   in Loop: Header=BB6_3029 Depth=2
	v_and_b32_e32 v35, 0xffff, v34
	s_delay_alu instid0(VALU_DEP_1) | instskip(NEXT) | instid1(VALU_DEP_1)
	v_and_b32_e32 v36, 7, v35
	v_clz_i32_u32_e32 v37, v36
	s_delay_alu instid0(VALU_DEP_1) | instskip(NEXT) | instid1(VALU_DEP_1)
	v_min_u32_e32 v37, 32, v37
	v_subrev_nc_u32_e32 v38, 28, v37
	v_sub_nc_u32_e32 v37, 29, v37
	s_delay_alu instid0(VALU_DEP_2) | instskip(SKIP_1) | instid1(VALU_DEP_2)
	v_lshlrev_b32_e32 v38, v38, v35
	v_bfe_u32 v35, v35, 3, 4
	v_and_b32_e32 v38, 7, v38
	s_delay_alu instid0(VALU_DEP_2) | instskip(SKIP_1) | instid1(VALU_DEP_3)
	v_cmp_eq_u32_e32 vcc_lo, 0, v35
	v_cndmask_b32_e32 v35, v35, v37, vcc_lo
	v_dual_cndmask_b32 v36, v36, v38 :: v_dual_lshlrev_b32 v39, 16, v15
	s_delay_alu instid0(VALU_DEP_2) | instskip(NEXT) | instid1(VALU_DEP_2)
	v_lshl_add_u32 v35, v35, 23, 0x3b800000
	v_and_b32_e32 v37, 0x80000000, v39
	s_delay_alu instid0(VALU_DEP_3) | instskip(NEXT) | instid1(VALU_DEP_1)
	v_lshlrev_b32_e32 v36, 20, v36
	v_or3_b32 v35, v37, v35, v36
.LBB6_3179:                             ;   in Loop: Header=BB6_3029 Depth=2
	s_or_b32 exec_lo, exec_lo, s12
	s_mov_b32 s12, 0
	s_mov_b32 s29, exec_lo
                                        ; implicit-def: $sgpr28
	v_cmpx_lt_i16_e32 0x7f, v33
	s_xor_b32 s29, exec_lo, s29
	s_cbranch_execnz .LBB6_3575
; %bb.3180:                             ;   in Loop: Header=BB6_3029 Depth=2
	s_or_saveexec_b32 s29, s29
	v_mov_b32_e32 v36, s28
	s_xor_b32 exec_lo, exec_lo, s29
	s_cbranch_execnz .LBB6_3578
.LBB6_3181:                             ;   in Loop: Header=BB6_3029 Depth=2
	s_or_b32 exec_lo, exec_lo, s29
	s_and_saveexec_b32 s28, s12
	s_cbranch_execz .LBB6_3183
.LBB6_3182:                             ;   in Loop: Header=BB6_3029 Depth=2
	v_and_b32_e32 v36, 0xffff, v33
	v_lshlrev_b32_e32 v48, 16, v11
	s_delay_alu instid0(VALU_DEP_2) | instskip(NEXT) | instid1(VALU_DEP_1)
	v_and_b32_e32 v37, 7, v36
	v_clz_i32_u32_e32 v38, v37
	s_delay_alu instid0(VALU_DEP_1) | instskip(NEXT) | instid1(VALU_DEP_1)
	v_min_u32_e32 v38, 32, v38
	v_subrev_nc_u32_e32 v39, 28, v38
	v_sub_nc_u32_e32 v38, 29, v38
	s_delay_alu instid0(VALU_DEP_2) | instskip(SKIP_1) | instid1(VALU_DEP_2)
	v_lshlrev_b32_e32 v39, v39, v36
	v_bfe_u32 v36, v36, 3, 4
	v_and_b32_e32 v39, 7, v39
	s_delay_alu instid0(VALU_DEP_2) | instskip(NEXT) | instid1(VALU_DEP_2)
	v_cmp_eq_u32_e32 vcc_lo, 0, v36
	v_dual_cndmask_b32 v36, v36, v38 :: v_dual_cndmask_b32 v37, v37, v39
	v_and_b32_e32 v38, 0x80000000, v48
	s_delay_alu instid0(VALU_DEP_2) | instskip(NEXT) | instid1(VALU_DEP_3)
	v_lshl_add_u32 v36, v36, 23, 0x3b800000
	v_lshlrev_b32_e32 v37, 20, v37
	s_delay_alu instid0(VALU_DEP_1)
	v_or3_b32 v36, v38, v36, v37
.LBB6_3183:                             ;   in Loop: Header=BB6_3029 Depth=2
	s_or_b32 exec_lo, exec_lo, s28
	s_delay_alu instid0(VALU_DEP_1) | instskip(SKIP_1) | instid1(VALU_DEP_1)
	v_dual_max_f32 v36, v36, v36 :: v_dual_max_f32 v35, v35, v35
	s_mov_b32 s12, 0
	v_max_f32_e32 v35, v35, v36
	s_branch .LBB6_3185
.LBB6_3184:                             ;   in Loop: Header=BB6_3029 Depth=2
	s_mov_b32 s12, -1
                                        ; implicit-def: $vgpr35
.LBB6_3185:                             ;   in Loop: Header=BB6_3029 Depth=2
	s_delay_alu instid0(SALU_CYCLE_1)
	s_and_b32 vcc_lo, exec_lo, s12
	s_cbranch_vccz .LBB6_3195
; %bb.3186:                             ;   in Loop: Header=BB6_3029 Depth=2
	s_mov_b32 s12, 0
	s_mov_b32 s29, exec_lo
                                        ; implicit-def: $sgpr28
	v_cmpx_lt_i16_e32 0x7f, v34
	s_xor_b32 s29, exec_lo, s29
	s_cbranch_execnz .LBB6_3579
; %bb.3187:                             ;   in Loop: Header=BB6_3029 Depth=2
	s_or_saveexec_b32 s29, s29
	v_mov_b32_e32 v35, s28
	s_xor_b32 exec_lo, exec_lo, s29
	s_cbranch_execnz .LBB6_3582
.LBB6_3188:                             ;   in Loop: Header=BB6_3029 Depth=2
	s_or_b32 exec_lo, exec_lo, s29
	s_and_saveexec_b32 s28, s12
	s_cbranch_execz .LBB6_3190
.LBB6_3189:                             ;   in Loop: Header=BB6_3029 Depth=2
	v_and_b32_e32 v34, 0xffff, v34
	v_lshlrev_b32_e32 v38, 16, v15
	s_delay_alu instid0(VALU_DEP_2) | instskip(NEXT) | instid1(VALU_DEP_1)
	v_and_b32_e32 v35, 7, v34
	v_clz_i32_u32_e32 v36, v35
	s_delay_alu instid0(VALU_DEP_1) | instskip(NEXT) | instid1(VALU_DEP_1)
	v_min_u32_e32 v36, 32, v36
	v_subrev_nc_u32_e32 v37, 28, v36
	v_sub_nc_u32_e32 v36, 29, v36
	s_delay_alu instid0(VALU_DEP_2) | instskip(SKIP_1) | instid1(VALU_DEP_2)
	v_lshlrev_b32_e32 v37, v37, v34
	v_bfe_u32 v34, v34, 3, 4
	v_and_b32_e32 v37, 7, v37
	s_delay_alu instid0(VALU_DEP_2) | instskip(NEXT) | instid1(VALU_DEP_2)
	v_cmp_eq_u32_e32 vcc_lo, 0, v34
	v_dual_cndmask_b32 v34, v34, v36 :: v_dual_cndmask_b32 v35, v35, v37
	v_and_b32_e32 v36, 0x80000000, v38
	s_delay_alu instid0(VALU_DEP_2) | instskip(NEXT) | instid1(VALU_DEP_3)
	v_lshl_add_u32 v34, v34, 23, 0x3b800000
	v_lshlrev_b32_e32 v35, 20, v35
	s_delay_alu instid0(VALU_DEP_1)
	v_or3_b32 v35, v36, v34, v35
.LBB6_3190:                             ;   in Loop: Header=BB6_3029 Depth=2
	s_or_b32 exec_lo, exec_lo, s28
	s_mov_b32 s12, 0
	s_mov_b32 s29, exec_lo
                                        ; implicit-def: $sgpr28
	v_cmpx_lt_i16_e32 0x7f, v33
	s_xor_b32 s29, exec_lo, s29
	s_cbranch_execnz .LBB6_3583
; %bb.3191:                             ;   in Loop: Header=BB6_3029 Depth=2
	s_or_saveexec_b32 s29, s29
	v_mov_b32_e32 v34, s28
	s_xor_b32 exec_lo, exec_lo, s29
	s_cbranch_execnz .LBB6_3586
.LBB6_3192:                             ;   in Loop: Header=BB6_3029 Depth=2
	s_or_b32 exec_lo, exec_lo, s29
	s_and_saveexec_b32 s28, s12
	s_cbranch_execz .LBB6_3194
.LBB6_3193:                             ;   in Loop: Header=BB6_3029 Depth=2
	v_and_b32_e32 v33, 0xffff, v33
	v_lshlrev_b32_e32 v38, 16, v11
	s_delay_alu instid0(VALU_DEP_2) | instskip(NEXT) | instid1(VALU_DEP_1)
	v_and_b32_e32 v34, 7, v33
	v_clz_i32_u32_e32 v36, v34
	s_delay_alu instid0(VALU_DEP_1) | instskip(NEXT) | instid1(VALU_DEP_1)
	v_min_u32_e32 v36, 32, v36
	v_subrev_nc_u32_e32 v37, 28, v36
	v_sub_nc_u32_e32 v36, 29, v36
	s_delay_alu instid0(VALU_DEP_2) | instskip(SKIP_1) | instid1(VALU_DEP_2)
	v_lshlrev_b32_e32 v37, v37, v33
	v_bfe_u32 v33, v33, 3, 4
	v_and_b32_e32 v37, 7, v37
	s_delay_alu instid0(VALU_DEP_2) | instskip(NEXT) | instid1(VALU_DEP_2)
	v_cmp_eq_u32_e32 vcc_lo, 0, v33
	v_dual_cndmask_b32 v33, v33, v36 :: v_dual_cndmask_b32 v34, v34, v37
	v_and_b32_e32 v36, 0x80000000, v38
	s_delay_alu instid0(VALU_DEP_2) | instskip(NEXT) | instid1(VALU_DEP_3)
	v_lshl_add_u32 v33, v33, 23, 0x3b800000
	v_lshlrev_b32_e32 v34, 20, v34
	s_delay_alu instid0(VALU_DEP_1)
	v_or3_b32 v34, v36, v33, v34
.LBB6_3194:                             ;   in Loop: Header=BB6_3029 Depth=2
	s_or_b32 exec_lo, exec_lo, s28
	s_delay_alu instid0(VALU_DEP_1) | instskip(NEXT) | instid1(VALU_DEP_1)
	v_dual_max_f32 v33, v34, v34 :: v_dual_max_f32 v34, v35, v35
	v_min_f32_e32 v35, v34, v33
.LBB6_3195:                             ;   in Loop: Header=BB6_3029 Depth=2
	s_delay_alu instid0(VALU_DEP_1) | instskip(NEXT) | instid1(VALU_DEP_1)
	v_and_b32_e32 v33, 0x7f800000, v35
	v_cmp_ne_u32_e32 vcc_lo, 0x7f800000, v33
	v_mov_b32_e32 v33, 0x80
	s_and_saveexec_b32 s28, vcc_lo
	s_cbranch_execz .LBB6_3203
; %bb.3196:                             ;   in Loop: Header=BB6_3029 Depth=2
	v_mov_b32_e32 v33, 0
	s_mov_b32 s29, exec_lo
	v_cmpx_ne_u32_e32 0, v35
	s_cbranch_execz .LBB6_3202
; %bb.3197:                             ;   in Loop: Header=BB6_3029 Depth=2
	v_bfe_u32 v33, v35, 23, 8
	v_and_b32_e32 v34, 0x7fffff, v35
	s_delay_alu instid0(VALU_DEP_2) | instskip(SKIP_1) | instid1(VALU_DEP_3)
	v_sub_nc_u32_e32 v36, 0x78, v33
	v_cmp_gt_u32_e32 vcc_lo, 0x79, v33
	v_or_b32_e32 v37, 0x800000, v34
	s_delay_alu instid0(VALU_DEP_3) | instskip(SKIP_2) | instid1(VALU_DEP_3)
	v_cndmask_b32_e32 v36, 0, v36, vcc_lo
	v_cmp_eq_u32_e32 vcc_lo, 0, v33
	v_add_nc_u32_e32 v33, 0xffffff89, v33
	v_cndmask_b32_e64 v36, v36, 0x77, vcc_lo
	v_cndmask_b32_e32 v34, v37, v34, vcc_lo
	s_delay_alu instid0(VALU_DEP_3) | instskip(NEXT) | instid1(VALU_DEP_3)
	v_cndmask_b32_e64 v33, v33, 0xffffff8a, vcc_lo
	v_lshl_add_u32 v37, 0x100000, v36, -1
	s_delay_alu instid0(VALU_DEP_3) | instskip(SKIP_1) | instid1(VALU_DEP_4)
	v_lshrrev_b32_e32 v38, v36, v34
	v_lshlrev_b32_e64 v48, v36, 0x80000
	v_add_nc_u32_e32 v36, v36, v33
	s_delay_alu instid0(VALU_DEP_4) | instskip(NEXT) | instid1(VALU_DEP_4)
	v_and_b32_e32 v34, v37, v34
	v_bfe_u32 v39, v38, 20, 1
	s_delay_alu instid0(VALU_DEP_2) | instskip(NEXT) | instid1(VALU_DEP_2)
	v_cmp_eq_u32_e64 s12, v34, v48
	v_add_nc_u32_e32 v37, -1, v39
	s_delay_alu instid0(VALU_DEP_1) | instskip(SKIP_2) | instid1(VALU_DEP_2)
	v_cndmask_b32_e64 v34, 0, v37, s12
	v_lshrrev_b32_e32 v37, 23, v38
	s_mov_b32 s12, exec_lo
	v_add_nc_u32_e32 v34, v34, v38
	s_delay_alu instid0(VALU_DEP_2) | instskip(NEXT) | instid1(VALU_DEP_2)
	v_xor_b32_e32 v37, 1, v37
	v_and_b32_e32 v33, 0xfffff, v34
	s_delay_alu instid0(VALU_DEP_1) | instskip(NEXT) | instid1(VALU_DEP_3)
	v_add_nc_u32_e32 v34, v33, v38
                                        ; implicit-def: $vgpr33
	v_cmpx_ne_u32_e64 v36, v37
	s_xor_b32 s12, exec_lo, s12
; %bb.3198:                             ;   in Loop: Header=BB6_3029 Depth=2
	s_delay_alu instid0(VALU_DEP_2) | instskip(SKIP_2) | instid1(VALU_DEP_2)
	v_cmp_lt_u32_e32 vcc_lo, 0xffffff, v34
	v_sub_nc_u32_e32 v33, v36, v37
	v_cndmask_b32_e64 v36, 0, 1, vcc_lo
	v_add_co_ci_u32_e32 v33, vcc_lo, 0, v33, vcc_lo
	s_delay_alu instid0(VALU_DEP_2)
	v_lshrrev_b32_e32 v34, v36, v34
; %bb.3199:                             ;   in Loop: Header=BB6_3029 Depth=2
	s_and_not1_saveexec_b32 s12, s12
; %bb.3200:                             ;   in Loop: Header=BB6_3029 Depth=2
	s_delay_alu instid0(VALU_DEP_1)
	v_bfe_u32 v33, v34, 23, 1
; %bb.3201:                             ;   in Loop: Header=BB6_3029 Depth=2
	s_or_b32 exec_lo, exec_lo, s12
	v_lshrrev_b32_e32 v34, 20, v34
	s_delay_alu instid0(VALU_DEP_2) | instskip(SKIP_2) | instid1(VALU_DEP_2)
	v_cmp_gt_i32_e32 vcc_lo, 16, v33
	v_lshrrev_b32_e32 v35, 24, v35
	v_min_i32_e32 v36, 15, v33
	v_dual_cndmask_b32 v34, 7, v34 :: v_dual_and_b32 v35, 0x80, v35
	s_delay_alu instid0(VALU_DEP_1) | instskip(SKIP_1) | instid1(VALU_DEP_2)
	v_or_b32_e32 v33, v33, v34
	v_and_b32_e32 v37, 7, v34
	v_cmp_ne_u32_e32 vcc_lo, 0, v33
	v_lshlrev_b32_e32 v36, 3, v36
	s_delay_alu instid0(VALU_DEP_1) | instskip(NEXT) | instid1(VALU_DEP_1)
	v_or3_b32 v34, v36, v35, v37
	v_cndmask_b32_e32 v33, 0, v34, vcc_lo
.LBB6_3202:                             ;   in Loop: Header=BB6_3029 Depth=2
	s_or_b32 exec_lo, exec_lo, s29
.LBB6_3203:                             ;   in Loop: Header=BB6_3029 Depth=2
	s_delay_alu instid0(SALU_CYCLE_1) | instskip(SKIP_3) | instid1(VALU_DEP_2)
	s_or_b32 exec_lo, exec_lo, s28
	v_lshrrev_b32_e32 v35, 16, v15
	v_lshrrev_b32_e32 v34, 16, v11
	s_and_b32 vcc_lo, exec_lo, s27
	v_and_b32_e32 v36, 0xff, v35
	s_delay_alu instid0(VALU_DEP_1)
	v_cmp_lt_i16_e64 s12, 0x7f, v36
	s_cbranch_vccz .LBB6_3213
; %bb.3204:                             ;   in Loop: Header=BB6_3029 Depth=2
	s_mov_b32 s28, 0
                                        ; implicit-def: $sgpr29
	s_delay_alu instid0(VALU_DEP_1) | instskip(NEXT) | instid1(SALU_CYCLE_1)
	s_and_saveexec_b32 vcc_lo, s12
	s_xor_b32 s12, exec_lo, vcc_lo
	s_cbranch_execnz .LBB6_3587
; %bb.3205:                             ;   in Loop: Header=BB6_3029 Depth=2
	s_or_saveexec_b32 s12, s12
	v_mov_b32_e32 v37, s29
	s_xor_b32 exec_lo, exec_lo, s12
	s_cbranch_execnz .LBB6_3590
.LBB6_3206:                             ;   in Loop: Header=BB6_3029 Depth=2
	s_or_b32 exec_lo, exec_lo, s12
	s_and_saveexec_b32 s12, s28
	s_cbranch_execz .LBB6_3208
.LBB6_3207:                             ;   in Loop: Header=BB6_3029 Depth=2
	v_bfe_u32 v37, v15, 16, 3
	v_bfe_u32 v48, v15, 19, 4
	v_lshlrev_b32_e32 v49, 24, v35
	s_delay_alu instid0(VALU_DEP_3) | instskip(NEXT) | instid1(VALU_DEP_3)
	v_clz_i32_u32_e32 v38, v37
	v_cmp_eq_u32_e32 vcc_lo, 0, v48
	s_delay_alu instid0(VALU_DEP_2) | instskip(NEXT) | instid1(VALU_DEP_1)
	v_min_u32_e32 v38, 32, v38
	v_subrev_nc_u32_e32 v39, 28, v38
	v_sub_nc_u32_e32 v38, 29, v38
	s_delay_alu instid0(VALU_DEP_1) | instskip(NEXT) | instid1(VALU_DEP_1)
	v_dual_cndmask_b32 v38, v48, v38 :: v_dual_lshlrev_b32 v39, v39, v35
	v_and_b32_e32 v39, 7, v39
	s_delay_alu instid0(VALU_DEP_2) | instskip(NEXT) | instid1(VALU_DEP_2)
	v_lshl_add_u32 v38, v38, 23, 0x3b800000
	v_cndmask_b32_e32 v37, v37, v39, vcc_lo
	v_and_b32_e32 v39, 0x80000000, v49
	s_delay_alu instid0(VALU_DEP_2) | instskip(NEXT) | instid1(VALU_DEP_1)
	v_lshlrev_b32_e32 v37, 20, v37
	v_or3_b32 v37, v39, v38, v37
.LBB6_3208:                             ;   in Loop: Header=BB6_3029 Depth=2
	s_or_b32 exec_lo, exec_lo, s12
	v_and_b32_e32 v39, 0xff, v34
	s_mov_b32 s12, 0
	s_mov_b32 s29, exec_lo
                                        ; implicit-def: $sgpr28
	s_delay_alu instid0(VALU_DEP_1)
	v_cmpx_lt_i16_e32 0x7f, v39
	s_xor_b32 s29, exec_lo, s29
	s_cbranch_execnz .LBB6_3591
; %bb.3209:                             ;   in Loop: Header=BB6_3029 Depth=2
	s_or_saveexec_b32 s29, s29
	v_mov_b32_e32 v38, s28
	s_xor_b32 exec_lo, exec_lo, s29
	s_cbranch_execnz .LBB6_3594
.LBB6_3210:                             ;   in Loop: Header=BB6_3029 Depth=2
	s_or_b32 exec_lo, exec_lo, s29
	s_and_saveexec_b32 s28, s12
	s_cbranch_execz .LBB6_3212
.LBB6_3211:                             ;   in Loop: Header=BB6_3029 Depth=2
	v_bfe_u32 v38, v11, 16, 3
	v_bfe_u32 v49, v11, 19, 4
	v_lshlrev_b32_e32 v50, 24, v34
	s_delay_alu instid0(VALU_DEP_3) | instskip(NEXT) | instid1(VALU_DEP_3)
	v_clz_i32_u32_e32 v39, v38
	v_cmp_eq_u32_e32 vcc_lo, 0, v49
	s_delay_alu instid0(VALU_DEP_2) | instskip(NEXT) | instid1(VALU_DEP_1)
	v_min_u32_e32 v39, 32, v39
	v_subrev_nc_u32_e32 v48, 28, v39
	v_sub_nc_u32_e32 v39, 29, v39
	s_delay_alu instid0(VALU_DEP_1) | instskip(NEXT) | instid1(VALU_DEP_1)
	v_dual_cndmask_b32 v39, v49, v39 :: v_dual_lshlrev_b32 v48, v48, v34
	v_and_b32_e32 v48, 7, v48
	s_delay_alu instid0(VALU_DEP_2) | instskip(NEXT) | instid1(VALU_DEP_2)
	v_lshl_add_u32 v39, v39, 23, 0x3b800000
	v_cndmask_b32_e32 v38, v38, v48, vcc_lo
	v_and_b32_e32 v48, 0x80000000, v50
	s_delay_alu instid0(VALU_DEP_2) | instskip(NEXT) | instid1(VALU_DEP_1)
	v_lshlrev_b32_e32 v38, 20, v38
	v_or3_b32 v38, v48, v39, v38
.LBB6_3212:                             ;   in Loop: Header=BB6_3029 Depth=2
	s_or_b32 exec_lo, exec_lo, s28
	s_delay_alu instid0(VALU_DEP_1) | instskip(SKIP_1) | instid1(VALU_DEP_1)
	v_dual_max_f32 v38, v38, v38 :: v_dual_max_f32 v37, v37, v37
	s_mov_b32 s12, 0
	v_max_f32_e32 v37, v37, v38
	s_branch .LBB6_3214
.LBB6_3213:                             ;   in Loop: Header=BB6_3029 Depth=2
	s_mov_b32 s12, -1
                                        ; implicit-def: $vgpr37
.LBB6_3214:                             ;   in Loop: Header=BB6_3029 Depth=2
	s_delay_alu instid0(SALU_CYCLE_1)
	s_and_b32 vcc_lo, exec_lo, s12
	s_cbranch_vccz .LBB6_3224
; %bb.3215:                             ;   in Loop: Header=BB6_3029 Depth=2
	s_mov_b32 s12, 0
	s_mov_b32 s29, exec_lo
                                        ; implicit-def: $sgpr28
	v_cmpx_lt_i16_e32 0x7f, v36
	s_xor_b32 s29, exec_lo, s29
	s_cbranch_execnz .LBB6_3595
; %bb.3216:                             ;   in Loop: Header=BB6_3029 Depth=2
	s_or_saveexec_b32 s29, s29
	v_mov_b32_e32 v37, s28
	s_xor_b32 exec_lo, exec_lo, s29
	s_cbranch_execnz .LBB6_3598
.LBB6_3217:                             ;   in Loop: Header=BB6_3029 Depth=2
	s_or_b32 exec_lo, exec_lo, s29
	s_and_saveexec_b32 s28, s12
	s_cbranch_execz .LBB6_3219
.LBB6_3218:                             ;   in Loop: Header=BB6_3029 Depth=2
	v_bfe_u32 v36, v15, 16, 3
	v_bfe_u32 v39, v15, 19, 4
	s_delay_alu instid0(VALU_DEP_2) | instskip(NEXT) | instid1(VALU_DEP_2)
	v_clz_i32_u32_e32 v37, v36
	v_cmp_eq_u32_e32 vcc_lo, 0, v39
	s_delay_alu instid0(VALU_DEP_2) | instskip(NEXT) | instid1(VALU_DEP_1)
	v_min_u32_e32 v37, 32, v37
	v_subrev_nc_u32_e32 v38, 28, v37
	v_sub_nc_u32_e32 v37, 29, v37
	s_delay_alu instid0(VALU_DEP_1) | instskip(NEXT) | instid1(VALU_DEP_1)
	v_dual_cndmask_b32 v37, v39, v37 :: v_dual_lshlrev_b32 v38, v38, v35
	v_and_b32_e32 v38, 7, v38
	v_lshlrev_b32_e32 v35, 24, v35
	s_delay_alu instid0(VALU_DEP_3) | instskip(NEXT) | instid1(VALU_DEP_2)
	v_lshl_add_u32 v37, v37, 23, 0x3b800000
	v_dual_cndmask_b32 v36, v36, v38 :: v_dual_and_b32 v35, 0x80000000, v35
	s_delay_alu instid0(VALU_DEP_1) | instskip(NEXT) | instid1(VALU_DEP_1)
	v_lshlrev_b32_e32 v36, 20, v36
	v_or3_b32 v37, v35, v37, v36
.LBB6_3219:                             ;   in Loop: Header=BB6_3029 Depth=2
	s_or_b32 exec_lo, exec_lo, s28
	v_and_b32_e32 v36, 0xff, v34
	s_mov_b32 s12, 0
	s_mov_b32 s29, exec_lo
                                        ; implicit-def: $sgpr28
	s_delay_alu instid0(VALU_DEP_1)
	v_cmpx_lt_i16_e32 0x7f, v36
	s_xor_b32 s29, exec_lo, s29
	s_cbranch_execnz .LBB6_3599
; %bb.3220:                             ;   in Loop: Header=BB6_3029 Depth=2
	s_or_saveexec_b32 s29, s29
	v_mov_b32_e32 v35, s28
	s_xor_b32 exec_lo, exec_lo, s29
	s_cbranch_execnz .LBB6_3602
.LBB6_3221:                             ;   in Loop: Header=BB6_3029 Depth=2
	s_or_b32 exec_lo, exec_lo, s29
	s_and_saveexec_b32 s28, s12
	s_cbranch_execz .LBB6_3223
.LBB6_3222:                             ;   in Loop: Header=BB6_3029 Depth=2
	v_bfe_u32 v35, v11, 16, 3
	v_bfe_u32 v39, v11, 19, 4
	s_delay_alu instid0(VALU_DEP_2) | instskip(NEXT) | instid1(VALU_DEP_2)
	v_clz_i32_u32_e32 v36, v35
	v_cmp_eq_u32_e32 vcc_lo, 0, v39
	s_delay_alu instid0(VALU_DEP_2) | instskip(NEXT) | instid1(VALU_DEP_1)
	v_min_u32_e32 v36, 32, v36
	v_subrev_nc_u32_e32 v38, 28, v36
	v_sub_nc_u32_e32 v36, 29, v36
	s_delay_alu instid0(VALU_DEP_2) | instskip(SKIP_1) | instid1(VALU_DEP_2)
	v_lshlrev_b32_e32 v38, v38, v34
	v_lshlrev_b32_e32 v34, 24, v34
	v_and_b32_e32 v38, 7, v38
	s_delay_alu instid0(VALU_DEP_2) | instskip(NEXT) | instid1(VALU_DEP_2)
	v_and_b32_e32 v34, 0x80000000, v34
	v_cndmask_b32_e32 v35, v35, v38, vcc_lo
	s_delay_alu instid0(VALU_DEP_1) | instskip(NEXT) | instid1(VALU_DEP_1)
	v_dual_cndmask_b32 v36, v39, v36 :: v_dual_lshlrev_b32 v35, 20, v35
	v_lshl_add_u32 v36, v36, 23, 0x3b800000
	s_delay_alu instid0(VALU_DEP_1)
	v_or3_b32 v35, v34, v36, v35
.LBB6_3223:                             ;   in Loop: Header=BB6_3029 Depth=2
	s_or_b32 exec_lo, exec_lo, s28
	s_delay_alu instid0(VALU_DEP_1) | instskip(NEXT) | instid1(VALU_DEP_1)
	v_dual_max_f32 v34, v35, v35 :: v_dual_max_f32 v35, v37, v37
	v_min_f32_e32 v37, v35, v34
.LBB6_3224:                             ;   in Loop: Header=BB6_3029 Depth=2
	s_delay_alu instid0(VALU_DEP_1) | instskip(NEXT) | instid1(VALU_DEP_1)
	v_and_b32_e32 v34, 0x7f800000, v37
	v_cmp_ne_u32_e32 vcc_lo, 0x7f800000, v34
	v_mov_b32_e32 v34, 0x80
	s_and_saveexec_b32 s28, vcc_lo
	s_cbranch_execz .LBB6_3232
; %bb.3225:                             ;   in Loop: Header=BB6_3029 Depth=2
	v_mov_b32_e32 v34, 0
	s_mov_b32 s29, exec_lo
	v_cmpx_ne_u32_e32 0, v37
	s_cbranch_execz .LBB6_3231
; %bb.3226:                             ;   in Loop: Header=BB6_3029 Depth=2
	v_bfe_u32 v34, v37, 23, 8
	s_delay_alu instid0(VALU_DEP_1) | instskip(SKIP_1) | instid1(VALU_DEP_2)
	v_sub_nc_u32_e32 v36, 0x78, v34
	v_cmp_gt_u32_e32 vcc_lo, 0x79, v34
	v_dual_cndmask_b32 v36, 0, v36 :: v_dual_and_b32 v35, 0x7fffff, v37
	s_delay_alu instid0(VALU_DEP_1) | instskip(SKIP_2) | instid1(VALU_DEP_4)
	v_or_b32_e32 v38, 0x800000, v35
	v_cmp_eq_u32_e32 vcc_lo, 0, v34
	v_add_nc_u32_e32 v34, 0xffffff89, v34
	v_cndmask_b32_e64 v36, v36, 0x77, vcc_lo
	s_delay_alu instid0(VALU_DEP_4) | instskip(NEXT) | instid1(VALU_DEP_3)
	v_cndmask_b32_e32 v35, v38, v35, vcc_lo
	v_cndmask_b32_e64 v34, v34, 0xffffff8a, vcc_lo
	s_delay_alu instid0(VALU_DEP_3) | instskip(NEXT) | instid1(VALU_DEP_3)
	v_lshl_add_u32 v38, 0x100000, v36, -1
	v_lshrrev_b32_e32 v39, v36, v35
	v_lshlrev_b32_e64 v49, v36, 0x80000
	s_delay_alu instid0(VALU_DEP_4) | instskip(NEXT) | instid1(VALU_DEP_4)
	v_add_nc_u32_e32 v36, v36, v34
	v_and_b32_e32 v35, v38, v35
	s_delay_alu instid0(VALU_DEP_4) | instskip(NEXT) | instid1(VALU_DEP_2)
	v_bfe_u32 v48, v39, 20, 1
	v_cmp_eq_u32_e64 s12, v35, v49
	s_delay_alu instid0(VALU_DEP_2) | instskip(NEXT) | instid1(VALU_DEP_1)
	v_add_nc_u32_e32 v38, -1, v48
	v_cndmask_b32_e64 v35, 0, v38, s12
	v_lshrrev_b32_e32 v38, 23, v39
	s_mov_b32 s12, exec_lo
	s_delay_alu instid0(VALU_DEP_2) | instskip(NEXT) | instid1(VALU_DEP_2)
	v_add_nc_u32_e32 v35, v35, v39
	v_xor_b32_e32 v38, 1, v38
	s_delay_alu instid0(VALU_DEP_2) | instskip(NEXT) | instid1(VALU_DEP_1)
	v_and_b32_e32 v34, 0xfffff, v35
	v_add_nc_u32_e32 v35, v34, v39
                                        ; implicit-def: $vgpr34
	s_delay_alu instid0(VALU_DEP_3)
	v_cmpx_ne_u32_e64 v36, v38
	s_xor_b32 s12, exec_lo, s12
; %bb.3227:                             ;   in Loop: Header=BB6_3029 Depth=2
	s_delay_alu instid0(VALU_DEP_2) | instskip(SKIP_2) | instid1(VALU_DEP_2)
	v_cmp_lt_u32_e32 vcc_lo, 0xffffff, v35
	v_sub_nc_u32_e32 v34, v36, v38
	v_cndmask_b32_e64 v36, 0, 1, vcc_lo
	v_add_co_ci_u32_e32 v34, vcc_lo, 0, v34, vcc_lo
	s_delay_alu instid0(VALU_DEP_2)
	v_lshrrev_b32_e32 v35, v36, v35
; %bb.3228:                             ;   in Loop: Header=BB6_3029 Depth=2
	s_and_not1_saveexec_b32 s12, s12
; %bb.3229:                             ;   in Loop: Header=BB6_3029 Depth=2
	s_delay_alu instid0(VALU_DEP_1)
	v_bfe_u32 v34, v35, 23, 1
; %bb.3230:                             ;   in Loop: Header=BB6_3029 Depth=2
	s_or_b32 exec_lo, exec_lo, s12
	v_lshrrev_b32_e32 v35, 20, v35
	s_delay_alu instid0(VALU_DEP_2) | instskip(SKIP_2) | instid1(VALU_DEP_2)
	v_cmp_gt_i32_e32 vcc_lo, 16, v34
	v_min_i32_e32 v36, 15, v34
	v_lshrrev_b32_e32 v37, 24, v37
	v_dual_cndmask_b32 v35, 7, v35 :: v_dual_lshlrev_b32 v36, 3, v36
	s_delay_alu instid0(VALU_DEP_1) | instskip(SKIP_1) | instid1(VALU_DEP_3)
	v_or_b32_e32 v34, v34, v35
	v_and_b32_e32 v38, 7, v35
	v_and_b32_e32 v36, 0xf8, v36
	s_delay_alu instid0(VALU_DEP_3) | instskip(SKIP_1) | instid1(VALU_DEP_1)
	v_cmp_ne_u32_e32 vcc_lo, 0, v34
	v_and_b32_e32 v37, 0x80, v37
	v_or3_b32 v35, v36, v37, v38
	s_delay_alu instid0(VALU_DEP_1)
	v_cndmask_b32_e32 v34, 0, v35, vcc_lo
.LBB6_3231:                             ;   in Loop: Header=BB6_3029 Depth=2
	s_or_b32 exec_lo, exec_lo, s29
.LBB6_3232:                             ;   in Loop: Header=BB6_3029 Depth=2
	s_delay_alu instid0(SALU_CYCLE_1) | instskip(SKIP_3) | instid1(VALU_DEP_2)
	s_or_b32 exec_lo, exec_lo, s28
	v_lshrrev_b32_e32 v36, 24, v15
	v_lshrrev_b32_e32 v35, 24, v11
	s_and_b32 vcc_lo, exec_lo, s27
	v_cmp_lt_i16_e64 s12, 0x7f, v36
	s_cbranch_vccz .LBB6_3242
; %bb.3233:                             ;   in Loop: Header=BB6_3029 Depth=2
	s_mov_b32 s28, 0
                                        ; implicit-def: $sgpr29
	s_delay_alu instid0(VALU_DEP_1) | instskip(NEXT) | instid1(SALU_CYCLE_1)
	s_and_saveexec_b32 vcc_lo, s12
	s_xor_b32 s12, exec_lo, vcc_lo
	s_cbranch_execnz .LBB6_3603
; %bb.3234:                             ;   in Loop: Header=BB6_3029 Depth=2
	s_or_saveexec_b32 s12, s12
	v_mov_b32_e32 v37, s29
	s_xor_b32 exec_lo, exec_lo, s12
	s_cbranch_execnz .LBB6_3606
.LBB6_3235:                             ;   in Loop: Header=BB6_3029 Depth=2
	s_or_b32 exec_lo, exec_lo, s12
	s_and_saveexec_b32 s12, s28
	s_cbranch_execz .LBB6_3237
.LBB6_3236:                             ;   in Loop: Header=BB6_3029 Depth=2
	v_bfe_u32 v37, v15, 24, 3
	v_bfe_u32 v48, v15, 27, 4
	s_delay_alu instid0(VALU_DEP_2) | instskip(NEXT) | instid1(VALU_DEP_2)
	v_clz_i32_u32_e32 v38, v37
	v_cmp_eq_u32_e32 vcc_lo, 0, v48
	s_delay_alu instid0(VALU_DEP_2) | instskip(NEXT) | instid1(VALU_DEP_1)
	v_min_u32_e32 v38, 32, v38
	v_subrev_nc_u32_e32 v39, 28, v38
	v_sub_nc_u32_e32 v38, 29, v38
	s_delay_alu instid0(VALU_DEP_1) | instskip(NEXT) | instid1(VALU_DEP_1)
	v_dual_cndmask_b32 v38, v48, v38 :: v_dual_lshlrev_b32 v39, v39, v36
	v_and_b32_e32 v39, 7, v39
	s_delay_alu instid0(VALU_DEP_2) | instskip(NEXT) | instid1(VALU_DEP_2)
	v_lshl_add_u32 v38, v38, 23, 0x3b800000
	v_cndmask_b32_e32 v37, v37, v39, vcc_lo
	v_and_b32_e32 v39, 0x80000000, v15
	s_delay_alu instid0(VALU_DEP_2) | instskip(NEXT) | instid1(VALU_DEP_1)
	v_lshlrev_b32_e32 v37, 20, v37
	v_or3_b32 v37, v39, v38, v37
.LBB6_3237:                             ;   in Loop: Header=BB6_3029 Depth=2
	s_or_b32 exec_lo, exec_lo, s12
	s_mov_b32 s12, 0
	s_mov_b32 s29, exec_lo
                                        ; implicit-def: $sgpr28
	v_cmpx_lt_i16_e32 0x7f, v35
	s_xor_b32 s29, exec_lo, s29
	s_cbranch_execnz .LBB6_3607
; %bb.3238:                             ;   in Loop: Header=BB6_3029 Depth=2
	s_or_saveexec_b32 s29, s29
	v_mov_b32_e32 v38, s28
	s_xor_b32 exec_lo, exec_lo, s29
	s_cbranch_execnz .LBB6_3610
.LBB6_3239:                             ;   in Loop: Header=BB6_3029 Depth=2
	s_or_b32 exec_lo, exec_lo, s29
	s_and_saveexec_b32 s28, s12
	s_cbranch_execz .LBB6_3241
.LBB6_3240:                             ;   in Loop: Header=BB6_3029 Depth=2
	v_bfe_u32 v38, v11, 24, 3
	v_bfe_u32 v49, v11, 27, 4
	s_delay_alu instid0(VALU_DEP_2) | instskip(NEXT) | instid1(VALU_DEP_2)
	v_clz_i32_u32_e32 v39, v38
	v_cmp_eq_u32_e32 vcc_lo, 0, v49
	s_delay_alu instid0(VALU_DEP_2) | instskip(NEXT) | instid1(VALU_DEP_1)
	v_min_u32_e32 v39, 32, v39
	v_subrev_nc_u32_e32 v48, 28, v39
	v_sub_nc_u32_e32 v39, 29, v39
	s_delay_alu instid0(VALU_DEP_2) | instskip(NEXT) | instid1(VALU_DEP_1)
	v_lshlrev_b32_e32 v48, v48, v35
	v_dual_cndmask_b32 v39, v49, v39 :: v_dual_and_b32 v48, 7, v48
	s_delay_alu instid0(VALU_DEP_1) | instskip(NEXT) | instid1(VALU_DEP_2)
	v_lshl_add_u32 v39, v39, 23, 0x3b800000
	v_cndmask_b32_e32 v38, v38, v48, vcc_lo
	v_and_b32_e32 v48, 0x80000000, v11
	s_delay_alu instid0(VALU_DEP_2) | instskip(NEXT) | instid1(VALU_DEP_1)
	v_lshlrev_b32_e32 v38, 20, v38
	v_or3_b32 v38, v48, v39, v38
.LBB6_3241:                             ;   in Loop: Header=BB6_3029 Depth=2
	s_or_b32 exec_lo, exec_lo, s28
	s_delay_alu instid0(VALU_DEP_1) | instskip(SKIP_1) | instid1(VALU_DEP_1)
	v_dual_max_f32 v38, v38, v38 :: v_dual_max_f32 v37, v37, v37
	s_mov_b32 s12, 0
	v_max_f32_e32 v37, v37, v38
	s_branch .LBB6_3243
.LBB6_3242:                             ;   in Loop: Header=BB6_3029 Depth=2
	s_mov_b32 s12, -1
                                        ; implicit-def: $vgpr37
.LBB6_3243:                             ;   in Loop: Header=BB6_3029 Depth=2
	s_delay_alu instid0(SALU_CYCLE_1)
	s_and_b32 vcc_lo, exec_lo, s12
	s_cbranch_vccz .LBB6_3253
; %bb.3244:                             ;   in Loop: Header=BB6_3029 Depth=2
	s_mov_b32 s12, 0
	s_mov_b32 s29, exec_lo
                                        ; implicit-def: $sgpr28
	v_cmpx_lt_i16_e32 0x7f, v36
	s_xor_b32 s29, exec_lo, s29
	s_cbranch_execnz .LBB6_3611
; %bb.3245:                             ;   in Loop: Header=BB6_3029 Depth=2
	s_or_saveexec_b32 s29, s29
	v_mov_b32_e32 v37, s28
	s_xor_b32 exec_lo, exec_lo, s29
	s_cbranch_execnz .LBB6_3614
.LBB6_3246:                             ;   in Loop: Header=BB6_3029 Depth=2
	s_or_b32 exec_lo, exec_lo, s29
	s_and_saveexec_b32 s28, s12
	s_cbranch_execz .LBB6_3248
.LBB6_3247:                             ;   in Loop: Header=BB6_3029 Depth=2
	v_bfe_u32 v37, v15, 24, 3
	s_delay_alu instid0(VALU_DEP_1) | instskip(NEXT) | instid1(VALU_DEP_1)
	v_clz_i32_u32_e32 v38, v37
	v_min_u32_e32 v38, 32, v38
	s_delay_alu instid0(VALU_DEP_1) | instskip(SKIP_1) | instid1(VALU_DEP_2)
	v_subrev_nc_u32_e32 v39, 28, v38
	v_sub_nc_u32_e32 v38, 29, v38
	v_lshlrev_b32_e32 v36, v39, v36
	v_bfe_u32 v39, v15, 27, 4
	v_and_b32_e32 v15, 0x80000000, v15
	s_delay_alu instid0(VALU_DEP_3) | instskip(NEXT) | instid1(VALU_DEP_3)
	v_and_b32_e32 v36, 7, v36
	v_cmp_eq_u32_e32 vcc_lo, 0, v39
	v_cndmask_b32_e32 v38, v39, v38, vcc_lo
	s_delay_alu instid0(VALU_DEP_3) | instskip(NEXT) | instid1(VALU_DEP_2)
	v_cndmask_b32_e32 v36, v37, v36, vcc_lo
	v_lshl_add_u32 v37, v38, 23, 0x3b800000
	s_delay_alu instid0(VALU_DEP_2) | instskip(NEXT) | instid1(VALU_DEP_1)
	v_lshlrev_b32_e32 v36, 20, v36
	v_or3_b32 v37, v15, v37, v36
.LBB6_3248:                             ;   in Loop: Header=BB6_3029 Depth=2
	s_or_b32 exec_lo, exec_lo, s28
	s_mov_b32 s12, 0
	s_mov_b32 s29, exec_lo
                                        ; implicit-def: $sgpr28
	v_cmpx_lt_i16_e32 0x7f, v35
	s_xor_b32 s29, exec_lo, s29
	s_cbranch_execnz .LBB6_3615
; %bb.3249:                             ;   in Loop: Header=BB6_3029 Depth=2
	s_or_saveexec_b32 s29, s29
	v_mov_b32_e32 v15, s28
	s_xor_b32 exec_lo, exec_lo, s29
	s_cbranch_execnz .LBB6_3618
.LBB6_3250:                             ;   in Loop: Header=BB6_3029 Depth=2
	s_or_b32 exec_lo, exec_lo, s29
	s_and_saveexec_b32 s28, s12
	s_cbranch_execz .LBB6_3252
.LBB6_3251:                             ;   in Loop: Header=BB6_3029 Depth=2
	v_bfe_u32 v15, v11, 24, 3
	s_delay_alu instid0(VALU_DEP_1) | instskip(NEXT) | instid1(VALU_DEP_1)
	v_clz_i32_u32_e32 v36, v15
	v_min_u32_e32 v36, 32, v36
	s_delay_alu instid0(VALU_DEP_1) | instskip(SKIP_1) | instid1(VALU_DEP_2)
	v_subrev_nc_u32_e32 v38, 28, v36
	v_sub_nc_u32_e32 v36, 29, v36
	v_lshlrev_b32_e32 v35, v38, v35
	v_bfe_u32 v38, v11, 27, 4
	v_and_b32_e32 v11, 0x80000000, v11
	s_delay_alu instid0(VALU_DEP_2) | instskip(NEXT) | instid1(VALU_DEP_4)
	v_cmp_eq_u32_e32 vcc_lo, 0, v38
	v_dual_cndmask_b32 v36, v38, v36 :: v_dual_and_b32 v35, 7, v35
	s_delay_alu instid0(VALU_DEP_1) | instskip(NEXT) | instid1(VALU_DEP_2)
	v_cndmask_b32_e32 v15, v15, v35, vcc_lo
	v_lshl_add_u32 v35, v36, 23, 0x3b800000
	s_delay_alu instid0(VALU_DEP_2) | instskip(NEXT) | instid1(VALU_DEP_1)
	v_lshlrev_b32_e32 v15, 20, v15
	v_or3_b32 v15, v11, v35, v15
.LBB6_3252:                             ;   in Loop: Header=BB6_3029 Depth=2
	s_or_b32 exec_lo, exec_lo, s28
	s_delay_alu instid0(VALU_DEP_1) | instskip(SKIP_1) | instid1(VALU_DEP_1)
	v_max_f32_e32 v11, v15, v15
	v_max_f32_e32 v15, v37, v37
	v_min_f32_e32 v37, v15, v11
.LBB6_3253:                             ;   in Loop: Header=BB6_3029 Depth=2
	s_delay_alu instid0(VALU_DEP_1) | instskip(NEXT) | instid1(VALU_DEP_1)
	v_and_b32_e32 v11, 0x7f800000, v37
	v_cmp_ne_u32_e32 vcc_lo, 0x7f800000, v11
	v_mov_b32_e32 v11, 0x8000
	s_and_saveexec_b32 s28, vcc_lo
	s_cbranch_execz .LBB6_3261
; %bb.3254:                             ;   in Loop: Header=BB6_3029 Depth=2
	v_mov_b32_e32 v11, 0
	s_mov_b32 s29, exec_lo
	v_cmpx_ne_u32_e32 0, v37
	s_cbranch_execz .LBB6_3260
; %bb.3255:                             ;   in Loop: Header=BB6_3029 Depth=2
	v_bfe_u32 v11, v37, 23, 8
	v_and_b32_e32 v15, 0x7fffff, v37
	s_delay_alu instid0(VALU_DEP_2) | instskip(SKIP_1) | instid1(VALU_DEP_3)
	v_sub_nc_u32_e32 v35, 0x78, v11
	v_cmp_gt_u32_e32 vcc_lo, 0x79, v11
	v_or_b32_e32 v36, 0x800000, v15
	s_delay_alu instid0(VALU_DEP_3) | instskip(SKIP_2) | instid1(VALU_DEP_3)
	v_cndmask_b32_e32 v35, 0, v35, vcc_lo
	v_cmp_eq_u32_e32 vcc_lo, 0, v11
	v_add_nc_u32_e32 v11, 0xffffff89, v11
	v_cndmask_b32_e64 v35, v35, 0x77, vcc_lo
	v_cndmask_b32_e32 v15, v36, v15, vcc_lo
	s_delay_alu instid0(VALU_DEP_3) | instskip(NEXT) | instid1(VALU_DEP_3)
	v_cndmask_b32_e64 v11, v11, 0xffffff8a, vcc_lo
	v_lshl_add_u32 v36, 0x100000, v35, -1
	s_delay_alu instid0(VALU_DEP_3) | instskip(SKIP_1) | instid1(VALU_DEP_4)
	v_lshrrev_b32_e32 v38, v35, v15
	v_lshlrev_b32_e64 v48, v35, 0x80000
	v_add_nc_u32_e32 v35, v35, v11
	s_delay_alu instid0(VALU_DEP_4) | instskip(NEXT) | instid1(VALU_DEP_4)
	v_and_b32_e32 v15, v36, v15
	v_bfe_u32 v39, v38, 20, 1
	s_delay_alu instid0(VALU_DEP_2) | instskip(NEXT) | instid1(VALU_DEP_2)
	v_cmp_eq_u32_e64 s12, v15, v48
	v_add_nc_u32_e32 v36, -1, v39
	s_delay_alu instid0(VALU_DEP_1) | instskip(SKIP_2) | instid1(VALU_DEP_2)
	v_cndmask_b32_e64 v15, 0, v36, s12
	v_lshrrev_b32_e32 v36, 23, v38
	s_mov_b32 s12, exec_lo
	v_add_nc_u32_e32 v15, v15, v38
	s_delay_alu instid0(VALU_DEP_2) | instskip(NEXT) | instid1(VALU_DEP_2)
	v_xor_b32_e32 v36, 1, v36
	v_and_b32_e32 v11, 0xfffff, v15
	s_delay_alu instid0(VALU_DEP_1) | instskip(NEXT) | instid1(VALU_DEP_3)
	v_add_nc_u32_e32 v15, v11, v38
                                        ; implicit-def: $vgpr11
	v_cmpx_ne_u32_e64 v35, v36
	s_xor_b32 s12, exec_lo, s12
; %bb.3256:                             ;   in Loop: Header=BB6_3029 Depth=2
	s_delay_alu instid0(VALU_DEP_2) | instskip(SKIP_2) | instid1(VALU_DEP_2)
	v_cmp_lt_u32_e32 vcc_lo, 0xffffff, v15
	v_sub_nc_u32_e32 v11, v35, v36
	v_cndmask_b32_e64 v35, 0, 1, vcc_lo
	v_add_co_ci_u32_e32 v11, vcc_lo, 0, v11, vcc_lo
	s_delay_alu instid0(VALU_DEP_2)
	v_lshrrev_b32_e32 v15, v35, v15
; %bb.3257:                             ;   in Loop: Header=BB6_3029 Depth=2
	s_and_not1_saveexec_b32 s12, s12
; %bb.3258:                             ;   in Loop: Header=BB6_3029 Depth=2
	s_delay_alu instid0(VALU_DEP_1)
	v_bfe_u32 v11, v15, 23, 1
; %bb.3259:                             ;   in Loop: Header=BB6_3029 Depth=2
	s_or_b32 exec_lo, exec_lo, s12
	v_lshrrev_b32_e32 v15, 20, v15
	s_delay_alu instid0(VALU_DEP_2) | instskip(SKIP_2) | instid1(VALU_DEP_3)
	v_min_i32_e32 v35, 15, v11
	v_cmp_gt_i32_e32 vcc_lo, 16, v11
	v_lshrrev_b32_e32 v36, 24, v37
	v_lshlrev_b32_e32 v35, 3, v35
	s_delay_alu instid0(VALU_DEP_2) | instskip(NEXT) | instid1(VALU_DEP_2)
	v_dual_cndmask_b32 v15, 7, v15 :: v_dual_and_b32 v36, 0x80, v36
	v_and_b32_e32 v35, 0xf8, v35
	s_delay_alu instid0(VALU_DEP_2) | instskip(SKIP_1) | instid1(VALU_DEP_2)
	v_and_b32_e32 v37, 7, v15
	v_or_b32_e32 v11, v11, v15
	v_or3_b32 v35, v36, v35, v37
	s_delay_alu instid0(VALU_DEP_2) | instskip(NEXT) | instid1(VALU_DEP_2)
	v_cmp_ne_u32_e32 vcc_lo, 0, v11
	v_lshlrev_b32_e32 v15, 8, v35
	s_delay_alu instid0(VALU_DEP_1)
	v_cndmask_b32_e32 v11, 0, v15, vcc_lo
.LBB6_3260:                             ;   in Loop: Header=BB6_3029 Depth=2
	s_or_b32 exec_lo, exec_lo, s29
.LBB6_3261:                             ;   in Loop: Header=BB6_3029 Depth=2
	s_delay_alu instid0(SALU_CYCLE_1) | instskip(SKIP_2) | instid1(VALU_DEP_1)
	s_or_b32 exec_lo, exec_lo, s28
	v_and_b32_e32 v15, 0xff, v16
	s_and_b32 vcc_lo, exec_lo, s27
	v_cmp_lt_i16_e64 s12, 0x7f, v15
	s_cbranch_vccz .LBB6_3271
; %bb.3262:                             ;   in Loop: Header=BB6_3029 Depth=2
	s_mov_b32 s28, 0
                                        ; implicit-def: $sgpr29
	s_delay_alu instid0(VALU_DEP_1) | instskip(NEXT) | instid1(SALU_CYCLE_1)
	s_and_saveexec_b32 vcc_lo, s12
	s_xor_b32 s12, exec_lo, vcc_lo
	s_cbranch_execnz .LBB6_3619
; %bb.3263:                             ;   in Loop: Header=BB6_3029 Depth=2
	s_or_saveexec_b32 s12, s12
	v_mov_b32_e32 v35, s29
	s_xor_b32 exec_lo, exec_lo, s12
	s_cbranch_execnz .LBB6_3622
.LBB6_3264:                             ;   in Loop: Header=BB6_3029 Depth=2
	s_or_b32 exec_lo, exec_lo, s12
	s_and_saveexec_b32 s12, s28
	s_cbranch_execz .LBB6_3266
.LBB6_3265:                             ;   in Loop: Header=BB6_3029 Depth=2
	v_and_b32_e32 v35, 7, v16
	v_bfe_u32 v38, v16, 3, 4
	v_lshlrev_b32_e32 v39, 24, v16
	s_delay_alu instid0(VALU_DEP_3) | instskip(NEXT) | instid1(VALU_DEP_3)
	v_clz_i32_u32_e32 v36, v35
	v_cmp_eq_u32_e32 vcc_lo, 0, v38
	s_delay_alu instid0(VALU_DEP_2) | instskip(NEXT) | instid1(VALU_DEP_1)
	v_min_u32_e32 v36, 32, v36
	v_subrev_nc_u32_e32 v37, 28, v36
	v_sub_nc_u32_e32 v36, 29, v36
	s_delay_alu instid0(VALU_DEP_2) | instskip(NEXT) | instid1(VALU_DEP_1)
	v_lshlrev_b32_e32 v37, v37, v16
	v_dual_cndmask_b32 v36, v38, v36 :: v_dual_and_b32 v37, 7, v37
	s_delay_alu instid0(VALU_DEP_1) | instskip(NEXT) | instid1(VALU_DEP_2)
	v_lshl_add_u32 v36, v36, 23, 0x3b800000
	v_cndmask_b32_e32 v35, v35, v37, vcc_lo
	v_and_b32_e32 v37, 0x80000000, v39
	s_delay_alu instid0(VALU_DEP_2) | instskip(NEXT) | instid1(VALU_DEP_1)
	v_lshlrev_b32_e32 v35, 20, v35
	v_or3_b32 v35, v37, v36, v35
.LBB6_3266:                             ;   in Loop: Header=BB6_3029 Depth=2
	s_or_b32 exec_lo, exec_lo, s12
	v_and_b32_e32 v37, 0xff, v12
	s_mov_b32 s12, 0
	s_mov_b32 s29, exec_lo
                                        ; implicit-def: $sgpr28
	s_delay_alu instid0(VALU_DEP_1)
	v_cmpx_lt_i16_e32 0x7f, v37
	s_xor_b32 s29, exec_lo, s29
	s_cbranch_execnz .LBB6_3623
; %bb.3267:                             ;   in Loop: Header=BB6_3029 Depth=2
	s_or_saveexec_b32 s29, s29
	v_mov_b32_e32 v36, s28
	s_xor_b32 exec_lo, exec_lo, s29
	s_cbranch_execnz .LBB6_3626
.LBB6_3268:                             ;   in Loop: Header=BB6_3029 Depth=2
	s_or_b32 exec_lo, exec_lo, s29
	s_and_saveexec_b32 s28, s12
	s_cbranch_execz .LBB6_3270
.LBB6_3269:                             ;   in Loop: Header=BB6_3029 Depth=2
	v_bfe_u32 v39, v12, 3, 4
	v_lshlrev_b32_e32 v48, 24, v12
	s_delay_alu instid0(VALU_DEP_2) | instskip(SKIP_1) | instid1(VALU_DEP_1)
	v_cmp_eq_u32_e32 vcc_lo, 0, v39
	v_and_b32_e32 v36, 7, v12
	v_clz_i32_u32_e32 v37, v36
	s_delay_alu instid0(VALU_DEP_1) | instskip(NEXT) | instid1(VALU_DEP_1)
	v_min_u32_e32 v37, 32, v37
	v_subrev_nc_u32_e32 v38, 28, v37
	v_sub_nc_u32_e32 v37, 29, v37
	s_delay_alu instid0(VALU_DEP_1) | instskip(NEXT) | instid1(VALU_DEP_1)
	v_dual_cndmask_b32 v37, v39, v37 :: v_dual_lshlrev_b32 v38, v38, v12
	v_and_b32_e32 v38, 7, v38
	s_delay_alu instid0(VALU_DEP_2) | instskip(NEXT) | instid1(VALU_DEP_2)
	v_lshl_add_u32 v37, v37, 23, 0x3b800000
	v_cndmask_b32_e32 v36, v36, v38, vcc_lo
	v_and_b32_e32 v38, 0x80000000, v48
	s_delay_alu instid0(VALU_DEP_2) | instskip(NEXT) | instid1(VALU_DEP_1)
	v_lshlrev_b32_e32 v36, 20, v36
	v_or3_b32 v36, v38, v37, v36
.LBB6_3270:                             ;   in Loop: Header=BB6_3029 Depth=2
	s_or_b32 exec_lo, exec_lo, s28
	s_delay_alu instid0(VALU_DEP_1) | instskip(SKIP_1) | instid1(VALU_DEP_1)
	v_dual_max_f32 v36, v36, v36 :: v_dual_max_f32 v35, v35, v35
	s_mov_b32 s12, 0
	v_max_f32_e32 v35, v35, v36
	s_branch .LBB6_3272
.LBB6_3271:                             ;   in Loop: Header=BB6_3029 Depth=2
	s_mov_b32 s12, -1
                                        ; implicit-def: $vgpr35
.LBB6_3272:                             ;   in Loop: Header=BB6_3029 Depth=2
	s_delay_alu instid0(SALU_CYCLE_1)
	s_and_b32 vcc_lo, exec_lo, s12
	s_cbranch_vccz .LBB6_3282
; %bb.3273:                             ;   in Loop: Header=BB6_3029 Depth=2
	s_mov_b32 s12, 0
	s_mov_b32 s29, exec_lo
                                        ; implicit-def: $sgpr28
	v_cmpx_lt_i16_e32 0x7f, v15
	s_xor_b32 s29, exec_lo, s29
	s_cbranch_execnz .LBB6_3627
; %bb.3274:                             ;   in Loop: Header=BB6_3029 Depth=2
	s_or_saveexec_b32 s29, s29
	v_mov_b32_e32 v35, s28
	s_xor_b32 exec_lo, exec_lo, s29
	s_cbranch_execnz .LBB6_3630
.LBB6_3275:                             ;   in Loop: Header=BB6_3029 Depth=2
	s_or_b32 exec_lo, exec_lo, s29
	s_and_saveexec_b32 s28, s12
	s_cbranch_execz .LBB6_3277
.LBB6_3276:                             ;   in Loop: Header=BB6_3029 Depth=2
	v_and_b32_e32 v15, 7, v16
	v_bfe_u32 v37, v16, 3, 4
	v_lshlrev_b32_e32 v38, 24, v16
	s_delay_alu instid0(VALU_DEP_3) | instskip(NEXT) | instid1(VALU_DEP_3)
	v_clz_i32_u32_e32 v35, v15
	v_cmp_eq_u32_e32 vcc_lo, 0, v37
	s_delay_alu instid0(VALU_DEP_2) | instskip(NEXT) | instid1(VALU_DEP_1)
	v_min_u32_e32 v35, 32, v35
	v_subrev_nc_u32_e32 v36, 28, v35
	v_sub_nc_u32_e32 v35, 29, v35
	s_delay_alu instid0(VALU_DEP_1) | instskip(NEXT) | instid1(VALU_DEP_1)
	v_dual_cndmask_b32 v35, v37, v35 :: v_dual_lshlrev_b32 v36, v36, v16
	v_and_b32_e32 v36, 7, v36
	s_delay_alu instid0(VALU_DEP_2) | instskip(NEXT) | instid1(VALU_DEP_2)
	v_lshl_add_u32 v35, v35, 23, 0x3b800000
	v_dual_cndmask_b32 v15, v15, v36 :: v_dual_and_b32 v36, 0x80000000, v38
	s_delay_alu instid0(VALU_DEP_1) | instskip(NEXT) | instid1(VALU_DEP_1)
	v_lshlrev_b32_e32 v15, 20, v15
	v_or3_b32 v35, v36, v35, v15
.LBB6_3277:                             ;   in Loop: Header=BB6_3029 Depth=2
	s_or_b32 exec_lo, exec_lo, s28
	v_and_b32_e32 v36, 0xff, v12
	s_mov_b32 s12, 0
	s_mov_b32 s29, exec_lo
                                        ; implicit-def: $sgpr28
	s_delay_alu instid0(VALU_DEP_1)
	v_cmpx_lt_i16_e32 0x7f, v36
	s_xor_b32 s29, exec_lo, s29
	s_cbranch_execnz .LBB6_3631
; %bb.3278:                             ;   in Loop: Header=BB6_3029 Depth=2
	s_or_saveexec_b32 s29, s29
	v_mov_b32_e32 v15, s28
	s_xor_b32 exec_lo, exec_lo, s29
	s_cbranch_execnz .LBB6_3634
.LBB6_3279:                             ;   in Loop: Header=BB6_3029 Depth=2
	s_or_b32 exec_lo, exec_lo, s29
	s_and_saveexec_b32 s28, s12
	s_cbranch_execz .LBB6_3281
.LBB6_3280:                             ;   in Loop: Header=BB6_3029 Depth=2
	v_and_b32_e32 v15, 7, v12
	v_bfe_u32 v38, v12, 3, 4
	v_lshlrev_b32_e32 v39, 24, v12
	s_delay_alu instid0(VALU_DEP_3) | instskip(NEXT) | instid1(VALU_DEP_3)
	v_clz_i32_u32_e32 v36, v15
	v_cmp_eq_u32_e32 vcc_lo, 0, v38
	s_delay_alu instid0(VALU_DEP_2) | instskip(NEXT) | instid1(VALU_DEP_1)
	v_min_u32_e32 v36, 32, v36
	v_subrev_nc_u32_e32 v37, 28, v36
	v_sub_nc_u32_e32 v36, 29, v36
	s_delay_alu instid0(VALU_DEP_2) | instskip(NEXT) | instid1(VALU_DEP_1)
	v_lshlrev_b32_e32 v37, v37, v12
	v_dual_cndmask_b32 v36, v38, v36 :: v_dual_and_b32 v37, 7, v37
	s_delay_alu instid0(VALU_DEP_1) | instskip(NEXT) | instid1(VALU_DEP_2)
	v_lshl_add_u32 v36, v36, 23, 0x3b800000
	v_cndmask_b32_e32 v15, v15, v37, vcc_lo
	v_and_b32_e32 v37, 0x80000000, v39
	s_delay_alu instid0(VALU_DEP_2) | instskip(NEXT) | instid1(VALU_DEP_1)
	v_lshlrev_b32_e32 v15, 20, v15
	v_or3_b32 v15, v37, v36, v15
.LBB6_3281:                             ;   in Loop: Header=BB6_3029 Depth=2
	s_or_b32 exec_lo, exec_lo, s28
	s_delay_alu instid0(VALU_DEP_1) | instskip(SKIP_1) | instid1(VALU_DEP_1)
	v_max_f32_e32 v15, v15, v15
	v_max_f32_e32 v35, v35, v35
	v_min_f32_e32 v35, v35, v15
.LBB6_3282:                             ;   in Loop: Header=BB6_3029 Depth=2
	s_delay_alu instid0(VALU_DEP_1) | instskip(NEXT) | instid1(VALU_DEP_1)
	v_and_b32_e32 v15, 0x7f800000, v35
	v_cmp_ne_u32_e32 vcc_lo, 0x7f800000, v15
	v_mov_b32_e32 v15, 0x80
	s_and_saveexec_b32 s28, vcc_lo
	s_cbranch_execz .LBB6_3290
; %bb.3283:                             ;   in Loop: Header=BB6_3029 Depth=2
	v_mov_b32_e32 v15, 0
	s_mov_b32 s29, exec_lo
	v_cmpx_ne_u32_e32 0, v35
	s_cbranch_execz .LBB6_3289
; %bb.3284:                             ;   in Loop: Header=BB6_3029 Depth=2
	v_bfe_u32 v15, v35, 23, 8
	s_delay_alu instid0(VALU_DEP_1) | instskip(SKIP_1) | instid1(VALU_DEP_2)
	v_sub_nc_u32_e32 v37, 0x78, v15
	v_cmp_gt_u32_e32 vcc_lo, 0x79, v15
	v_dual_cndmask_b32 v37, 0, v37 :: v_dual_and_b32 v36, 0x7fffff, v35
	s_delay_alu instid0(VALU_DEP_1) | instskip(SKIP_2) | instid1(VALU_DEP_4)
	v_or_b32_e32 v38, 0x800000, v36
	v_cmp_eq_u32_e32 vcc_lo, 0, v15
	v_add_nc_u32_e32 v15, 0xffffff89, v15
	v_cndmask_b32_e64 v37, v37, 0x77, vcc_lo
	s_delay_alu instid0(VALU_DEP_4) | instskip(NEXT) | instid1(VALU_DEP_3)
	v_cndmask_b32_e32 v36, v38, v36, vcc_lo
	v_cndmask_b32_e64 v15, v15, 0xffffff8a, vcc_lo
	s_delay_alu instid0(VALU_DEP_3) | instskip(NEXT) | instid1(VALU_DEP_3)
	v_lshl_add_u32 v38, 0x100000, v37, -1
	v_lshrrev_b32_e32 v39, v37, v36
	v_lshlrev_b32_e64 v49, v37, 0x80000
	s_delay_alu instid0(VALU_DEP_4) | instskip(NEXT) | instid1(VALU_DEP_4)
	v_add_nc_u32_e32 v37, v37, v15
	v_and_b32_e32 v36, v38, v36
	s_delay_alu instid0(VALU_DEP_4) | instskip(NEXT) | instid1(VALU_DEP_2)
	v_bfe_u32 v48, v39, 20, 1
	v_cmp_eq_u32_e64 s12, v36, v49
	s_delay_alu instid0(VALU_DEP_2) | instskip(NEXT) | instid1(VALU_DEP_1)
	v_add_nc_u32_e32 v38, -1, v48
	v_cndmask_b32_e64 v36, 0, v38, s12
	v_lshrrev_b32_e32 v38, 23, v39
	s_mov_b32 s12, exec_lo
	s_delay_alu instid0(VALU_DEP_2) | instskip(NEXT) | instid1(VALU_DEP_2)
	v_add_nc_u32_e32 v36, v36, v39
	v_xor_b32_e32 v38, 1, v38
	s_delay_alu instid0(VALU_DEP_2) | instskip(NEXT) | instid1(VALU_DEP_1)
	v_and_b32_e32 v15, 0xfffff, v36
	v_add_nc_u32_e32 v36, v15, v39
                                        ; implicit-def: $vgpr15
	s_delay_alu instid0(VALU_DEP_3)
	v_cmpx_ne_u32_e64 v37, v38
	s_xor_b32 s12, exec_lo, s12
; %bb.3285:                             ;   in Loop: Header=BB6_3029 Depth=2
	s_delay_alu instid0(VALU_DEP_2) | instskip(SKIP_2) | instid1(VALU_DEP_2)
	v_cmp_lt_u32_e32 vcc_lo, 0xffffff, v36
	v_sub_nc_u32_e32 v15, v37, v38
	v_cndmask_b32_e64 v37, 0, 1, vcc_lo
	v_add_co_ci_u32_e32 v15, vcc_lo, 0, v15, vcc_lo
	s_delay_alu instid0(VALU_DEP_2)
	v_lshrrev_b32_e32 v36, v37, v36
; %bb.3286:                             ;   in Loop: Header=BB6_3029 Depth=2
	s_and_not1_saveexec_b32 s12, s12
; %bb.3287:                             ;   in Loop: Header=BB6_3029 Depth=2
	s_delay_alu instid0(VALU_DEP_1)
	v_bfe_u32 v15, v36, 23, 1
; %bb.3288:                             ;   in Loop: Header=BB6_3029 Depth=2
	s_or_b32 exec_lo, exec_lo, s12
	v_lshrrev_b32_e32 v36, 20, v36
	s_delay_alu instid0(VALU_DEP_2) | instskip(SKIP_2) | instid1(VALU_DEP_2)
	v_cmp_gt_i32_e32 vcc_lo, 16, v15
	v_lshrrev_b32_e32 v35, 24, v35
	v_min_i32_e32 v37, 15, v15
	v_dual_cndmask_b32 v36, 7, v36 :: v_dual_and_b32 v35, 0x80, v35
	s_delay_alu instid0(VALU_DEP_2) | instskip(NEXT) | instid1(VALU_DEP_2)
	v_lshlrev_b32_e32 v37, 3, v37
	v_or_b32_e32 v15, v15, v36
	s_delay_alu instid0(VALU_DEP_1) | instskip(SKIP_1) | instid1(VALU_DEP_1)
	v_cmp_ne_u32_e32 vcc_lo, 0, v15
	v_and_b32_e32 v38, 7, v36
	v_or3_b32 v35, v37, v35, v38
	s_delay_alu instid0(VALU_DEP_1)
	v_cndmask_b32_e32 v15, 0, v35, vcc_lo
.LBB6_3289:                             ;   in Loop: Header=BB6_3029 Depth=2
	s_or_b32 exec_lo, exec_lo, s29
.LBB6_3290:                             ;   in Loop: Header=BB6_3029 Depth=2
	s_delay_alu instid0(SALU_CYCLE_1) | instskip(SKIP_3) | instid1(VALU_DEP_2)
	s_or_b32 exec_lo, exec_lo, s28
	v_lshrrev_b16 v36, 8, v16
	v_lshrrev_b16 v35, 8, v12
	s_and_b32 vcc_lo, exec_lo, s27
	v_cmp_lt_i16_e64 s12, 0x7f, v36
	s_cbranch_vccz .LBB6_3300
; %bb.3291:                             ;   in Loop: Header=BB6_3029 Depth=2
	s_mov_b32 s28, 0
                                        ; implicit-def: $sgpr29
	s_delay_alu instid0(VALU_DEP_1) | instskip(NEXT) | instid1(SALU_CYCLE_1)
	s_and_saveexec_b32 vcc_lo, s12
	s_xor_b32 s12, exec_lo, vcc_lo
	s_cbranch_execnz .LBB6_3635
; %bb.3292:                             ;   in Loop: Header=BB6_3029 Depth=2
	s_or_saveexec_b32 s12, s12
	v_mov_b32_e32 v37, s29
	s_xor_b32 exec_lo, exec_lo, s12
	s_cbranch_execnz .LBB6_3638
.LBB6_3293:                             ;   in Loop: Header=BB6_3029 Depth=2
	s_or_b32 exec_lo, exec_lo, s12
	s_and_saveexec_b32 s12, s28
	s_cbranch_execz .LBB6_3295
.LBB6_3294:                             ;   in Loop: Header=BB6_3029 Depth=2
	v_and_b32_e32 v37, 0xffff, v36
	v_lshlrev_b32_e32 v49, 16, v16
	s_delay_alu instid0(VALU_DEP_2) | instskip(NEXT) | instid1(VALU_DEP_1)
	v_and_b32_e32 v38, 7, v37
	v_clz_i32_u32_e32 v39, v38
	s_delay_alu instid0(VALU_DEP_1) | instskip(NEXT) | instid1(VALU_DEP_1)
	v_min_u32_e32 v39, 32, v39
	v_subrev_nc_u32_e32 v48, 28, v39
	v_sub_nc_u32_e32 v39, 29, v39
	s_delay_alu instid0(VALU_DEP_2) | instskip(SKIP_1) | instid1(VALU_DEP_2)
	v_lshlrev_b32_e32 v48, v48, v37
	v_bfe_u32 v37, v37, 3, 4
	v_and_b32_e32 v48, 7, v48
	s_delay_alu instid0(VALU_DEP_2) | instskip(NEXT) | instid1(VALU_DEP_2)
	v_cmp_eq_u32_e32 vcc_lo, 0, v37
	v_dual_cndmask_b32 v37, v37, v39 :: v_dual_cndmask_b32 v38, v38, v48
	v_and_b32_e32 v39, 0x80000000, v49
	s_delay_alu instid0(VALU_DEP_2) | instskip(NEXT) | instid1(VALU_DEP_3)
	v_lshl_add_u32 v37, v37, 23, 0x3b800000
	v_lshlrev_b32_e32 v38, 20, v38
	s_delay_alu instid0(VALU_DEP_1)
	v_or3_b32 v37, v39, v37, v38
.LBB6_3295:                             ;   in Loop: Header=BB6_3029 Depth=2
	s_or_b32 exec_lo, exec_lo, s12
	s_mov_b32 s12, 0
	s_mov_b32 s29, exec_lo
                                        ; implicit-def: $sgpr28
	v_cmpx_lt_i16_e32 0x7f, v35
	s_xor_b32 s29, exec_lo, s29
	s_cbranch_execnz .LBB6_3639
; %bb.3296:                             ;   in Loop: Header=BB6_3029 Depth=2
	s_or_saveexec_b32 s29, s29
	v_mov_b32_e32 v38, s28
	s_xor_b32 exec_lo, exec_lo, s29
	s_cbranch_execnz .LBB6_3642
.LBB6_3297:                             ;   in Loop: Header=BB6_3029 Depth=2
	s_or_b32 exec_lo, exec_lo, s29
	s_and_saveexec_b32 s28, s12
	s_cbranch_execz .LBB6_3299
.LBB6_3298:                             ;   in Loop: Header=BB6_3029 Depth=2
	v_and_b32_e32 v38, 0xffff, v35
	v_lshlrev_b32_e32 v50, 16, v12
	s_delay_alu instid0(VALU_DEP_2) | instskip(NEXT) | instid1(VALU_DEP_1)
	v_and_b32_e32 v39, 7, v38
	v_clz_i32_u32_e32 v48, v39
	s_delay_alu instid0(VALU_DEP_1) | instskip(NEXT) | instid1(VALU_DEP_1)
	v_min_u32_e32 v48, 32, v48
	v_subrev_nc_u32_e32 v49, 28, v48
	v_sub_nc_u32_e32 v48, 29, v48
	s_delay_alu instid0(VALU_DEP_2) | instskip(SKIP_1) | instid1(VALU_DEP_2)
	v_lshlrev_b32_e32 v49, v49, v38
	v_bfe_u32 v38, v38, 3, 4
	v_and_b32_e32 v49, 7, v49
	s_delay_alu instid0(VALU_DEP_2) | instskip(NEXT) | instid1(VALU_DEP_2)
	v_cmp_eq_u32_e32 vcc_lo, 0, v38
	v_dual_cndmask_b32 v38, v38, v48 :: v_dual_cndmask_b32 v39, v39, v49
	v_and_b32_e32 v48, 0x80000000, v50
	s_delay_alu instid0(VALU_DEP_2) | instskip(NEXT) | instid1(VALU_DEP_3)
	v_lshl_add_u32 v38, v38, 23, 0x3b800000
	v_lshlrev_b32_e32 v39, 20, v39
	s_delay_alu instid0(VALU_DEP_1)
	v_or3_b32 v38, v48, v38, v39
.LBB6_3299:                             ;   in Loop: Header=BB6_3029 Depth=2
	s_or_b32 exec_lo, exec_lo, s28
	s_delay_alu instid0(VALU_DEP_1) | instskip(SKIP_1) | instid1(VALU_DEP_1)
	v_dual_max_f32 v38, v38, v38 :: v_dual_max_f32 v37, v37, v37
	s_mov_b32 s12, 0
	v_max_f32_e32 v37, v37, v38
	s_branch .LBB6_3301
.LBB6_3300:                             ;   in Loop: Header=BB6_3029 Depth=2
	s_mov_b32 s12, -1
                                        ; implicit-def: $vgpr37
.LBB6_3301:                             ;   in Loop: Header=BB6_3029 Depth=2
	s_delay_alu instid0(SALU_CYCLE_1)
	s_and_b32 vcc_lo, exec_lo, s12
	s_cbranch_vccz .LBB6_3311
; %bb.3302:                             ;   in Loop: Header=BB6_3029 Depth=2
	s_mov_b32 s12, 0
	s_mov_b32 s29, exec_lo
                                        ; implicit-def: $sgpr28
	v_cmpx_lt_i16_e32 0x7f, v36
	s_xor_b32 s29, exec_lo, s29
	s_cbranch_execnz .LBB6_3643
; %bb.3303:                             ;   in Loop: Header=BB6_3029 Depth=2
	s_or_saveexec_b32 s29, s29
	v_mov_b32_e32 v37, s28
	s_xor_b32 exec_lo, exec_lo, s29
	s_cbranch_execnz .LBB6_3646
.LBB6_3304:                             ;   in Loop: Header=BB6_3029 Depth=2
	s_or_b32 exec_lo, exec_lo, s29
	s_and_saveexec_b32 s28, s12
	s_cbranch_execz .LBB6_3306
.LBB6_3305:                             ;   in Loop: Header=BB6_3029 Depth=2
	v_and_b32_e32 v36, 0xffff, v36
	v_lshlrev_b32_e32 v48, 16, v16
	s_delay_alu instid0(VALU_DEP_2) | instskip(NEXT) | instid1(VALU_DEP_1)
	v_and_b32_e32 v37, 7, v36
	v_clz_i32_u32_e32 v38, v37
	s_delay_alu instid0(VALU_DEP_1) | instskip(NEXT) | instid1(VALU_DEP_1)
	v_min_u32_e32 v38, 32, v38
	v_subrev_nc_u32_e32 v39, 28, v38
	v_sub_nc_u32_e32 v38, 29, v38
	s_delay_alu instid0(VALU_DEP_2) | instskip(SKIP_1) | instid1(VALU_DEP_2)
	v_lshlrev_b32_e32 v39, v39, v36
	v_bfe_u32 v36, v36, 3, 4
	v_and_b32_e32 v39, 7, v39
	s_delay_alu instid0(VALU_DEP_2) | instskip(NEXT) | instid1(VALU_DEP_2)
	v_cmp_eq_u32_e32 vcc_lo, 0, v36
	v_dual_cndmask_b32 v36, v36, v38 :: v_dual_cndmask_b32 v37, v37, v39
	v_and_b32_e32 v38, 0x80000000, v48
	s_delay_alu instid0(VALU_DEP_2) | instskip(NEXT) | instid1(VALU_DEP_3)
	v_lshl_add_u32 v36, v36, 23, 0x3b800000
	v_lshlrev_b32_e32 v37, 20, v37
	s_delay_alu instid0(VALU_DEP_1)
	v_or3_b32 v37, v38, v36, v37
.LBB6_3306:                             ;   in Loop: Header=BB6_3029 Depth=2
	s_or_b32 exec_lo, exec_lo, s28
	s_mov_b32 s12, 0
	s_mov_b32 s29, exec_lo
                                        ; implicit-def: $sgpr28
	v_cmpx_lt_i16_e32 0x7f, v35
	s_xor_b32 s29, exec_lo, s29
	s_cbranch_execnz .LBB6_3647
; %bb.3307:                             ;   in Loop: Header=BB6_3029 Depth=2
	s_or_saveexec_b32 s29, s29
	v_mov_b32_e32 v36, s28
	s_xor_b32 exec_lo, exec_lo, s29
	s_cbranch_execnz .LBB6_3650
.LBB6_3308:                             ;   in Loop: Header=BB6_3029 Depth=2
	s_or_b32 exec_lo, exec_lo, s29
	s_and_saveexec_b32 s28, s12
	s_cbranch_execz .LBB6_3310
.LBB6_3309:                             ;   in Loop: Header=BB6_3029 Depth=2
	v_and_b32_e32 v35, 0xffff, v35
	v_lshlrev_b32_e32 v48, 16, v12
	s_delay_alu instid0(VALU_DEP_2) | instskip(NEXT) | instid1(VALU_DEP_1)
	v_and_b32_e32 v36, 7, v35
	v_clz_i32_u32_e32 v38, v36
	s_delay_alu instid0(VALU_DEP_1) | instskip(NEXT) | instid1(VALU_DEP_1)
	v_min_u32_e32 v38, 32, v38
	v_subrev_nc_u32_e32 v39, 28, v38
	v_sub_nc_u32_e32 v38, 29, v38
	s_delay_alu instid0(VALU_DEP_2) | instskip(SKIP_1) | instid1(VALU_DEP_2)
	v_lshlrev_b32_e32 v39, v39, v35
	v_bfe_u32 v35, v35, 3, 4
	v_and_b32_e32 v39, 7, v39
	s_delay_alu instid0(VALU_DEP_2) | instskip(NEXT) | instid1(VALU_DEP_2)
	v_cmp_eq_u32_e32 vcc_lo, 0, v35
	v_dual_cndmask_b32 v35, v35, v38 :: v_dual_cndmask_b32 v36, v36, v39
	v_and_b32_e32 v38, 0x80000000, v48
	s_delay_alu instid0(VALU_DEP_2) | instskip(NEXT) | instid1(VALU_DEP_3)
	v_lshl_add_u32 v35, v35, 23, 0x3b800000
	v_lshlrev_b32_e32 v36, 20, v36
	s_delay_alu instid0(VALU_DEP_1)
	v_or3_b32 v36, v38, v35, v36
.LBB6_3310:                             ;   in Loop: Header=BB6_3029 Depth=2
	s_or_b32 exec_lo, exec_lo, s28
	s_delay_alu instid0(VALU_DEP_1) | instskip(NEXT) | instid1(VALU_DEP_1)
	v_dual_max_f32 v35, v36, v36 :: v_dual_max_f32 v36, v37, v37
	v_min_f32_e32 v37, v36, v35
.LBB6_3311:                             ;   in Loop: Header=BB6_3029 Depth=2
	s_delay_alu instid0(VALU_DEP_1) | instskip(NEXT) | instid1(VALU_DEP_1)
	v_and_b32_e32 v35, 0x7f800000, v37
	v_cmp_ne_u32_e32 vcc_lo, 0x7f800000, v35
	v_mov_b32_e32 v35, 0x80
	s_and_saveexec_b32 s28, vcc_lo
	s_cbranch_execz .LBB6_3319
; %bb.3312:                             ;   in Loop: Header=BB6_3029 Depth=2
	v_mov_b32_e32 v35, 0
	s_mov_b32 s29, exec_lo
	v_cmpx_ne_u32_e32 0, v37
	s_cbranch_execz .LBB6_3318
; %bb.3313:                             ;   in Loop: Header=BB6_3029 Depth=2
	v_bfe_u32 v35, v37, 23, 8
	v_and_b32_e32 v36, 0x7fffff, v37
	s_delay_alu instid0(VALU_DEP_2) | instskip(SKIP_1) | instid1(VALU_DEP_3)
	v_sub_nc_u32_e32 v38, 0x78, v35
	v_cmp_gt_u32_e32 vcc_lo, 0x79, v35
	v_or_b32_e32 v39, 0x800000, v36
	s_delay_alu instid0(VALU_DEP_3) | instskip(SKIP_2) | instid1(VALU_DEP_3)
	v_cndmask_b32_e32 v38, 0, v38, vcc_lo
	v_cmp_eq_u32_e32 vcc_lo, 0, v35
	v_add_nc_u32_e32 v35, 0xffffff89, v35
	v_cndmask_b32_e64 v38, v38, 0x77, vcc_lo
	v_cndmask_b32_e32 v36, v39, v36, vcc_lo
	s_delay_alu instid0(VALU_DEP_3) | instskip(NEXT) | instid1(VALU_DEP_3)
	v_cndmask_b32_e64 v35, v35, 0xffffff8a, vcc_lo
	v_lshl_add_u32 v39, 0x100000, v38, -1
	s_delay_alu instid0(VALU_DEP_3) | instskip(SKIP_1) | instid1(VALU_DEP_4)
	v_lshrrev_b32_e32 v48, v38, v36
	v_lshlrev_b32_e64 v50, v38, 0x80000
	v_add_nc_u32_e32 v38, v38, v35
	s_delay_alu instid0(VALU_DEP_4) | instskip(NEXT) | instid1(VALU_DEP_4)
	v_and_b32_e32 v36, v39, v36
	v_bfe_u32 v49, v48, 20, 1
	s_delay_alu instid0(VALU_DEP_2) | instskip(NEXT) | instid1(VALU_DEP_2)
	v_cmp_eq_u32_e64 s12, v36, v50
	v_add_nc_u32_e32 v39, -1, v49
	s_delay_alu instid0(VALU_DEP_1) | instskip(SKIP_2) | instid1(VALU_DEP_2)
	v_cndmask_b32_e64 v36, 0, v39, s12
	v_lshrrev_b32_e32 v39, 23, v48
	s_mov_b32 s12, exec_lo
	v_add_nc_u32_e32 v36, v36, v48
	s_delay_alu instid0(VALU_DEP_2) | instskip(NEXT) | instid1(VALU_DEP_2)
	v_xor_b32_e32 v39, 1, v39
	v_and_b32_e32 v35, 0xfffff, v36
	s_delay_alu instid0(VALU_DEP_1) | instskip(NEXT) | instid1(VALU_DEP_3)
	v_add_nc_u32_e32 v36, v35, v48
                                        ; implicit-def: $vgpr35
	v_cmpx_ne_u32_e64 v38, v39
	s_xor_b32 s12, exec_lo, s12
; %bb.3314:                             ;   in Loop: Header=BB6_3029 Depth=2
	s_delay_alu instid0(VALU_DEP_2) | instskip(SKIP_2) | instid1(VALU_DEP_2)
	v_cmp_lt_u32_e32 vcc_lo, 0xffffff, v36
	v_sub_nc_u32_e32 v35, v38, v39
	v_cndmask_b32_e64 v38, 0, 1, vcc_lo
	v_add_co_ci_u32_e32 v35, vcc_lo, 0, v35, vcc_lo
	s_delay_alu instid0(VALU_DEP_2)
	v_lshrrev_b32_e32 v36, v38, v36
; %bb.3315:                             ;   in Loop: Header=BB6_3029 Depth=2
	s_and_not1_saveexec_b32 s12, s12
; %bb.3316:                             ;   in Loop: Header=BB6_3029 Depth=2
	s_delay_alu instid0(VALU_DEP_1)
	v_bfe_u32 v35, v36, 23, 1
; %bb.3317:                             ;   in Loop: Header=BB6_3029 Depth=2
	s_or_b32 exec_lo, exec_lo, s12
	v_lshrrev_b32_e32 v36, 20, v36
	s_delay_alu instid0(VALU_DEP_2) | instskip(SKIP_2) | instid1(VALU_DEP_2)
	v_cmp_gt_i32_e32 vcc_lo, 16, v35
	v_lshrrev_b32_e32 v37, 24, v37
	v_min_i32_e32 v38, 15, v35
	v_dual_cndmask_b32 v36, 7, v36 :: v_dual_and_b32 v37, 0x80, v37
	s_delay_alu instid0(VALU_DEP_1) | instskip(SKIP_1) | instid1(VALU_DEP_2)
	v_or_b32_e32 v35, v35, v36
	v_and_b32_e32 v39, 7, v36
	v_cmp_ne_u32_e32 vcc_lo, 0, v35
	v_lshlrev_b32_e32 v38, 3, v38
	s_delay_alu instid0(VALU_DEP_1) | instskip(NEXT) | instid1(VALU_DEP_1)
	v_or3_b32 v36, v38, v37, v39
	v_cndmask_b32_e32 v35, 0, v36, vcc_lo
.LBB6_3318:                             ;   in Loop: Header=BB6_3029 Depth=2
	s_or_b32 exec_lo, exec_lo, s29
.LBB6_3319:                             ;   in Loop: Header=BB6_3029 Depth=2
	s_delay_alu instid0(SALU_CYCLE_1) | instskip(SKIP_3) | instid1(VALU_DEP_2)
	s_or_b32 exec_lo, exec_lo, s28
	v_lshrrev_b32_e32 v37, 16, v16
	v_lshrrev_b32_e32 v36, 16, v12
	s_and_b32 vcc_lo, exec_lo, s27
	v_and_b32_e32 v38, 0xff, v37
	s_delay_alu instid0(VALU_DEP_1)
	v_cmp_lt_i16_e64 s12, 0x7f, v38
	s_cbranch_vccz .LBB6_3329
; %bb.3320:                             ;   in Loop: Header=BB6_3029 Depth=2
	s_mov_b32 s28, 0
                                        ; implicit-def: $sgpr29
	s_delay_alu instid0(VALU_DEP_1) | instskip(NEXT) | instid1(SALU_CYCLE_1)
	s_and_saveexec_b32 vcc_lo, s12
	s_xor_b32 s12, exec_lo, vcc_lo
	s_cbranch_execnz .LBB6_3651
; %bb.3321:                             ;   in Loop: Header=BB6_3029 Depth=2
	s_or_saveexec_b32 s12, s12
	v_mov_b32_e32 v39, s29
	s_xor_b32 exec_lo, exec_lo, s12
	s_cbranch_execnz .LBB6_3654
.LBB6_3322:                             ;   in Loop: Header=BB6_3029 Depth=2
	s_or_b32 exec_lo, exec_lo, s12
	s_and_saveexec_b32 s12, s28
	s_cbranch_execz .LBB6_3324
.LBB6_3323:                             ;   in Loop: Header=BB6_3029 Depth=2
	v_bfe_u32 v39, v16, 16, 3
	v_bfe_u32 v50, v16, 19, 4
	v_lshlrev_b32_e32 v51, 24, v37
	s_delay_alu instid0(VALU_DEP_3) | instskip(NEXT) | instid1(VALU_DEP_3)
	v_clz_i32_u32_e32 v48, v39
	v_cmp_eq_u32_e32 vcc_lo, 0, v50
	s_delay_alu instid0(VALU_DEP_2) | instskip(NEXT) | instid1(VALU_DEP_1)
	v_min_u32_e32 v48, 32, v48
	v_subrev_nc_u32_e32 v49, 28, v48
	v_sub_nc_u32_e32 v48, 29, v48
	s_delay_alu instid0(VALU_DEP_1) | instskip(NEXT) | instid1(VALU_DEP_1)
	v_dual_cndmask_b32 v48, v50, v48 :: v_dual_lshlrev_b32 v49, v49, v37
	v_and_b32_e32 v49, 7, v49
	s_delay_alu instid0(VALU_DEP_2) | instskip(NEXT) | instid1(VALU_DEP_2)
	v_lshl_add_u32 v48, v48, 23, 0x3b800000
	v_cndmask_b32_e32 v39, v39, v49, vcc_lo
	v_and_b32_e32 v49, 0x80000000, v51
	s_delay_alu instid0(VALU_DEP_2) | instskip(NEXT) | instid1(VALU_DEP_1)
	v_lshlrev_b32_e32 v39, 20, v39
	v_or3_b32 v39, v49, v48, v39
.LBB6_3324:                             ;   in Loop: Header=BB6_3029 Depth=2
	s_or_b32 exec_lo, exec_lo, s12
	v_and_b32_e32 v49, 0xff, v36
	s_mov_b32 s12, 0
	s_mov_b32 s29, exec_lo
                                        ; implicit-def: $sgpr28
	s_delay_alu instid0(VALU_DEP_1)
	v_cmpx_lt_i16_e32 0x7f, v49
	s_xor_b32 s29, exec_lo, s29
	s_cbranch_execnz .LBB6_3655
; %bb.3325:                             ;   in Loop: Header=BB6_3029 Depth=2
	s_or_saveexec_b32 s29, s29
	v_mov_b32_e32 v48, s28
	s_xor_b32 exec_lo, exec_lo, s29
	s_cbranch_execnz .LBB6_3658
.LBB6_3326:                             ;   in Loop: Header=BB6_3029 Depth=2
	s_or_b32 exec_lo, exec_lo, s29
	s_and_saveexec_b32 s28, s12
	s_cbranch_execz .LBB6_3328
.LBB6_3327:                             ;   in Loop: Header=BB6_3029 Depth=2
	v_bfe_u32 v48, v12, 16, 3
	v_bfe_u32 v51, v12, 19, 4
	s_delay_alu instid0(VALU_DEP_2) | instskip(NEXT) | instid1(VALU_DEP_2)
	v_clz_i32_u32_e32 v49, v48
	v_cmp_eq_u32_e32 vcc_lo, 0, v51
	s_delay_alu instid0(VALU_DEP_2) | instskip(NEXT) | instid1(VALU_DEP_1)
	v_min_u32_e32 v49, 32, v49
	v_subrev_nc_u32_e32 v50, 28, v49
	v_sub_nc_u32_e32 v49, 29, v49
	s_delay_alu instid0(VALU_DEP_1) | instskip(NEXT) | instid1(VALU_DEP_1)
	v_dual_cndmask_b32 v49, v51, v49 :: v_dual_lshlrev_b32 v50, v50, v36
	v_and_b32_e32 v50, 7, v50
	v_lshlrev_b32_e32 v97, 24, v36
	s_delay_alu instid0(VALU_DEP_3) | instskip(NEXT) | instid1(VALU_DEP_3)
	v_lshl_add_u32 v49, v49, 23, 0x3b800000
	v_cndmask_b32_e32 v48, v48, v50, vcc_lo
	s_delay_alu instid0(VALU_DEP_3) | instskip(NEXT) | instid1(VALU_DEP_2)
	v_and_b32_e32 v50, 0x80000000, v97
	v_lshlrev_b32_e32 v48, 20, v48
	s_delay_alu instid0(VALU_DEP_1)
	v_or3_b32 v48, v50, v49, v48
.LBB6_3328:                             ;   in Loop: Header=BB6_3029 Depth=2
	s_or_b32 exec_lo, exec_lo, s28
	s_delay_alu instid0(VALU_DEP_1) | instskip(SKIP_1) | instid1(VALU_DEP_1)
	v_dual_max_f32 v48, v48, v48 :: v_dual_max_f32 v39, v39, v39
	s_mov_b32 s12, 0
	v_max_f32_e32 v39, v39, v48
	s_branch .LBB6_3330
.LBB6_3329:                             ;   in Loop: Header=BB6_3029 Depth=2
	s_mov_b32 s12, -1
                                        ; implicit-def: $vgpr39
.LBB6_3330:                             ;   in Loop: Header=BB6_3029 Depth=2
	s_delay_alu instid0(SALU_CYCLE_1)
	s_and_b32 vcc_lo, exec_lo, s12
	s_cbranch_vccz .LBB6_3340
; %bb.3331:                             ;   in Loop: Header=BB6_3029 Depth=2
	s_mov_b32 s12, 0
	s_mov_b32 s29, exec_lo
                                        ; implicit-def: $sgpr28
	v_cmpx_lt_i16_e32 0x7f, v38
	s_xor_b32 s29, exec_lo, s29
	s_cbranch_execnz .LBB6_3659
; %bb.3332:                             ;   in Loop: Header=BB6_3029 Depth=2
	s_or_saveexec_b32 s29, s29
	v_mov_b32_e32 v39, s28
	s_xor_b32 exec_lo, exec_lo, s29
	s_cbranch_execnz .LBB6_3662
.LBB6_3333:                             ;   in Loop: Header=BB6_3029 Depth=2
	s_or_b32 exec_lo, exec_lo, s29
	s_and_saveexec_b32 s28, s12
	s_cbranch_execz .LBB6_3335
.LBB6_3334:                             ;   in Loop: Header=BB6_3029 Depth=2
	v_bfe_u32 v38, v16, 16, 3
	v_bfe_u32 v49, v16, 19, 4
	s_delay_alu instid0(VALU_DEP_2) | instskip(NEXT) | instid1(VALU_DEP_2)
	v_clz_i32_u32_e32 v39, v38
	v_cmp_eq_u32_e32 vcc_lo, 0, v49
	s_delay_alu instid0(VALU_DEP_2) | instskip(NEXT) | instid1(VALU_DEP_1)
	v_min_u32_e32 v39, 32, v39
	v_subrev_nc_u32_e32 v48, 28, v39
	v_sub_nc_u32_e32 v39, 29, v39
	s_delay_alu instid0(VALU_DEP_1) | instskip(NEXT) | instid1(VALU_DEP_1)
	v_dual_cndmask_b32 v39, v49, v39 :: v_dual_lshlrev_b32 v48, v48, v37
	v_and_b32_e32 v48, 7, v48
	v_lshlrev_b32_e32 v37, 24, v37
	s_delay_alu instid0(VALU_DEP_3) | instskip(NEXT) | instid1(VALU_DEP_2)
	v_lshl_add_u32 v39, v39, 23, 0x3b800000
	v_dual_cndmask_b32 v38, v38, v48 :: v_dual_and_b32 v37, 0x80000000, v37
	s_delay_alu instid0(VALU_DEP_1) | instskip(NEXT) | instid1(VALU_DEP_1)
	v_lshlrev_b32_e32 v38, 20, v38
	v_or3_b32 v39, v37, v39, v38
.LBB6_3335:                             ;   in Loop: Header=BB6_3029 Depth=2
	s_or_b32 exec_lo, exec_lo, s28
	v_and_b32_e32 v38, 0xff, v36
	s_mov_b32 s12, 0
	s_mov_b32 s29, exec_lo
                                        ; implicit-def: $sgpr28
	s_delay_alu instid0(VALU_DEP_1)
	v_cmpx_lt_i16_e32 0x7f, v38
	s_xor_b32 s29, exec_lo, s29
	s_cbranch_execnz .LBB6_3663
; %bb.3336:                             ;   in Loop: Header=BB6_3029 Depth=2
	s_or_saveexec_b32 s29, s29
	v_mov_b32_e32 v37, s28
	s_xor_b32 exec_lo, exec_lo, s29
	s_cbranch_execnz .LBB6_3666
.LBB6_3337:                             ;   in Loop: Header=BB6_3029 Depth=2
	s_or_b32 exec_lo, exec_lo, s29
	s_and_saveexec_b32 s28, s12
	s_cbranch_execz .LBB6_3339
.LBB6_3338:                             ;   in Loop: Header=BB6_3029 Depth=2
	v_bfe_u32 v37, v12, 16, 3
	v_bfe_u32 v49, v12, 19, 4
	s_delay_alu instid0(VALU_DEP_2) | instskip(NEXT) | instid1(VALU_DEP_2)
	v_clz_i32_u32_e32 v38, v37
	v_cmp_eq_u32_e32 vcc_lo, 0, v49
	s_delay_alu instid0(VALU_DEP_2) | instskip(NEXT) | instid1(VALU_DEP_1)
	v_min_u32_e32 v38, 32, v38
	v_subrev_nc_u32_e32 v48, 28, v38
	v_sub_nc_u32_e32 v38, 29, v38
	s_delay_alu instid0(VALU_DEP_2) | instskip(SKIP_1) | instid1(VALU_DEP_2)
	v_lshlrev_b32_e32 v48, v48, v36
	v_lshlrev_b32_e32 v36, 24, v36
	v_and_b32_e32 v48, 7, v48
	s_delay_alu instid0(VALU_DEP_2) | instskip(NEXT) | instid1(VALU_DEP_2)
	v_and_b32_e32 v36, 0x80000000, v36
	v_cndmask_b32_e32 v37, v37, v48, vcc_lo
	s_delay_alu instid0(VALU_DEP_1) | instskip(NEXT) | instid1(VALU_DEP_1)
	v_dual_cndmask_b32 v38, v49, v38 :: v_dual_lshlrev_b32 v37, 20, v37
	v_lshl_add_u32 v38, v38, 23, 0x3b800000
	s_delay_alu instid0(VALU_DEP_1)
	v_or3_b32 v37, v36, v38, v37
.LBB6_3339:                             ;   in Loop: Header=BB6_3029 Depth=2
	s_or_b32 exec_lo, exec_lo, s28
	s_delay_alu instid0(VALU_DEP_1) | instskip(NEXT) | instid1(VALU_DEP_1)
	v_dual_max_f32 v36, v37, v37 :: v_dual_max_f32 v37, v39, v39
	v_min_f32_e32 v39, v37, v36
.LBB6_3340:                             ;   in Loop: Header=BB6_3029 Depth=2
	s_delay_alu instid0(VALU_DEP_1) | instskip(NEXT) | instid1(VALU_DEP_1)
	v_and_b32_e32 v36, 0x7f800000, v39
	v_cmp_ne_u32_e32 vcc_lo, 0x7f800000, v36
	v_mov_b32_e32 v36, 0x80
	s_and_saveexec_b32 s28, vcc_lo
	s_cbranch_execz .LBB6_3348
; %bb.3341:                             ;   in Loop: Header=BB6_3029 Depth=2
	v_mov_b32_e32 v36, 0
	s_mov_b32 s29, exec_lo
	v_cmpx_ne_u32_e32 0, v39
	s_cbranch_execz .LBB6_3347
; %bb.3342:                             ;   in Loop: Header=BB6_3029 Depth=2
	v_bfe_u32 v36, v39, 23, 8
	s_delay_alu instid0(VALU_DEP_1) | instskip(SKIP_1) | instid1(VALU_DEP_2)
	v_sub_nc_u32_e32 v38, 0x78, v36
	v_cmp_gt_u32_e32 vcc_lo, 0x79, v36
	v_dual_cndmask_b32 v38, 0, v38 :: v_dual_and_b32 v37, 0x7fffff, v39
	s_delay_alu instid0(VALU_DEP_1) | instskip(SKIP_2) | instid1(VALU_DEP_4)
	v_or_b32_e32 v48, 0x800000, v37
	v_cmp_eq_u32_e32 vcc_lo, 0, v36
	v_add_nc_u32_e32 v36, 0xffffff89, v36
	v_cndmask_b32_e64 v38, v38, 0x77, vcc_lo
	s_delay_alu instid0(VALU_DEP_4) | instskip(NEXT) | instid1(VALU_DEP_3)
	v_cndmask_b32_e32 v37, v48, v37, vcc_lo
	v_cndmask_b32_e64 v36, v36, 0xffffff8a, vcc_lo
	s_delay_alu instid0(VALU_DEP_3) | instskip(NEXT) | instid1(VALU_DEP_3)
	v_lshl_add_u32 v48, 0x100000, v38, -1
	v_lshrrev_b32_e32 v49, v38, v37
	v_lshlrev_b32_e64 v51, v38, 0x80000
	s_delay_alu instid0(VALU_DEP_4) | instskip(NEXT) | instid1(VALU_DEP_4)
	v_add_nc_u32_e32 v38, v38, v36
	v_and_b32_e32 v37, v48, v37
	s_delay_alu instid0(VALU_DEP_4) | instskip(NEXT) | instid1(VALU_DEP_2)
	v_bfe_u32 v50, v49, 20, 1
	v_cmp_eq_u32_e64 s12, v37, v51
	s_delay_alu instid0(VALU_DEP_2) | instskip(NEXT) | instid1(VALU_DEP_1)
	v_add_nc_u32_e32 v48, -1, v50
	v_cndmask_b32_e64 v37, 0, v48, s12
	v_lshrrev_b32_e32 v48, 23, v49
	s_mov_b32 s12, exec_lo
	s_delay_alu instid0(VALU_DEP_2) | instskip(NEXT) | instid1(VALU_DEP_2)
	v_add_nc_u32_e32 v37, v37, v49
	v_xor_b32_e32 v48, 1, v48
	s_delay_alu instid0(VALU_DEP_2) | instskip(NEXT) | instid1(VALU_DEP_1)
	v_and_b32_e32 v36, 0xfffff, v37
	v_add_nc_u32_e32 v37, v36, v49
                                        ; implicit-def: $vgpr36
	s_delay_alu instid0(VALU_DEP_3)
	v_cmpx_ne_u32_e64 v38, v48
	s_xor_b32 s12, exec_lo, s12
; %bb.3343:                             ;   in Loop: Header=BB6_3029 Depth=2
	s_delay_alu instid0(VALU_DEP_2) | instskip(SKIP_2) | instid1(VALU_DEP_2)
	v_cmp_lt_u32_e32 vcc_lo, 0xffffff, v37
	v_sub_nc_u32_e32 v36, v38, v48
	v_cndmask_b32_e64 v38, 0, 1, vcc_lo
	v_add_co_ci_u32_e32 v36, vcc_lo, 0, v36, vcc_lo
	s_delay_alu instid0(VALU_DEP_2)
	v_lshrrev_b32_e32 v37, v38, v37
; %bb.3344:                             ;   in Loop: Header=BB6_3029 Depth=2
	s_and_not1_saveexec_b32 s12, s12
; %bb.3345:                             ;   in Loop: Header=BB6_3029 Depth=2
	s_delay_alu instid0(VALU_DEP_1)
	v_bfe_u32 v36, v37, 23, 1
; %bb.3346:                             ;   in Loop: Header=BB6_3029 Depth=2
	s_or_b32 exec_lo, exec_lo, s12
	v_lshrrev_b32_e32 v37, 20, v37
	s_delay_alu instid0(VALU_DEP_2) | instskip(SKIP_2) | instid1(VALU_DEP_2)
	v_cmp_gt_i32_e32 vcc_lo, 16, v36
	v_lshrrev_b32_e32 v38, 24, v39
	v_min_i32_e32 v39, 15, v36
	v_dual_cndmask_b32 v37, 7, v37 :: v_dual_and_b32 v38, 0x80, v38
	s_delay_alu instid0(VALU_DEP_1) | instskip(SKIP_1) | instid1(VALU_DEP_2)
	v_or_b32_e32 v36, v36, v37
	v_and_b32_e32 v48, 7, v37
	v_cmp_ne_u32_e32 vcc_lo, 0, v36
	v_lshlrev_b32_e32 v39, 3, v39
	s_delay_alu instid0(VALU_DEP_1) | instskip(NEXT) | instid1(VALU_DEP_1)
	v_or3_b32 v37, v39, v38, v48
	v_cndmask_b32_e32 v36, 0, v37, vcc_lo
.LBB6_3347:                             ;   in Loop: Header=BB6_3029 Depth=2
	s_or_b32 exec_lo, exec_lo, s29
.LBB6_3348:                             ;   in Loop: Header=BB6_3029 Depth=2
	s_delay_alu instid0(SALU_CYCLE_1) | instskip(SKIP_3) | instid1(VALU_DEP_2)
	s_or_b32 exec_lo, exec_lo, s28
	v_lshrrev_b32_e32 v38, 24, v16
	v_lshrrev_b32_e32 v37, 24, v12
	s_and_b32 vcc_lo, exec_lo, s27
	v_cmp_lt_i16_e64 s12, 0x7f, v38
	s_cbranch_vccz .LBB6_3358
; %bb.3349:                             ;   in Loop: Header=BB6_3029 Depth=2
	s_mov_b32 s28, 0
                                        ; implicit-def: $sgpr29
	s_delay_alu instid0(VALU_DEP_1) | instskip(NEXT) | instid1(SALU_CYCLE_1)
	s_and_saveexec_b32 vcc_lo, s12
	s_xor_b32 s12, exec_lo, vcc_lo
	s_cbranch_execnz .LBB6_3667
; %bb.3350:                             ;   in Loop: Header=BB6_3029 Depth=2
	s_or_saveexec_b32 s12, s12
	v_mov_b32_e32 v39, s29
	s_xor_b32 exec_lo, exec_lo, s12
	s_cbranch_execnz .LBB6_3670
.LBB6_3351:                             ;   in Loop: Header=BB6_3029 Depth=2
	s_or_b32 exec_lo, exec_lo, s12
	s_and_saveexec_b32 s12, s28
	s_cbranch_execz .LBB6_3353
.LBB6_3352:                             ;   in Loop: Header=BB6_3029 Depth=2
	v_bfe_u32 v39, v16, 24, 3
	v_bfe_u32 v50, v16, 27, 4
	s_delay_alu instid0(VALU_DEP_2) | instskip(NEXT) | instid1(VALU_DEP_2)
	v_clz_i32_u32_e32 v48, v39
	v_cmp_eq_u32_e32 vcc_lo, 0, v50
	s_delay_alu instid0(VALU_DEP_2) | instskip(NEXT) | instid1(VALU_DEP_1)
	v_min_u32_e32 v48, 32, v48
	v_subrev_nc_u32_e32 v49, 28, v48
	v_sub_nc_u32_e32 v48, 29, v48
	s_delay_alu instid0(VALU_DEP_1) | instskip(NEXT) | instid1(VALU_DEP_1)
	v_dual_cndmask_b32 v48, v50, v48 :: v_dual_lshlrev_b32 v49, v49, v38
	v_and_b32_e32 v49, 7, v49
	s_delay_alu instid0(VALU_DEP_2) | instskip(NEXT) | instid1(VALU_DEP_2)
	v_lshl_add_u32 v48, v48, 23, 0x3b800000
	v_cndmask_b32_e32 v39, v39, v49, vcc_lo
	v_and_b32_e32 v49, 0x80000000, v16
	s_delay_alu instid0(VALU_DEP_2) | instskip(NEXT) | instid1(VALU_DEP_1)
	v_lshlrev_b32_e32 v39, 20, v39
	v_or3_b32 v39, v49, v48, v39
.LBB6_3353:                             ;   in Loop: Header=BB6_3029 Depth=2
	s_or_b32 exec_lo, exec_lo, s12
	s_mov_b32 s12, 0
	s_mov_b32 s29, exec_lo
                                        ; implicit-def: $sgpr28
	v_cmpx_lt_i16_e32 0x7f, v37
	s_xor_b32 s29, exec_lo, s29
	s_cbranch_execnz .LBB6_3671
; %bb.3354:                             ;   in Loop: Header=BB6_3029 Depth=2
	s_or_saveexec_b32 s29, s29
	v_mov_b32_e32 v48, s28
	s_xor_b32 exec_lo, exec_lo, s29
	s_cbranch_execnz .LBB6_3674
.LBB6_3355:                             ;   in Loop: Header=BB6_3029 Depth=2
	s_or_b32 exec_lo, exec_lo, s29
	s_and_saveexec_b32 s28, s12
	s_cbranch_execz .LBB6_3357
.LBB6_3356:                             ;   in Loop: Header=BB6_3029 Depth=2
	v_bfe_u32 v48, v12, 24, 3
	v_bfe_u32 v51, v12, 27, 4
	s_delay_alu instid0(VALU_DEP_2) | instskip(NEXT) | instid1(VALU_DEP_2)
	v_clz_i32_u32_e32 v49, v48
	v_cmp_eq_u32_e32 vcc_lo, 0, v51
	s_delay_alu instid0(VALU_DEP_2) | instskip(NEXT) | instid1(VALU_DEP_1)
	v_min_u32_e32 v49, 32, v49
	v_subrev_nc_u32_e32 v50, 28, v49
	v_sub_nc_u32_e32 v49, 29, v49
	s_delay_alu instid0(VALU_DEP_2) | instskip(NEXT) | instid1(VALU_DEP_1)
	v_lshlrev_b32_e32 v50, v50, v37
	v_dual_cndmask_b32 v49, v51, v49 :: v_dual_and_b32 v50, 7, v50
	s_delay_alu instid0(VALU_DEP_1) | instskip(NEXT) | instid1(VALU_DEP_2)
	v_lshl_add_u32 v49, v49, 23, 0x3b800000
	v_cndmask_b32_e32 v48, v48, v50, vcc_lo
	v_and_b32_e32 v50, 0x80000000, v12
	s_delay_alu instid0(VALU_DEP_2) | instskip(NEXT) | instid1(VALU_DEP_1)
	v_lshlrev_b32_e32 v48, 20, v48
	v_or3_b32 v48, v50, v49, v48
.LBB6_3357:                             ;   in Loop: Header=BB6_3029 Depth=2
	s_or_b32 exec_lo, exec_lo, s28
	s_delay_alu instid0(VALU_DEP_1) | instskip(SKIP_1) | instid1(VALU_DEP_1)
	v_dual_max_f32 v48, v48, v48 :: v_dual_max_f32 v39, v39, v39
	s_mov_b32 s12, 0
	v_max_f32_e32 v39, v39, v48
	s_branch .LBB6_3359
.LBB6_3358:                             ;   in Loop: Header=BB6_3029 Depth=2
	s_mov_b32 s12, -1
                                        ; implicit-def: $vgpr39
.LBB6_3359:                             ;   in Loop: Header=BB6_3029 Depth=2
	s_delay_alu instid0(SALU_CYCLE_1)
	s_and_b32 vcc_lo, exec_lo, s12
	s_cbranch_vccz .LBB6_3369
; %bb.3360:                             ;   in Loop: Header=BB6_3029 Depth=2
	s_mov_b32 s12, 0
	s_mov_b32 s29, exec_lo
                                        ; implicit-def: $sgpr28
	v_cmpx_lt_i16_e32 0x7f, v38
	s_xor_b32 s29, exec_lo, s29
	s_cbranch_execnz .LBB6_3675
; %bb.3361:                             ;   in Loop: Header=BB6_3029 Depth=2
	s_or_saveexec_b32 s29, s29
	v_mov_b32_e32 v39, s28
	s_xor_b32 exec_lo, exec_lo, s29
	s_cbranch_execnz .LBB6_3678
.LBB6_3362:                             ;   in Loop: Header=BB6_3029 Depth=2
	s_or_b32 exec_lo, exec_lo, s29
	s_and_saveexec_b32 s28, s12
	s_cbranch_execz .LBB6_3364
.LBB6_3363:                             ;   in Loop: Header=BB6_3029 Depth=2
	v_bfe_u32 v39, v16, 24, 3
	s_delay_alu instid0(VALU_DEP_1) | instskip(NEXT) | instid1(VALU_DEP_1)
	v_clz_i32_u32_e32 v48, v39
	v_min_u32_e32 v48, 32, v48
	s_delay_alu instid0(VALU_DEP_1) | instskip(SKIP_1) | instid1(VALU_DEP_2)
	v_subrev_nc_u32_e32 v49, 28, v48
	v_sub_nc_u32_e32 v48, 29, v48
	v_lshlrev_b32_e32 v38, v49, v38
	v_bfe_u32 v49, v16, 27, 4
	v_and_b32_e32 v16, 0x80000000, v16
	s_delay_alu instid0(VALU_DEP_3) | instskip(NEXT) | instid1(VALU_DEP_3)
	v_and_b32_e32 v38, 7, v38
	v_cmp_eq_u32_e32 vcc_lo, 0, v49
	v_cndmask_b32_e32 v48, v49, v48, vcc_lo
	s_delay_alu instid0(VALU_DEP_3) | instskip(NEXT) | instid1(VALU_DEP_2)
	v_cndmask_b32_e32 v38, v39, v38, vcc_lo
	v_lshl_add_u32 v39, v48, 23, 0x3b800000
	s_delay_alu instid0(VALU_DEP_2) | instskip(NEXT) | instid1(VALU_DEP_1)
	v_lshlrev_b32_e32 v38, 20, v38
	v_or3_b32 v39, v16, v39, v38
.LBB6_3364:                             ;   in Loop: Header=BB6_3029 Depth=2
	s_or_b32 exec_lo, exec_lo, s28
	s_mov_b32 s12, 0
	s_mov_b32 s29, exec_lo
                                        ; implicit-def: $sgpr28
	v_cmpx_lt_i16_e32 0x7f, v37
	s_xor_b32 s29, exec_lo, s29
	s_cbranch_execnz .LBB6_3679
; %bb.3365:                             ;   in Loop: Header=BB6_3029 Depth=2
	s_or_saveexec_b32 s29, s29
	v_mov_b32_e32 v16, s28
	s_xor_b32 exec_lo, exec_lo, s29
	s_cbranch_execnz .LBB6_3682
.LBB6_3366:                             ;   in Loop: Header=BB6_3029 Depth=2
	s_or_b32 exec_lo, exec_lo, s29
	s_and_saveexec_b32 s28, s12
	s_cbranch_execz .LBB6_3368
.LBB6_3367:                             ;   in Loop: Header=BB6_3029 Depth=2
	v_bfe_u32 v16, v12, 24, 3
	s_delay_alu instid0(VALU_DEP_1) | instskip(NEXT) | instid1(VALU_DEP_1)
	v_clz_i32_u32_e32 v38, v16
	v_min_u32_e32 v38, 32, v38
	s_delay_alu instid0(VALU_DEP_1) | instskip(SKIP_1) | instid1(VALU_DEP_2)
	v_subrev_nc_u32_e32 v48, 28, v38
	v_sub_nc_u32_e32 v38, 29, v38
	v_lshlrev_b32_e32 v37, v48, v37
	v_bfe_u32 v48, v12, 27, 4
	v_and_b32_e32 v12, 0x80000000, v12
	s_delay_alu instid0(VALU_DEP_2) | instskip(NEXT) | instid1(VALU_DEP_4)
	v_cmp_eq_u32_e32 vcc_lo, 0, v48
	v_dual_cndmask_b32 v38, v48, v38 :: v_dual_and_b32 v37, 7, v37
	s_delay_alu instid0(VALU_DEP_1) | instskip(NEXT) | instid1(VALU_DEP_2)
	v_cndmask_b32_e32 v16, v16, v37, vcc_lo
	v_lshl_add_u32 v37, v38, 23, 0x3b800000
	s_delay_alu instid0(VALU_DEP_2) | instskip(NEXT) | instid1(VALU_DEP_1)
	v_lshlrev_b32_e32 v16, 20, v16
	v_or3_b32 v16, v12, v37, v16
.LBB6_3368:                             ;   in Loop: Header=BB6_3029 Depth=2
	s_or_b32 exec_lo, exec_lo, s28
	s_delay_alu instid0(VALU_DEP_1) | instskip(SKIP_1) | instid1(VALU_DEP_1)
	v_max_f32_e32 v12, v16, v16
	v_max_f32_e32 v16, v39, v39
	v_min_f32_e32 v39, v16, v12
.LBB6_3369:                             ;   in Loop: Header=BB6_3029 Depth=2
	s_delay_alu instid0(VALU_DEP_1) | instskip(NEXT) | instid1(VALU_DEP_1)
	v_and_b32_e32 v12, 0x7f800000, v39
	v_cmp_ne_u32_e32 vcc_lo, 0x7f800000, v12
	v_mov_b32_e32 v12, 0x80
	s_and_saveexec_b32 s28, vcc_lo
	s_cbranch_execz .LBB6_3377
; %bb.3370:                             ;   in Loop: Header=BB6_3029 Depth=2
	v_mov_b32_e32 v12, 0
	s_mov_b32 s29, exec_lo
	v_cmpx_ne_u32_e32 0, v39
	s_cbranch_execz .LBB6_3376
; %bb.3371:                             ;   in Loop: Header=BB6_3029 Depth=2
	v_bfe_u32 v12, v39, 23, 8
	s_delay_alu instid0(VALU_DEP_1) | instskip(SKIP_1) | instid1(VALU_DEP_2)
	v_sub_nc_u32_e32 v37, 0x78, v12
	v_cmp_gt_u32_e32 vcc_lo, 0x79, v12
	v_dual_cndmask_b32 v37, 0, v37 :: v_dual_and_b32 v16, 0x7fffff, v39
	s_delay_alu instid0(VALU_DEP_1) | instskip(SKIP_2) | instid1(VALU_DEP_4)
	v_or_b32_e32 v38, 0x800000, v16
	v_cmp_eq_u32_e32 vcc_lo, 0, v12
	v_add_nc_u32_e32 v12, 0xffffff89, v12
	v_cndmask_b32_e64 v37, v37, 0x77, vcc_lo
	s_delay_alu instid0(VALU_DEP_4) | instskip(NEXT) | instid1(VALU_DEP_3)
	v_cndmask_b32_e32 v16, v38, v16, vcc_lo
	v_cndmask_b32_e64 v12, v12, 0xffffff8a, vcc_lo
	s_delay_alu instid0(VALU_DEP_3) | instskip(NEXT) | instid1(VALU_DEP_3)
	v_lshl_add_u32 v38, 0x100000, v37, -1
	v_lshrrev_b32_e32 v48, v37, v16
	v_lshlrev_b32_e64 v50, v37, 0x80000
	s_delay_alu instid0(VALU_DEP_4) | instskip(NEXT) | instid1(VALU_DEP_4)
	v_add_nc_u32_e32 v37, v37, v12
	v_and_b32_e32 v16, v38, v16
	s_delay_alu instid0(VALU_DEP_4) | instskip(NEXT) | instid1(VALU_DEP_2)
	v_bfe_u32 v49, v48, 20, 1
	v_cmp_eq_u32_e64 s12, v16, v50
	s_delay_alu instid0(VALU_DEP_2) | instskip(NEXT) | instid1(VALU_DEP_1)
	v_add_nc_u32_e32 v38, -1, v49
	v_cndmask_b32_e64 v16, 0, v38, s12
	v_lshrrev_b32_e32 v38, 23, v48
	s_mov_b32 s12, exec_lo
	s_delay_alu instid0(VALU_DEP_2) | instskip(NEXT) | instid1(VALU_DEP_2)
	v_add_nc_u32_e32 v16, v16, v48
	v_xor_b32_e32 v38, 1, v38
	s_delay_alu instid0(VALU_DEP_2) | instskip(NEXT) | instid1(VALU_DEP_1)
	v_and_b32_e32 v12, 0xfffff, v16
	v_add_nc_u32_e32 v16, v12, v48
                                        ; implicit-def: $vgpr12
	s_delay_alu instid0(VALU_DEP_3)
	v_cmpx_ne_u32_e64 v37, v38
	s_xor_b32 s12, exec_lo, s12
; %bb.3372:                             ;   in Loop: Header=BB6_3029 Depth=2
	s_delay_alu instid0(VALU_DEP_2) | instskip(SKIP_2) | instid1(VALU_DEP_2)
	v_cmp_lt_u32_e32 vcc_lo, 0xffffff, v16
	v_sub_nc_u32_e32 v12, v37, v38
	v_cndmask_b32_e64 v37, 0, 1, vcc_lo
	v_add_co_ci_u32_e32 v12, vcc_lo, 0, v12, vcc_lo
	s_delay_alu instid0(VALU_DEP_2)
	v_lshrrev_b32_e32 v16, v37, v16
; %bb.3373:                             ;   in Loop: Header=BB6_3029 Depth=2
	s_and_not1_saveexec_b32 s12, s12
; %bb.3374:                             ;   in Loop: Header=BB6_3029 Depth=2
	s_delay_alu instid0(VALU_DEP_1)
	v_bfe_u32 v12, v16, 23, 1
; %bb.3375:                             ;   in Loop: Header=BB6_3029 Depth=2
	s_or_b32 exec_lo, exec_lo, s12
	v_lshrrev_b32_e32 v16, 20, v16
	s_delay_alu instid0(VALU_DEP_2) | instskip(SKIP_2) | instid1(VALU_DEP_2)
	v_cmp_gt_i32_e32 vcc_lo, 16, v12
	v_lshrrev_b32_e32 v37, 24, v39
	v_min_i32_e32 v38, 15, v12
	v_dual_cndmask_b32 v16, 7, v16 :: v_dual_and_b32 v37, 0x80, v37
	s_delay_alu instid0(VALU_DEP_2) | instskip(NEXT) | instid1(VALU_DEP_2)
	v_lshlrev_b32_e32 v38, 3, v38
	v_and_b32_e32 v39, 7, v16
	v_or_b32_e32 v12, v12, v16
	s_delay_alu instid0(VALU_DEP_2) | instskip(NEXT) | instid1(VALU_DEP_2)
	v_or3_b32 v16, v38, v37, v39
	v_cmp_ne_u32_e32 vcc_lo, 0, v12
	s_delay_alu instid0(VALU_DEP_2)
	v_cndmask_b32_e32 v12, 0, v16, vcc_lo
.LBB6_3376:                             ;   in Loop: Header=BB6_3029 Depth=2
	s_or_b32 exec_lo, exec_lo, s29
.LBB6_3377:                             ;   in Loop: Header=BB6_3029 Depth=2
	s_delay_alu instid0(SALU_CYCLE_1) | instskip(SKIP_2) | instid1(VALU_DEP_1)
	s_or_b32 exec_lo, exec_lo, s28
	v_and_b32_e32 v16, 0xff, v17
	s_and_b32 vcc_lo, exec_lo, s27
	v_cmp_lt_i16_e64 s12, 0x7f, v16
	s_cbranch_vccz .LBB6_3387
; %bb.3378:                             ;   in Loop: Header=BB6_3029 Depth=2
	s_mov_b32 s28, 0
                                        ; implicit-def: $sgpr29
	s_delay_alu instid0(VALU_DEP_1) | instskip(NEXT) | instid1(SALU_CYCLE_1)
	s_and_saveexec_b32 vcc_lo, s12
	s_xor_b32 s12, exec_lo, vcc_lo
	s_cbranch_execnz .LBB6_3683
; %bb.3379:                             ;   in Loop: Header=BB6_3029 Depth=2
	s_or_saveexec_b32 s12, s12
	v_mov_b32_e32 v37, s29
	s_xor_b32 exec_lo, exec_lo, s12
	s_cbranch_execnz .LBB6_3686
.LBB6_3380:                             ;   in Loop: Header=BB6_3029 Depth=2
	s_or_b32 exec_lo, exec_lo, s12
	s_and_saveexec_b32 s12, s28
	s_cbranch_execz .LBB6_3382
.LBB6_3381:                             ;   in Loop: Header=BB6_3029 Depth=2
	v_bfe_u32 v48, v17, 3, 4
	v_lshlrev_b32_e32 v49, 24, v17
	s_delay_alu instid0(VALU_DEP_2) | instskip(SKIP_1) | instid1(VALU_DEP_1)
	v_cmp_eq_u32_e32 vcc_lo, 0, v48
	v_and_b32_e32 v37, 7, v17
	v_clz_i32_u32_e32 v38, v37
	s_delay_alu instid0(VALU_DEP_1) | instskip(NEXT) | instid1(VALU_DEP_1)
	v_min_u32_e32 v38, 32, v38
	v_subrev_nc_u32_e32 v39, 28, v38
	v_sub_nc_u32_e32 v38, 29, v38
	s_delay_alu instid0(VALU_DEP_1) | instskip(NEXT) | instid1(VALU_DEP_1)
	v_dual_cndmask_b32 v38, v48, v38 :: v_dual_lshlrev_b32 v39, v39, v17
	v_and_b32_e32 v39, 7, v39
	s_delay_alu instid0(VALU_DEP_2) | instskip(NEXT) | instid1(VALU_DEP_2)
	v_lshl_add_u32 v38, v38, 23, 0x3b800000
	v_cndmask_b32_e32 v37, v37, v39, vcc_lo
	v_and_b32_e32 v39, 0x80000000, v49
	s_delay_alu instid0(VALU_DEP_2) | instskip(NEXT) | instid1(VALU_DEP_1)
	v_lshlrev_b32_e32 v37, 20, v37
	v_or3_b32 v37, v39, v38, v37
.LBB6_3382:                             ;   in Loop: Header=BB6_3029 Depth=2
	s_or_b32 exec_lo, exec_lo, s12
	v_and_b32_e32 v39, 0xff, v13
	s_mov_b32 s12, 0
	s_mov_b32 s29, exec_lo
                                        ; implicit-def: $sgpr28
	s_delay_alu instid0(VALU_DEP_1)
	v_cmpx_lt_i16_e32 0x7f, v39
	s_xor_b32 s29, exec_lo, s29
	s_cbranch_execnz .LBB6_3687
; %bb.3383:                             ;   in Loop: Header=BB6_3029 Depth=2
	s_or_saveexec_b32 s29, s29
	v_mov_b32_e32 v38, s28
	s_xor_b32 exec_lo, exec_lo, s29
	s_cbranch_execnz .LBB6_3690
.LBB6_3384:                             ;   in Loop: Header=BB6_3029 Depth=2
	s_or_b32 exec_lo, exec_lo, s29
	s_and_saveexec_b32 s28, s12
	s_cbranch_execz .LBB6_3386
.LBB6_3385:                             ;   in Loop: Header=BB6_3029 Depth=2
	v_bfe_u32 v49, v13, 3, 4
	v_lshlrev_b32_e32 v50, 24, v13
	s_delay_alu instid0(VALU_DEP_2) | instskip(SKIP_1) | instid1(VALU_DEP_1)
	v_cmp_eq_u32_e32 vcc_lo, 0, v49
	v_and_b32_e32 v38, 7, v13
	v_clz_i32_u32_e32 v39, v38
	s_delay_alu instid0(VALU_DEP_1) | instskip(NEXT) | instid1(VALU_DEP_1)
	v_min_u32_e32 v39, 32, v39
	v_subrev_nc_u32_e32 v48, 28, v39
	v_sub_nc_u32_e32 v39, 29, v39
	s_delay_alu instid0(VALU_DEP_1) | instskip(NEXT) | instid1(VALU_DEP_1)
	v_dual_cndmask_b32 v39, v49, v39 :: v_dual_lshlrev_b32 v48, v48, v13
	v_and_b32_e32 v48, 7, v48
	s_delay_alu instid0(VALU_DEP_2) | instskip(NEXT) | instid1(VALU_DEP_2)
	v_lshl_add_u32 v39, v39, 23, 0x3b800000
	v_cndmask_b32_e32 v38, v38, v48, vcc_lo
	v_and_b32_e32 v48, 0x80000000, v50
	s_delay_alu instid0(VALU_DEP_2) | instskip(NEXT) | instid1(VALU_DEP_1)
	v_lshlrev_b32_e32 v38, 20, v38
	v_or3_b32 v38, v48, v39, v38
.LBB6_3386:                             ;   in Loop: Header=BB6_3029 Depth=2
	s_or_b32 exec_lo, exec_lo, s28
	s_delay_alu instid0(VALU_DEP_1) | instskip(SKIP_1) | instid1(VALU_DEP_1)
	v_dual_max_f32 v38, v38, v38 :: v_dual_max_f32 v37, v37, v37
	s_mov_b32 s12, 0
	v_max_f32_e32 v37, v37, v38
	s_branch .LBB6_3388
.LBB6_3387:                             ;   in Loop: Header=BB6_3029 Depth=2
	s_mov_b32 s12, -1
                                        ; implicit-def: $vgpr37
.LBB6_3388:                             ;   in Loop: Header=BB6_3029 Depth=2
	s_delay_alu instid0(SALU_CYCLE_1)
	s_and_b32 vcc_lo, exec_lo, s12
	s_cbranch_vccz .LBB6_3398
; %bb.3389:                             ;   in Loop: Header=BB6_3029 Depth=2
	s_mov_b32 s12, 0
	s_mov_b32 s29, exec_lo
                                        ; implicit-def: $sgpr28
	v_cmpx_lt_i16_e32 0x7f, v16
	s_xor_b32 s29, exec_lo, s29
	s_cbranch_execnz .LBB6_3691
; %bb.3390:                             ;   in Loop: Header=BB6_3029 Depth=2
	s_or_saveexec_b32 s29, s29
	v_mov_b32_e32 v37, s28
	s_xor_b32 exec_lo, exec_lo, s29
	s_cbranch_execnz .LBB6_3694
.LBB6_3391:                             ;   in Loop: Header=BB6_3029 Depth=2
	s_or_b32 exec_lo, exec_lo, s29
	s_and_saveexec_b32 s28, s12
	s_cbranch_execz .LBB6_3393
.LBB6_3392:                             ;   in Loop: Header=BB6_3029 Depth=2
	v_and_b32_e32 v16, 7, v17
	v_bfe_u32 v39, v17, 3, 4
	v_lshlrev_b32_e32 v48, 24, v17
	s_delay_alu instid0(VALU_DEP_3) | instskip(NEXT) | instid1(VALU_DEP_3)
	v_clz_i32_u32_e32 v37, v16
	v_cmp_eq_u32_e32 vcc_lo, 0, v39
	s_delay_alu instid0(VALU_DEP_2) | instskip(NEXT) | instid1(VALU_DEP_1)
	v_min_u32_e32 v37, 32, v37
	v_subrev_nc_u32_e32 v38, 28, v37
	v_sub_nc_u32_e32 v37, 29, v37
	s_delay_alu instid0(VALU_DEP_2) | instskip(NEXT) | instid1(VALU_DEP_1)
	v_lshlrev_b32_e32 v38, v38, v17
	v_dual_cndmask_b32 v37, v39, v37 :: v_dual_and_b32 v38, 7, v38
	s_delay_alu instid0(VALU_DEP_1) | instskip(NEXT) | instid1(VALU_DEP_2)
	v_lshl_add_u32 v37, v37, 23, 0x3b800000
	v_cndmask_b32_e32 v16, v16, v38, vcc_lo
	v_and_b32_e32 v38, 0x80000000, v48
	s_delay_alu instid0(VALU_DEP_2) | instskip(NEXT) | instid1(VALU_DEP_1)
	v_lshlrev_b32_e32 v16, 20, v16
	v_or3_b32 v37, v38, v37, v16
.LBB6_3393:                             ;   in Loop: Header=BB6_3029 Depth=2
	s_or_b32 exec_lo, exec_lo, s28
	v_and_b32_e32 v38, 0xff, v13
	s_mov_b32 s12, 0
	s_mov_b32 s29, exec_lo
                                        ; implicit-def: $sgpr28
	s_delay_alu instid0(VALU_DEP_1)
	v_cmpx_lt_i16_e32 0x7f, v38
	s_xor_b32 s29, exec_lo, s29
	s_cbranch_execnz .LBB6_3695
; %bb.3394:                             ;   in Loop: Header=BB6_3029 Depth=2
	s_or_saveexec_b32 s29, s29
	v_mov_b32_e32 v16, s28
	s_xor_b32 exec_lo, exec_lo, s29
	s_cbranch_execnz .LBB6_3698
.LBB6_3395:                             ;   in Loop: Header=BB6_3029 Depth=2
	s_or_b32 exec_lo, exec_lo, s29
	s_and_saveexec_b32 s28, s12
	s_cbranch_execz .LBB6_3397
.LBB6_3396:                             ;   in Loop: Header=BB6_3029 Depth=2
	v_and_b32_e32 v16, 7, v13
	v_bfe_u32 v48, v13, 3, 4
	s_delay_alu instid0(VALU_DEP_2) | instskip(NEXT) | instid1(VALU_DEP_2)
	v_clz_i32_u32_e32 v38, v16
	v_cmp_eq_u32_e32 vcc_lo, 0, v48
	s_delay_alu instid0(VALU_DEP_2) | instskip(NEXT) | instid1(VALU_DEP_1)
	v_min_u32_e32 v38, 32, v38
	v_subrev_nc_u32_e32 v39, 28, v38
	v_sub_nc_u32_e32 v38, 29, v38
	s_delay_alu instid0(VALU_DEP_1) | instskip(NEXT) | instid1(VALU_DEP_1)
	v_dual_cndmask_b32 v38, v48, v38 :: v_dual_lshlrev_b32 v39, v39, v13
	v_and_b32_e32 v39, 7, v39
	v_lshlrev_b32_e32 v49, 24, v13
	s_delay_alu instid0(VALU_DEP_3) | instskip(NEXT) | instid1(VALU_DEP_2)
	v_lshl_add_u32 v38, v38, 23, 0x3b800000
	v_dual_cndmask_b32 v16, v16, v39 :: v_dual_and_b32 v39, 0x80000000, v49
	s_delay_alu instid0(VALU_DEP_1) | instskip(NEXT) | instid1(VALU_DEP_1)
	v_lshlrev_b32_e32 v16, 20, v16
	v_or3_b32 v16, v39, v38, v16
.LBB6_3397:                             ;   in Loop: Header=BB6_3029 Depth=2
	s_or_b32 exec_lo, exec_lo, s28
	s_delay_alu instid0(VALU_DEP_1) | instskip(NEXT) | instid1(VALU_DEP_1)
	v_dual_max_f32 v16, v16, v16 :: v_dual_max_f32 v37, v37, v37
	v_min_f32_e32 v37, v37, v16
.LBB6_3398:                             ;   in Loop: Header=BB6_3029 Depth=2
	s_delay_alu instid0(VALU_DEP_1) | instskip(NEXT) | instid1(VALU_DEP_1)
	v_and_b32_e32 v16, 0x7f800000, v37
	v_cmp_ne_u32_e32 vcc_lo, 0x7f800000, v16
	v_mov_b32_e32 v16, 0x80
	s_and_saveexec_b32 s28, vcc_lo
	s_cbranch_execz .LBB6_3406
; %bb.3399:                             ;   in Loop: Header=BB6_3029 Depth=2
	v_mov_b32_e32 v16, 0
	s_mov_b32 s29, exec_lo
	v_cmpx_ne_u32_e32 0, v37
	s_cbranch_execz .LBB6_3405
; %bb.3400:                             ;   in Loop: Header=BB6_3029 Depth=2
	v_bfe_u32 v16, v37, 23, 8
	s_delay_alu instid0(VALU_DEP_1) | instskip(SKIP_1) | instid1(VALU_DEP_2)
	v_sub_nc_u32_e32 v39, 0x78, v16
	v_cmp_gt_u32_e32 vcc_lo, 0x79, v16
	v_dual_cndmask_b32 v39, 0, v39 :: v_dual_and_b32 v38, 0x7fffff, v37
	s_delay_alu instid0(VALU_DEP_1) | instskip(SKIP_2) | instid1(VALU_DEP_4)
	v_or_b32_e32 v48, 0x800000, v38
	v_cmp_eq_u32_e32 vcc_lo, 0, v16
	v_add_nc_u32_e32 v16, 0xffffff89, v16
	v_cndmask_b32_e64 v39, v39, 0x77, vcc_lo
	s_delay_alu instid0(VALU_DEP_2) | instskip(SKIP_1) | instid1(VALU_DEP_3)
	v_cndmask_b32_e64 v16, v16, 0xffffff8a, vcc_lo
	v_cndmask_b32_e32 v38, v48, v38, vcc_lo
	v_lshl_add_u32 v48, 0x100000, v39, -1
	v_lshlrev_b32_e64 v51, v39, 0x80000
	s_delay_alu instid0(VALU_DEP_3) | instskip(SKIP_1) | instid1(VALU_DEP_4)
	v_lshrrev_b32_e32 v49, v39, v38
	v_add_nc_u32_e32 v39, v39, v16
	v_and_b32_e32 v38, v48, v38
	s_delay_alu instid0(VALU_DEP_3) | instskip(NEXT) | instid1(VALU_DEP_2)
	v_bfe_u32 v50, v49, 20, 1
	v_cmp_eq_u32_e64 s12, v38, v51
	s_delay_alu instid0(VALU_DEP_2) | instskip(NEXT) | instid1(VALU_DEP_1)
	v_add_nc_u32_e32 v48, -1, v50
	v_cndmask_b32_e64 v38, 0, v48, s12
	v_lshrrev_b32_e32 v48, 23, v49
	s_mov_b32 s12, exec_lo
	s_delay_alu instid0(VALU_DEP_2) | instskip(NEXT) | instid1(VALU_DEP_2)
	v_add_nc_u32_e32 v38, v38, v49
	v_xor_b32_e32 v48, 1, v48
	s_delay_alu instid0(VALU_DEP_2) | instskip(NEXT) | instid1(VALU_DEP_1)
	v_and_b32_e32 v16, 0xfffff, v38
	v_add_nc_u32_e32 v38, v16, v49
                                        ; implicit-def: $vgpr16
	s_delay_alu instid0(VALU_DEP_3)
	v_cmpx_ne_u32_e64 v39, v48
	s_xor_b32 s12, exec_lo, s12
; %bb.3401:                             ;   in Loop: Header=BB6_3029 Depth=2
	s_delay_alu instid0(VALU_DEP_2) | instskip(SKIP_2) | instid1(VALU_DEP_2)
	v_cmp_lt_u32_e32 vcc_lo, 0xffffff, v38
	v_sub_nc_u32_e32 v16, v39, v48
	v_cndmask_b32_e64 v39, 0, 1, vcc_lo
	v_add_co_ci_u32_e32 v16, vcc_lo, 0, v16, vcc_lo
	s_delay_alu instid0(VALU_DEP_2)
	v_lshrrev_b32_e32 v38, v39, v38
; %bb.3402:                             ;   in Loop: Header=BB6_3029 Depth=2
	s_and_not1_saveexec_b32 s12, s12
; %bb.3403:                             ;   in Loop: Header=BB6_3029 Depth=2
	s_delay_alu instid0(VALU_DEP_1)
	v_bfe_u32 v16, v38, 23, 1
; %bb.3404:                             ;   in Loop: Header=BB6_3029 Depth=2
	s_or_b32 exec_lo, exec_lo, s12
	v_lshrrev_b32_e32 v38, 20, v38
	s_delay_alu instid0(VALU_DEP_2) | instskip(SKIP_2) | instid1(VALU_DEP_2)
	v_cmp_gt_i32_e32 vcc_lo, 16, v16
	v_lshrrev_b32_e32 v37, 24, v37
	v_min_i32_e32 v39, 15, v16
	v_dual_cndmask_b32 v38, 7, v38 :: v_dual_and_b32 v37, 0x80, v37
	s_delay_alu instid0(VALU_DEP_1) | instskip(SKIP_1) | instid1(VALU_DEP_2)
	v_or_b32_e32 v16, v16, v38
	v_and_b32_e32 v48, 7, v38
	v_cmp_ne_u32_e32 vcc_lo, 0, v16
	v_lshlrev_b32_e32 v39, 3, v39
	s_delay_alu instid0(VALU_DEP_1) | instskip(NEXT) | instid1(VALU_DEP_1)
	v_or3_b32 v37, v39, v37, v48
	v_cndmask_b32_e32 v16, 0, v37, vcc_lo
.LBB6_3405:                             ;   in Loop: Header=BB6_3029 Depth=2
	s_or_b32 exec_lo, exec_lo, s29
.LBB6_3406:                             ;   in Loop: Header=BB6_3029 Depth=2
	s_delay_alu instid0(SALU_CYCLE_1) | instskip(SKIP_3) | instid1(VALU_DEP_2)
	s_or_b32 exec_lo, exec_lo, s28
	v_lshrrev_b16 v38, 8, v17
	v_lshrrev_b16 v37, 8, v13
	s_and_b32 vcc_lo, exec_lo, s27
	v_cmp_lt_i16_e64 s12, 0x7f, v38
	s_cbranch_vccz .LBB6_3416
; %bb.3407:                             ;   in Loop: Header=BB6_3029 Depth=2
	s_mov_b32 s28, 0
                                        ; implicit-def: $sgpr29
	s_delay_alu instid0(VALU_DEP_1) | instskip(NEXT) | instid1(SALU_CYCLE_1)
	s_and_saveexec_b32 vcc_lo, s12
	s_xor_b32 s12, exec_lo, vcc_lo
	s_cbranch_execnz .LBB6_3699
; %bb.3408:                             ;   in Loop: Header=BB6_3029 Depth=2
	s_or_saveexec_b32 s12, s12
	v_mov_b32_e32 v39, s29
	s_xor_b32 exec_lo, exec_lo, s12
	s_cbranch_execnz .LBB6_3702
.LBB6_3409:                             ;   in Loop: Header=BB6_3029 Depth=2
	s_or_b32 exec_lo, exec_lo, s12
	s_and_saveexec_b32 s12, s28
	s_cbranch_execz .LBB6_3411
.LBB6_3410:                             ;   in Loop: Header=BB6_3029 Depth=2
	v_and_b32_e32 v39, 0xffff, v38
	s_delay_alu instid0(VALU_DEP_1) | instskip(NEXT) | instid1(VALU_DEP_1)
	v_and_b32_e32 v48, 7, v39
	v_clz_i32_u32_e32 v49, v48
	s_delay_alu instid0(VALU_DEP_1) | instskip(NEXT) | instid1(VALU_DEP_1)
	v_min_u32_e32 v49, 32, v49
	v_subrev_nc_u32_e32 v50, 28, v49
	v_sub_nc_u32_e32 v49, 29, v49
	s_delay_alu instid0(VALU_DEP_2) | instskip(SKIP_1) | instid1(VALU_DEP_2)
	v_lshlrev_b32_e32 v50, v50, v39
	v_bfe_u32 v39, v39, 3, 4
	v_and_b32_e32 v50, 7, v50
	s_delay_alu instid0(VALU_DEP_2) | instskip(SKIP_1) | instid1(VALU_DEP_3)
	v_cmp_eq_u32_e32 vcc_lo, 0, v39
	v_cndmask_b32_e32 v39, v39, v49, vcc_lo
	v_dual_cndmask_b32 v48, v48, v50 :: v_dual_lshlrev_b32 v51, 16, v17
	s_delay_alu instid0(VALU_DEP_2) | instskip(NEXT) | instid1(VALU_DEP_2)
	v_lshl_add_u32 v39, v39, 23, 0x3b800000
	v_and_b32_e32 v49, 0x80000000, v51
	s_delay_alu instid0(VALU_DEP_3) | instskip(NEXT) | instid1(VALU_DEP_1)
	v_lshlrev_b32_e32 v48, 20, v48
	v_or3_b32 v39, v49, v39, v48
.LBB6_3411:                             ;   in Loop: Header=BB6_3029 Depth=2
	s_or_b32 exec_lo, exec_lo, s12
	s_mov_b32 s12, 0
	s_mov_b32 s29, exec_lo
                                        ; implicit-def: $sgpr28
	v_cmpx_lt_i16_e32 0x7f, v37
	s_xor_b32 s29, exec_lo, s29
	s_cbranch_execnz .LBB6_3703
; %bb.3412:                             ;   in Loop: Header=BB6_3029 Depth=2
	s_or_saveexec_b32 s29, s29
	v_mov_b32_e32 v48, s28
	s_xor_b32 exec_lo, exec_lo, s29
	s_cbranch_execnz .LBB6_3706
.LBB6_3413:                             ;   in Loop: Header=BB6_3029 Depth=2
	s_or_b32 exec_lo, exec_lo, s29
	s_and_saveexec_b32 s28, s12
	s_cbranch_execz .LBB6_3415
.LBB6_3414:                             ;   in Loop: Header=BB6_3029 Depth=2
	v_and_b32_e32 v48, 0xffff, v37
	v_lshlrev_b32_e32 v97, 16, v13
	s_delay_alu instid0(VALU_DEP_2) | instskip(NEXT) | instid1(VALU_DEP_1)
	v_and_b32_e32 v49, 7, v48
	v_clz_i32_u32_e32 v50, v49
	s_delay_alu instid0(VALU_DEP_1) | instskip(NEXT) | instid1(VALU_DEP_1)
	v_min_u32_e32 v50, 32, v50
	v_subrev_nc_u32_e32 v51, 28, v50
	v_sub_nc_u32_e32 v50, 29, v50
	s_delay_alu instid0(VALU_DEP_2) | instskip(SKIP_1) | instid1(VALU_DEP_2)
	v_lshlrev_b32_e32 v51, v51, v48
	v_bfe_u32 v48, v48, 3, 4
	v_and_b32_e32 v51, 7, v51
	s_delay_alu instid0(VALU_DEP_2) | instskip(NEXT) | instid1(VALU_DEP_2)
	v_cmp_eq_u32_e32 vcc_lo, 0, v48
	v_dual_cndmask_b32 v48, v48, v50 :: v_dual_cndmask_b32 v49, v49, v51
	v_and_b32_e32 v50, 0x80000000, v97
	s_delay_alu instid0(VALU_DEP_2) | instskip(NEXT) | instid1(VALU_DEP_3)
	v_lshl_add_u32 v48, v48, 23, 0x3b800000
	v_lshlrev_b32_e32 v49, 20, v49
	s_delay_alu instid0(VALU_DEP_1)
	v_or3_b32 v48, v50, v48, v49
.LBB6_3415:                             ;   in Loop: Header=BB6_3029 Depth=2
	s_or_b32 exec_lo, exec_lo, s28
	s_delay_alu instid0(VALU_DEP_1) | instskip(SKIP_1) | instid1(VALU_DEP_1)
	v_dual_max_f32 v48, v48, v48 :: v_dual_max_f32 v39, v39, v39
	s_mov_b32 s12, 0
	v_max_f32_e32 v39, v39, v48
	s_branch .LBB6_3417
.LBB6_3416:                             ;   in Loop: Header=BB6_3029 Depth=2
	s_mov_b32 s12, -1
                                        ; implicit-def: $vgpr39
.LBB6_3417:                             ;   in Loop: Header=BB6_3029 Depth=2
	s_delay_alu instid0(SALU_CYCLE_1)
	s_and_b32 vcc_lo, exec_lo, s12
	s_cbranch_vccz .LBB6_3427
; %bb.3418:                             ;   in Loop: Header=BB6_3029 Depth=2
	s_mov_b32 s12, 0
	s_mov_b32 s29, exec_lo
                                        ; implicit-def: $sgpr28
	v_cmpx_lt_i16_e32 0x7f, v38
	s_xor_b32 s29, exec_lo, s29
	s_cbranch_execnz .LBB6_3707
; %bb.3419:                             ;   in Loop: Header=BB6_3029 Depth=2
	s_or_saveexec_b32 s29, s29
	v_mov_b32_e32 v39, s28
	s_xor_b32 exec_lo, exec_lo, s29
	s_cbranch_execnz .LBB6_3710
.LBB6_3420:                             ;   in Loop: Header=BB6_3029 Depth=2
	s_or_b32 exec_lo, exec_lo, s29
	s_and_saveexec_b32 s28, s12
	s_cbranch_execz .LBB6_3422
.LBB6_3421:                             ;   in Loop: Header=BB6_3029 Depth=2
	v_and_b32_e32 v38, 0xffff, v38
	v_lshlrev_b32_e32 v50, 16, v17
	s_delay_alu instid0(VALU_DEP_2) | instskip(NEXT) | instid1(VALU_DEP_1)
	v_and_b32_e32 v39, 7, v38
	v_clz_i32_u32_e32 v48, v39
	s_delay_alu instid0(VALU_DEP_1) | instskip(NEXT) | instid1(VALU_DEP_1)
	v_min_u32_e32 v48, 32, v48
	v_subrev_nc_u32_e32 v49, 28, v48
	v_sub_nc_u32_e32 v48, 29, v48
	s_delay_alu instid0(VALU_DEP_2) | instskip(SKIP_1) | instid1(VALU_DEP_2)
	v_lshlrev_b32_e32 v49, v49, v38
	v_bfe_u32 v38, v38, 3, 4
	v_and_b32_e32 v49, 7, v49
	s_delay_alu instid0(VALU_DEP_2) | instskip(NEXT) | instid1(VALU_DEP_2)
	v_cmp_eq_u32_e32 vcc_lo, 0, v38
	v_dual_cndmask_b32 v38, v38, v48 :: v_dual_cndmask_b32 v39, v39, v49
	v_and_b32_e32 v48, 0x80000000, v50
	s_delay_alu instid0(VALU_DEP_2) | instskip(NEXT) | instid1(VALU_DEP_3)
	v_lshl_add_u32 v38, v38, 23, 0x3b800000
	v_lshlrev_b32_e32 v39, 20, v39
	s_delay_alu instid0(VALU_DEP_1)
	v_or3_b32 v39, v48, v38, v39
.LBB6_3422:                             ;   in Loop: Header=BB6_3029 Depth=2
	s_or_b32 exec_lo, exec_lo, s28
	s_mov_b32 s12, 0
	s_mov_b32 s29, exec_lo
                                        ; implicit-def: $sgpr28
	v_cmpx_lt_i16_e32 0x7f, v37
	s_xor_b32 s29, exec_lo, s29
	s_cbranch_execnz .LBB6_3711
; %bb.3423:                             ;   in Loop: Header=BB6_3029 Depth=2
	s_or_saveexec_b32 s29, s29
	v_mov_b32_e32 v38, s28
	s_xor_b32 exec_lo, exec_lo, s29
	s_cbranch_execnz .LBB6_3714
.LBB6_3424:                             ;   in Loop: Header=BB6_3029 Depth=2
	s_or_b32 exec_lo, exec_lo, s29
	s_and_saveexec_b32 s28, s12
	s_cbranch_execz .LBB6_3426
.LBB6_3425:                             ;   in Loop: Header=BB6_3029 Depth=2
	v_and_b32_e32 v37, 0xffff, v37
	v_lshlrev_b32_e32 v50, 16, v13
	s_delay_alu instid0(VALU_DEP_2) | instskip(NEXT) | instid1(VALU_DEP_1)
	v_and_b32_e32 v38, 7, v37
	v_clz_i32_u32_e32 v48, v38
	s_delay_alu instid0(VALU_DEP_1) | instskip(NEXT) | instid1(VALU_DEP_1)
	v_min_u32_e32 v48, 32, v48
	v_subrev_nc_u32_e32 v49, 28, v48
	v_sub_nc_u32_e32 v48, 29, v48
	s_delay_alu instid0(VALU_DEP_2) | instskip(SKIP_1) | instid1(VALU_DEP_2)
	v_lshlrev_b32_e32 v49, v49, v37
	v_bfe_u32 v37, v37, 3, 4
	v_and_b32_e32 v49, 7, v49
	s_delay_alu instid0(VALU_DEP_2) | instskip(NEXT) | instid1(VALU_DEP_2)
	v_cmp_eq_u32_e32 vcc_lo, 0, v37
	v_dual_cndmask_b32 v37, v37, v48 :: v_dual_cndmask_b32 v38, v38, v49
	v_and_b32_e32 v48, 0x80000000, v50
	s_delay_alu instid0(VALU_DEP_2) | instskip(NEXT) | instid1(VALU_DEP_3)
	v_lshl_add_u32 v37, v37, 23, 0x3b800000
	v_lshlrev_b32_e32 v38, 20, v38
	s_delay_alu instid0(VALU_DEP_1)
	v_or3_b32 v38, v48, v37, v38
.LBB6_3426:                             ;   in Loop: Header=BB6_3029 Depth=2
	s_or_b32 exec_lo, exec_lo, s28
	s_delay_alu instid0(VALU_DEP_1) | instskip(NEXT) | instid1(VALU_DEP_1)
	v_dual_max_f32 v37, v38, v38 :: v_dual_max_f32 v38, v39, v39
	v_min_f32_e32 v39, v38, v37
.LBB6_3427:                             ;   in Loop: Header=BB6_3029 Depth=2
	s_delay_alu instid0(VALU_DEP_1) | instskip(NEXT) | instid1(VALU_DEP_1)
	v_and_b32_e32 v37, 0x7f800000, v39
	v_cmp_ne_u32_e32 vcc_lo, 0x7f800000, v37
	v_mov_b32_e32 v37, 0x80
	s_and_saveexec_b32 s28, vcc_lo
	s_cbranch_execz .LBB6_3435
; %bb.3428:                             ;   in Loop: Header=BB6_3029 Depth=2
	v_mov_b32_e32 v37, 0
	s_mov_b32 s29, exec_lo
	v_cmpx_ne_u32_e32 0, v39
	s_cbranch_execz .LBB6_3434
; %bb.3429:                             ;   in Loop: Header=BB6_3029 Depth=2
	v_bfe_u32 v37, v39, 23, 8
	v_and_b32_e32 v38, 0x7fffff, v39
	s_delay_alu instid0(VALU_DEP_2) | instskip(SKIP_1) | instid1(VALU_DEP_3)
	v_sub_nc_u32_e32 v48, 0x78, v37
	v_cmp_gt_u32_e32 vcc_lo, 0x79, v37
	v_or_b32_e32 v49, 0x800000, v38
	s_delay_alu instid0(VALU_DEP_3) | instskip(SKIP_2) | instid1(VALU_DEP_3)
	v_cndmask_b32_e32 v48, 0, v48, vcc_lo
	v_cmp_eq_u32_e32 vcc_lo, 0, v37
	v_add_nc_u32_e32 v37, 0xffffff89, v37
	v_cndmask_b32_e64 v48, v48, 0x77, vcc_lo
	v_cndmask_b32_e32 v38, v49, v38, vcc_lo
	s_delay_alu instid0(VALU_DEP_3) | instskip(NEXT) | instid1(VALU_DEP_3)
	v_cndmask_b32_e64 v37, v37, 0xffffff8a, vcc_lo
	v_lshl_add_u32 v49, 0x100000, v48, -1
	s_delay_alu instid0(VALU_DEP_3) | instskip(SKIP_1) | instid1(VALU_DEP_4)
	v_lshrrev_b32_e32 v50, v48, v38
	v_lshlrev_b32_e64 v97, v48, 0x80000
	v_add_nc_u32_e32 v48, v48, v37
	s_delay_alu instid0(VALU_DEP_4) | instskip(NEXT) | instid1(VALU_DEP_4)
	v_and_b32_e32 v38, v49, v38
	v_bfe_u32 v51, v50, 20, 1
	s_delay_alu instid0(VALU_DEP_2) | instskip(NEXT) | instid1(VALU_DEP_2)
	v_cmp_eq_u32_e64 s12, v38, v97
	v_add_nc_u32_e32 v49, -1, v51
	s_delay_alu instid0(VALU_DEP_1) | instskip(SKIP_2) | instid1(VALU_DEP_2)
	v_cndmask_b32_e64 v38, 0, v49, s12
	v_lshrrev_b32_e32 v49, 23, v50
	s_mov_b32 s12, exec_lo
	v_add_nc_u32_e32 v38, v38, v50
	s_delay_alu instid0(VALU_DEP_2) | instskip(NEXT) | instid1(VALU_DEP_2)
	v_xor_b32_e32 v49, 1, v49
	v_and_b32_e32 v37, 0xfffff, v38
	s_delay_alu instid0(VALU_DEP_1) | instskip(NEXT) | instid1(VALU_DEP_3)
	v_add_nc_u32_e32 v38, v37, v50
                                        ; implicit-def: $vgpr37
	v_cmpx_ne_u32_e64 v48, v49
	s_xor_b32 s12, exec_lo, s12
; %bb.3430:                             ;   in Loop: Header=BB6_3029 Depth=2
	s_delay_alu instid0(VALU_DEP_2) | instskip(SKIP_2) | instid1(VALU_DEP_2)
	v_cmp_lt_u32_e32 vcc_lo, 0xffffff, v38
	v_sub_nc_u32_e32 v37, v48, v49
	v_cndmask_b32_e64 v48, 0, 1, vcc_lo
	v_add_co_ci_u32_e32 v37, vcc_lo, 0, v37, vcc_lo
	s_delay_alu instid0(VALU_DEP_2)
	v_lshrrev_b32_e32 v38, v48, v38
; %bb.3431:                             ;   in Loop: Header=BB6_3029 Depth=2
	s_and_not1_saveexec_b32 s12, s12
; %bb.3432:                             ;   in Loop: Header=BB6_3029 Depth=2
	s_delay_alu instid0(VALU_DEP_1)
	v_bfe_u32 v37, v38, 23, 1
; %bb.3433:                             ;   in Loop: Header=BB6_3029 Depth=2
	s_or_b32 exec_lo, exec_lo, s12
	v_lshrrev_b32_e32 v38, 20, v38
	s_delay_alu instid0(VALU_DEP_2) | instskip(SKIP_2) | instid1(VALU_DEP_2)
	v_cmp_gt_i32_e32 vcc_lo, 16, v37
	v_lshrrev_b32_e32 v39, 24, v39
	v_min_i32_e32 v48, 15, v37
	v_dual_cndmask_b32 v38, 7, v38 :: v_dual_and_b32 v39, 0x80, v39
	s_delay_alu instid0(VALU_DEP_1) | instskip(SKIP_1) | instid1(VALU_DEP_2)
	v_or_b32_e32 v37, v37, v38
	v_and_b32_e32 v49, 7, v38
	v_cmp_ne_u32_e32 vcc_lo, 0, v37
	v_lshlrev_b32_e32 v48, 3, v48
	s_delay_alu instid0(VALU_DEP_1) | instskip(NEXT) | instid1(VALU_DEP_1)
	v_or3_b32 v38, v48, v39, v49
	v_cndmask_b32_e32 v37, 0, v38, vcc_lo
.LBB6_3434:                             ;   in Loop: Header=BB6_3029 Depth=2
	s_or_b32 exec_lo, exec_lo, s29
.LBB6_3435:                             ;   in Loop: Header=BB6_3029 Depth=2
	s_delay_alu instid0(SALU_CYCLE_1) | instskip(SKIP_3) | instid1(VALU_DEP_2)
	s_or_b32 exec_lo, exec_lo, s28
	v_lshrrev_b32_e32 v39, 16, v17
	v_lshrrev_b32_e32 v38, 16, v13
	s_and_b32 vcc_lo, exec_lo, s27
	v_and_b32_e32 v48, 0xff, v39
	s_delay_alu instid0(VALU_DEP_1)
	v_cmp_lt_i16_e64 s12, 0x7f, v48
	s_cbranch_vccz .LBB6_3445
; %bb.3436:                             ;   in Loop: Header=BB6_3029 Depth=2
	s_mov_b32 s28, 0
                                        ; implicit-def: $sgpr29
	s_delay_alu instid0(VALU_DEP_1) | instskip(NEXT) | instid1(SALU_CYCLE_1)
	s_and_saveexec_b32 vcc_lo, s12
	s_xor_b32 s12, exec_lo, vcc_lo
	s_cbranch_execnz .LBB6_3715
; %bb.3437:                             ;   in Loop: Header=BB6_3029 Depth=2
	s_or_saveexec_b32 s12, s12
	v_mov_b32_e32 v49, s29
	s_xor_b32 exec_lo, exec_lo, s12
	s_cbranch_execnz .LBB6_3718
.LBB6_3438:                             ;   in Loop: Header=BB6_3029 Depth=2
	s_or_b32 exec_lo, exec_lo, s12
	s_and_saveexec_b32 s12, s28
	s_cbranch_execz .LBB6_3440
.LBB6_3439:                             ;   in Loop: Header=BB6_3029 Depth=2
	v_bfe_u32 v49, v17, 16, 3
	v_bfe_u32 v97, v17, 19, 4
	v_lshlrev_b32_e32 v98, 24, v39
	s_delay_alu instid0(VALU_DEP_3) | instskip(NEXT) | instid1(VALU_DEP_3)
	v_clz_i32_u32_e32 v50, v49
	v_cmp_eq_u32_e32 vcc_lo, 0, v97
	s_delay_alu instid0(VALU_DEP_2) | instskip(NEXT) | instid1(VALU_DEP_1)
	v_min_u32_e32 v50, 32, v50
	v_subrev_nc_u32_e32 v51, 28, v50
	v_sub_nc_u32_e32 v50, 29, v50
	s_delay_alu instid0(VALU_DEP_1) | instskip(NEXT) | instid1(VALU_DEP_1)
	v_dual_cndmask_b32 v50, v97, v50 :: v_dual_lshlrev_b32 v51, v51, v39
	v_and_b32_e32 v51, 7, v51
	s_delay_alu instid0(VALU_DEP_2) | instskip(NEXT) | instid1(VALU_DEP_2)
	v_lshl_add_u32 v50, v50, 23, 0x3b800000
	v_cndmask_b32_e32 v49, v49, v51, vcc_lo
	v_and_b32_e32 v51, 0x80000000, v98
	s_delay_alu instid0(VALU_DEP_2) | instskip(NEXT) | instid1(VALU_DEP_1)
	v_lshlrev_b32_e32 v49, 20, v49
	v_or3_b32 v49, v51, v50, v49
.LBB6_3440:                             ;   in Loop: Header=BB6_3029 Depth=2
	s_or_b32 exec_lo, exec_lo, s12
	v_and_b32_e32 v51, 0xff, v38
	s_mov_b32 s12, 0
	s_mov_b32 s29, exec_lo
                                        ; implicit-def: $sgpr28
	s_delay_alu instid0(VALU_DEP_1)
	v_cmpx_lt_i16_e32 0x7f, v51
	s_xor_b32 s29, exec_lo, s29
	s_cbranch_execnz .LBB6_3719
; %bb.3441:                             ;   in Loop: Header=BB6_3029 Depth=2
	s_or_saveexec_b32 s29, s29
	v_mov_b32_e32 v50, s28
	s_xor_b32 exec_lo, exec_lo, s29
	s_cbranch_execnz .LBB6_3722
.LBB6_3442:                             ;   in Loop: Header=BB6_3029 Depth=2
	s_or_b32 exec_lo, exec_lo, s29
	s_and_saveexec_b32 s28, s12
	s_cbranch_execz .LBB6_3444
.LBB6_3443:                             ;   in Loop: Header=BB6_3029 Depth=2
	v_bfe_u32 v50, v13, 16, 3
	v_bfe_u32 v98, v13, 19, 4
	s_delay_alu instid0(VALU_DEP_2) | instskip(NEXT) | instid1(VALU_DEP_2)
	v_clz_i32_u32_e32 v51, v50
	v_cmp_eq_u32_e32 vcc_lo, 0, v98
	s_delay_alu instid0(VALU_DEP_2) | instskip(NEXT) | instid1(VALU_DEP_1)
	v_min_u32_e32 v51, 32, v51
	v_subrev_nc_u32_e32 v97, 28, v51
	v_sub_nc_u32_e32 v51, 29, v51
	s_delay_alu instid0(VALU_DEP_2) | instskip(NEXT) | instid1(VALU_DEP_1)
	v_lshlrev_b32_e32 v97, v97, v38
	v_and_b32_e32 v97, 7, v97
	s_delay_alu instid0(VALU_DEP_1) | instskip(NEXT) | instid1(VALU_DEP_4)
	v_dual_cndmask_b32 v50, v50, v97 :: v_dual_lshlrev_b32 v99, 24, v38
	v_cndmask_b32_e32 v51, v98, v51, vcc_lo
	s_delay_alu instid0(VALU_DEP_2) | instskip(NEXT) | instid1(VALU_DEP_3)
	v_and_b32_e32 v97, 0x80000000, v99
	v_lshlrev_b32_e32 v50, 20, v50
	s_delay_alu instid0(VALU_DEP_3) | instskip(NEXT) | instid1(VALU_DEP_1)
	v_lshl_add_u32 v51, v51, 23, 0x3b800000
	v_or3_b32 v50, v97, v51, v50
.LBB6_3444:                             ;   in Loop: Header=BB6_3029 Depth=2
	s_or_b32 exec_lo, exec_lo, s28
	s_delay_alu instid0(VALU_DEP_1) | instskip(SKIP_1) | instid1(VALU_DEP_1)
	v_dual_max_f32 v50, v50, v50 :: v_dual_max_f32 v49, v49, v49
	s_mov_b32 s12, 0
	v_max_f32_e32 v49, v49, v50
	s_branch .LBB6_3446
.LBB6_3445:                             ;   in Loop: Header=BB6_3029 Depth=2
	s_mov_b32 s12, -1
                                        ; implicit-def: $vgpr49
.LBB6_3446:                             ;   in Loop: Header=BB6_3029 Depth=2
	s_delay_alu instid0(SALU_CYCLE_1)
	s_and_b32 vcc_lo, exec_lo, s12
	s_cbranch_vccz .LBB6_3456
; %bb.3447:                             ;   in Loop: Header=BB6_3029 Depth=2
	s_mov_b32 s12, 0
	s_mov_b32 s29, exec_lo
                                        ; implicit-def: $sgpr28
	v_cmpx_lt_i16_e32 0x7f, v48
	s_xor_b32 s29, exec_lo, s29
	s_cbranch_execnz .LBB6_3723
; %bb.3448:                             ;   in Loop: Header=BB6_3029 Depth=2
	s_or_saveexec_b32 s29, s29
	v_mov_b32_e32 v49, s28
	s_xor_b32 exec_lo, exec_lo, s29
	s_cbranch_execnz .LBB6_3726
.LBB6_3449:                             ;   in Loop: Header=BB6_3029 Depth=2
	s_or_b32 exec_lo, exec_lo, s29
	s_and_saveexec_b32 s28, s12
	s_cbranch_execz .LBB6_3451
.LBB6_3450:                             ;   in Loop: Header=BB6_3029 Depth=2
	v_bfe_u32 v48, v17, 16, 3
	v_bfe_u32 v51, v17, 19, 4
	s_delay_alu instid0(VALU_DEP_2) | instskip(NEXT) | instid1(VALU_DEP_2)
	v_clz_i32_u32_e32 v49, v48
	v_cmp_eq_u32_e32 vcc_lo, 0, v51
	s_delay_alu instid0(VALU_DEP_2) | instskip(NEXT) | instid1(VALU_DEP_1)
	v_min_u32_e32 v49, 32, v49
	v_subrev_nc_u32_e32 v50, 28, v49
	v_sub_nc_u32_e32 v49, 29, v49
	s_delay_alu instid0(VALU_DEP_1) | instskip(NEXT) | instid1(VALU_DEP_1)
	v_dual_cndmask_b32 v49, v51, v49 :: v_dual_lshlrev_b32 v50, v50, v39
	v_and_b32_e32 v50, 7, v50
	v_lshlrev_b32_e32 v39, 24, v39
	s_delay_alu instid0(VALU_DEP_3) | instskip(NEXT) | instid1(VALU_DEP_2)
	v_lshl_add_u32 v49, v49, 23, 0x3b800000
	v_dual_cndmask_b32 v48, v48, v50 :: v_dual_and_b32 v39, 0x80000000, v39
	s_delay_alu instid0(VALU_DEP_1) | instskip(NEXT) | instid1(VALU_DEP_1)
	v_lshlrev_b32_e32 v48, 20, v48
	v_or3_b32 v49, v39, v49, v48
.LBB6_3451:                             ;   in Loop: Header=BB6_3029 Depth=2
	s_or_b32 exec_lo, exec_lo, s28
	v_and_b32_e32 v48, 0xff, v38
	s_mov_b32 s12, 0
	s_mov_b32 s29, exec_lo
                                        ; implicit-def: $sgpr28
	s_delay_alu instid0(VALU_DEP_1)
	v_cmpx_lt_i16_e32 0x7f, v48
	s_xor_b32 s29, exec_lo, s29
	s_cbranch_execnz .LBB6_3727
; %bb.3452:                             ;   in Loop: Header=BB6_3029 Depth=2
	s_or_saveexec_b32 s29, s29
	v_mov_b32_e32 v39, s28
	s_xor_b32 exec_lo, exec_lo, s29
	s_cbranch_execnz .LBB6_3730
.LBB6_3453:                             ;   in Loop: Header=BB6_3029 Depth=2
	s_or_b32 exec_lo, exec_lo, s29
	s_and_saveexec_b32 s28, s12
	s_cbranch_execz .LBB6_3455
.LBB6_3454:                             ;   in Loop: Header=BB6_3029 Depth=2
	v_bfe_u32 v39, v13, 16, 3
	v_bfe_u32 v51, v13, 19, 4
	s_delay_alu instid0(VALU_DEP_2) | instskip(NEXT) | instid1(VALU_DEP_2)
	v_clz_i32_u32_e32 v48, v39
	v_cmp_eq_u32_e32 vcc_lo, 0, v51
	s_delay_alu instid0(VALU_DEP_2) | instskip(NEXT) | instid1(VALU_DEP_1)
	v_min_u32_e32 v48, 32, v48
	v_subrev_nc_u32_e32 v50, 28, v48
	v_sub_nc_u32_e32 v48, 29, v48
	s_delay_alu instid0(VALU_DEP_2) | instskip(SKIP_1) | instid1(VALU_DEP_2)
	v_lshlrev_b32_e32 v50, v50, v38
	v_lshlrev_b32_e32 v38, 24, v38
	v_and_b32_e32 v50, 7, v50
	s_delay_alu instid0(VALU_DEP_2) | instskip(NEXT) | instid1(VALU_DEP_2)
	v_and_b32_e32 v38, 0x80000000, v38
	v_cndmask_b32_e32 v39, v39, v50, vcc_lo
	s_delay_alu instid0(VALU_DEP_1) | instskip(NEXT) | instid1(VALU_DEP_1)
	v_dual_cndmask_b32 v48, v51, v48 :: v_dual_lshlrev_b32 v39, 20, v39
	v_lshl_add_u32 v48, v48, 23, 0x3b800000
	s_delay_alu instid0(VALU_DEP_1)
	v_or3_b32 v39, v38, v48, v39
.LBB6_3455:                             ;   in Loop: Header=BB6_3029 Depth=2
	s_or_b32 exec_lo, exec_lo, s28
	s_delay_alu instid0(VALU_DEP_1) | instskip(NEXT) | instid1(VALU_DEP_1)
	v_dual_max_f32 v38, v39, v39 :: v_dual_max_f32 v39, v49, v49
	v_min_f32_e32 v49, v39, v38
.LBB6_3456:                             ;   in Loop: Header=BB6_3029 Depth=2
	s_delay_alu instid0(VALU_DEP_1) | instskip(NEXT) | instid1(VALU_DEP_1)
	v_and_b32_e32 v38, 0x7f800000, v49
	v_cmp_ne_u32_e32 vcc_lo, 0x7f800000, v38
	v_mov_b32_e32 v38, 0x80
	s_and_saveexec_b32 s28, vcc_lo
	s_cbranch_execz .LBB6_3464
; %bb.3457:                             ;   in Loop: Header=BB6_3029 Depth=2
	v_mov_b32_e32 v38, 0
	s_mov_b32 s29, exec_lo
	v_cmpx_ne_u32_e32 0, v49
	s_cbranch_execz .LBB6_3463
; %bb.3458:                             ;   in Loop: Header=BB6_3029 Depth=2
	v_bfe_u32 v38, v49, 23, 8
	s_delay_alu instid0(VALU_DEP_1) | instskip(SKIP_1) | instid1(VALU_DEP_2)
	v_sub_nc_u32_e32 v48, 0x78, v38
	v_cmp_gt_u32_e32 vcc_lo, 0x79, v38
	v_dual_cndmask_b32 v48, 0, v48 :: v_dual_and_b32 v39, 0x7fffff, v49
	s_delay_alu instid0(VALU_DEP_1) | instskip(SKIP_2) | instid1(VALU_DEP_4)
	v_or_b32_e32 v50, 0x800000, v39
	v_cmp_eq_u32_e32 vcc_lo, 0, v38
	v_add_nc_u32_e32 v38, 0xffffff89, v38
	v_cndmask_b32_e64 v48, v48, 0x77, vcc_lo
	s_delay_alu instid0(VALU_DEP_4) | instskip(NEXT) | instid1(VALU_DEP_3)
	v_cndmask_b32_e32 v39, v50, v39, vcc_lo
	v_cndmask_b32_e64 v38, v38, 0xffffff8a, vcc_lo
	s_delay_alu instid0(VALU_DEP_3) | instskip(NEXT) | instid1(VALU_DEP_3)
	v_lshl_add_u32 v50, 0x100000, v48, -1
	v_lshrrev_b32_e32 v51, v48, v39
	v_lshlrev_b32_e64 v98, v48, 0x80000
	s_delay_alu instid0(VALU_DEP_4) | instskip(NEXT) | instid1(VALU_DEP_4)
	v_add_nc_u32_e32 v48, v48, v38
	v_and_b32_e32 v39, v50, v39
	s_delay_alu instid0(VALU_DEP_4) | instskip(NEXT) | instid1(VALU_DEP_2)
	v_bfe_u32 v97, v51, 20, 1
	v_cmp_eq_u32_e64 s12, v39, v98
	s_delay_alu instid0(VALU_DEP_2) | instskip(NEXT) | instid1(VALU_DEP_1)
	v_add_nc_u32_e32 v50, -1, v97
	v_cndmask_b32_e64 v39, 0, v50, s12
	v_lshrrev_b32_e32 v50, 23, v51
	s_mov_b32 s12, exec_lo
	s_delay_alu instid0(VALU_DEP_2) | instskip(NEXT) | instid1(VALU_DEP_2)
	v_add_nc_u32_e32 v39, v39, v51
	v_xor_b32_e32 v50, 1, v50
	s_delay_alu instid0(VALU_DEP_2) | instskip(NEXT) | instid1(VALU_DEP_1)
	v_and_b32_e32 v38, 0xfffff, v39
	v_add_nc_u32_e32 v39, v38, v51
                                        ; implicit-def: $vgpr38
	s_delay_alu instid0(VALU_DEP_3)
	v_cmpx_ne_u32_e64 v48, v50
	s_xor_b32 s12, exec_lo, s12
; %bb.3459:                             ;   in Loop: Header=BB6_3029 Depth=2
	s_delay_alu instid0(VALU_DEP_2) | instskip(SKIP_2) | instid1(VALU_DEP_2)
	v_cmp_lt_u32_e32 vcc_lo, 0xffffff, v39
	v_sub_nc_u32_e32 v38, v48, v50
	v_cndmask_b32_e64 v48, 0, 1, vcc_lo
	v_add_co_ci_u32_e32 v38, vcc_lo, 0, v38, vcc_lo
	s_delay_alu instid0(VALU_DEP_2)
	v_lshrrev_b32_e32 v39, v48, v39
; %bb.3460:                             ;   in Loop: Header=BB6_3029 Depth=2
	s_and_not1_saveexec_b32 s12, s12
; %bb.3461:                             ;   in Loop: Header=BB6_3029 Depth=2
	s_delay_alu instid0(VALU_DEP_1)
	v_bfe_u32 v38, v39, 23, 1
; %bb.3462:                             ;   in Loop: Header=BB6_3029 Depth=2
	s_or_b32 exec_lo, exec_lo, s12
	v_lshrrev_b32_e32 v39, 20, v39
	s_delay_alu instid0(VALU_DEP_2) | instskip(SKIP_2) | instid1(VALU_DEP_2)
	v_cmp_gt_i32_e32 vcc_lo, 16, v38
	v_min_i32_e32 v48, 15, v38
	v_lshrrev_b32_e32 v49, 24, v49
	v_dual_cndmask_b32 v39, 7, v39 :: v_dual_lshlrev_b32 v48, 3, v48
	s_delay_alu instid0(VALU_DEP_1) | instskip(SKIP_1) | instid1(VALU_DEP_3)
	v_or_b32_e32 v38, v38, v39
	v_and_b32_e32 v50, 7, v39
	v_and_b32_e32 v48, 0xf8, v48
	s_delay_alu instid0(VALU_DEP_3) | instskip(SKIP_1) | instid1(VALU_DEP_1)
	v_cmp_ne_u32_e32 vcc_lo, 0, v38
	v_and_b32_e32 v49, 0x80, v49
	v_or3_b32 v39, v48, v49, v50
	s_delay_alu instid0(VALU_DEP_1)
	v_cndmask_b32_e32 v38, 0, v39, vcc_lo
.LBB6_3463:                             ;   in Loop: Header=BB6_3029 Depth=2
	s_or_b32 exec_lo, exec_lo, s29
.LBB6_3464:                             ;   in Loop: Header=BB6_3029 Depth=2
	s_delay_alu instid0(SALU_CYCLE_1) | instskip(SKIP_3) | instid1(VALU_DEP_2)
	s_or_b32 exec_lo, exec_lo, s28
	v_lshrrev_b32_e32 v48, 24, v17
	v_lshrrev_b32_e32 v39, 24, v13
	s_and_b32 vcc_lo, exec_lo, s27
	v_cmp_lt_i16_e64 s12, 0x7f, v48
	s_cbranch_vccz .LBB6_3474
; %bb.3465:                             ;   in Loop: Header=BB6_3029 Depth=2
	s_mov_b32 s28, 0
                                        ; implicit-def: $sgpr29
	s_delay_alu instid0(VALU_DEP_1) | instskip(NEXT) | instid1(SALU_CYCLE_1)
	s_and_saveexec_b32 vcc_lo, s12
	s_xor_b32 s12, exec_lo, vcc_lo
	s_cbranch_execnz .LBB6_3731
; %bb.3466:                             ;   in Loop: Header=BB6_3029 Depth=2
	s_or_saveexec_b32 s12, s12
	v_mov_b32_e32 v49, s29
	s_xor_b32 exec_lo, exec_lo, s12
	s_cbranch_execnz .LBB6_3734
.LBB6_3467:                             ;   in Loop: Header=BB6_3029 Depth=2
	s_or_b32 exec_lo, exec_lo, s12
	s_and_saveexec_b32 s12, s28
	s_cbranch_execz .LBB6_3469
.LBB6_3468:                             ;   in Loop: Header=BB6_3029 Depth=2
	v_bfe_u32 v49, v17, 24, 3
	v_bfe_u32 v97, v17, 27, 4
	s_delay_alu instid0(VALU_DEP_2) | instskip(NEXT) | instid1(VALU_DEP_2)
	v_clz_i32_u32_e32 v50, v49
	v_cmp_eq_u32_e32 vcc_lo, 0, v97
	s_delay_alu instid0(VALU_DEP_2) | instskip(NEXT) | instid1(VALU_DEP_1)
	v_min_u32_e32 v50, 32, v50
	v_subrev_nc_u32_e32 v51, 28, v50
	v_sub_nc_u32_e32 v50, 29, v50
	s_delay_alu instid0(VALU_DEP_1) | instskip(NEXT) | instid1(VALU_DEP_1)
	v_dual_cndmask_b32 v50, v97, v50 :: v_dual_lshlrev_b32 v51, v51, v48
	v_and_b32_e32 v51, 7, v51
	s_delay_alu instid0(VALU_DEP_2) | instskip(NEXT) | instid1(VALU_DEP_2)
	v_lshl_add_u32 v50, v50, 23, 0x3b800000
	v_cndmask_b32_e32 v49, v49, v51, vcc_lo
	v_and_b32_e32 v51, 0x80000000, v17
	s_delay_alu instid0(VALU_DEP_2) | instskip(NEXT) | instid1(VALU_DEP_1)
	v_lshlrev_b32_e32 v49, 20, v49
	v_or3_b32 v49, v51, v50, v49
.LBB6_3469:                             ;   in Loop: Header=BB6_3029 Depth=2
	s_or_b32 exec_lo, exec_lo, s12
	s_mov_b32 s12, 0
	s_mov_b32 s29, exec_lo
                                        ; implicit-def: $sgpr28
	v_cmpx_lt_i16_e32 0x7f, v39
	s_xor_b32 s29, exec_lo, s29
	s_cbranch_execnz .LBB6_3735
; %bb.3470:                             ;   in Loop: Header=BB6_3029 Depth=2
	s_or_saveexec_b32 s29, s29
	v_mov_b32_e32 v50, s28
	s_xor_b32 exec_lo, exec_lo, s29
	s_cbranch_execnz .LBB6_3738
.LBB6_3471:                             ;   in Loop: Header=BB6_3029 Depth=2
	s_or_b32 exec_lo, exec_lo, s29
	s_and_saveexec_b32 s28, s12
	s_cbranch_execz .LBB6_3473
.LBB6_3472:                             ;   in Loop: Header=BB6_3029 Depth=2
	v_bfe_u32 v50, v13, 24, 3
	v_bfe_u32 v98, v13, 27, 4
	s_delay_alu instid0(VALU_DEP_2) | instskip(NEXT) | instid1(VALU_DEP_2)
	v_clz_i32_u32_e32 v51, v50
	v_cmp_eq_u32_e32 vcc_lo, 0, v98
	s_delay_alu instid0(VALU_DEP_2) | instskip(NEXT) | instid1(VALU_DEP_1)
	v_min_u32_e32 v51, 32, v51
	v_subrev_nc_u32_e32 v97, 28, v51
	v_sub_nc_u32_e32 v51, 29, v51
	s_delay_alu instid0(VALU_DEP_2) | instskip(NEXT) | instid1(VALU_DEP_1)
	v_lshlrev_b32_e32 v97, v97, v39
	v_and_b32_e32 v97, 7, v97
	s_delay_alu instid0(VALU_DEP_1) | instskip(NEXT) | instid1(VALU_DEP_4)
	v_cndmask_b32_e32 v50, v50, v97, vcc_lo
	v_cndmask_b32_e32 v51, v98, v51, vcc_lo
	v_and_b32_e32 v97, 0x80000000, v13
	s_delay_alu instid0(VALU_DEP_3) | instskip(NEXT) | instid1(VALU_DEP_3)
	v_lshlrev_b32_e32 v50, 20, v50
	v_lshl_add_u32 v51, v51, 23, 0x3b800000
	s_delay_alu instid0(VALU_DEP_1)
	v_or3_b32 v50, v97, v51, v50
.LBB6_3473:                             ;   in Loop: Header=BB6_3029 Depth=2
	s_or_b32 exec_lo, exec_lo, s28
	s_delay_alu instid0(VALU_DEP_1) | instskip(SKIP_1) | instid1(VALU_DEP_1)
	v_dual_max_f32 v50, v50, v50 :: v_dual_max_f32 v49, v49, v49
	s_mov_b32 s12, 0
	v_max_f32_e32 v49, v49, v50
	s_branch .LBB6_3475
.LBB6_3474:                             ;   in Loop: Header=BB6_3029 Depth=2
	s_mov_b32 s12, -1
                                        ; implicit-def: $vgpr49
.LBB6_3475:                             ;   in Loop: Header=BB6_3029 Depth=2
	s_delay_alu instid0(SALU_CYCLE_1)
	s_and_b32 vcc_lo, exec_lo, s12
	s_cbranch_vccz .LBB6_3485
; %bb.3476:                             ;   in Loop: Header=BB6_3029 Depth=2
	s_mov_b32 s12, 0
	s_mov_b32 s29, exec_lo
                                        ; implicit-def: $sgpr28
	v_cmpx_lt_i16_e32 0x7f, v48
	s_xor_b32 s29, exec_lo, s29
	s_cbranch_execnz .LBB6_3739
; %bb.3477:                             ;   in Loop: Header=BB6_3029 Depth=2
	s_or_saveexec_b32 s29, s29
	v_mov_b32_e32 v49, s28
	s_xor_b32 exec_lo, exec_lo, s29
	s_cbranch_execnz .LBB6_3742
.LBB6_3478:                             ;   in Loop: Header=BB6_3029 Depth=2
	s_or_b32 exec_lo, exec_lo, s29
	s_and_saveexec_b32 s28, s12
	s_cbranch_execz .LBB6_3480
.LBB6_3479:                             ;   in Loop: Header=BB6_3029 Depth=2
	v_bfe_u32 v49, v17, 24, 3
	s_delay_alu instid0(VALU_DEP_1) | instskip(NEXT) | instid1(VALU_DEP_1)
	v_clz_i32_u32_e32 v50, v49
	v_min_u32_e32 v50, 32, v50
	s_delay_alu instid0(VALU_DEP_1) | instskip(SKIP_1) | instid1(VALU_DEP_2)
	v_subrev_nc_u32_e32 v51, 28, v50
	v_sub_nc_u32_e32 v50, 29, v50
	v_lshlrev_b32_e32 v48, v51, v48
	v_bfe_u32 v51, v17, 27, 4
	v_and_b32_e32 v17, 0x80000000, v17
	s_delay_alu instid0(VALU_DEP_3) | instskip(NEXT) | instid1(VALU_DEP_3)
	v_and_b32_e32 v48, 7, v48
	v_cmp_eq_u32_e32 vcc_lo, 0, v51
	v_cndmask_b32_e32 v50, v51, v50, vcc_lo
	s_delay_alu instid0(VALU_DEP_3) | instskip(NEXT) | instid1(VALU_DEP_2)
	v_cndmask_b32_e32 v48, v49, v48, vcc_lo
	v_lshl_add_u32 v49, v50, 23, 0x3b800000
	s_delay_alu instid0(VALU_DEP_2) | instskip(NEXT) | instid1(VALU_DEP_1)
	v_lshlrev_b32_e32 v48, 20, v48
	v_or3_b32 v49, v17, v49, v48
.LBB6_3480:                             ;   in Loop: Header=BB6_3029 Depth=2
	s_or_b32 exec_lo, exec_lo, s28
	s_mov_b32 s12, 0
	s_mov_b32 s29, exec_lo
                                        ; implicit-def: $sgpr28
	v_cmpx_lt_i16_e32 0x7f, v39
	s_xor_b32 s29, exec_lo, s29
	s_cbranch_execnz .LBB6_3743
; %bb.3481:                             ;   in Loop: Header=BB6_3029 Depth=2
	s_or_saveexec_b32 s29, s29
	v_mov_b32_e32 v17, s28
	s_xor_b32 exec_lo, exec_lo, s29
	s_cbranch_execnz .LBB6_3746
.LBB6_3482:                             ;   in Loop: Header=BB6_3029 Depth=2
	s_or_b32 exec_lo, exec_lo, s29
	s_and_saveexec_b32 s28, s12
	s_cbranch_execz .LBB6_3484
.LBB6_3483:                             ;   in Loop: Header=BB6_3029 Depth=2
	v_bfe_u32 v17, v13, 24, 3
	s_delay_alu instid0(VALU_DEP_1) | instskip(NEXT) | instid1(VALU_DEP_1)
	v_clz_i32_u32_e32 v48, v17
	v_min_u32_e32 v48, 32, v48
	s_delay_alu instid0(VALU_DEP_1) | instskip(SKIP_1) | instid1(VALU_DEP_2)
	v_subrev_nc_u32_e32 v50, 28, v48
	v_sub_nc_u32_e32 v48, 29, v48
	v_lshlrev_b32_e32 v39, v50, v39
	v_bfe_u32 v50, v13, 27, 4
	v_and_b32_e32 v13, 0x80000000, v13
	s_delay_alu instid0(VALU_DEP_2) | instskip(NEXT) | instid1(VALU_DEP_4)
	v_cmp_eq_u32_e32 vcc_lo, 0, v50
	v_dual_cndmask_b32 v48, v50, v48 :: v_dual_and_b32 v39, 7, v39
	s_delay_alu instid0(VALU_DEP_1) | instskip(NEXT) | instid1(VALU_DEP_2)
	v_cndmask_b32_e32 v17, v17, v39, vcc_lo
	v_lshl_add_u32 v39, v48, 23, 0x3b800000
	s_delay_alu instid0(VALU_DEP_2) | instskip(NEXT) | instid1(VALU_DEP_1)
	v_lshlrev_b32_e32 v17, 20, v17
	v_or3_b32 v17, v13, v39, v17
.LBB6_3484:                             ;   in Loop: Header=BB6_3029 Depth=2
	s_or_b32 exec_lo, exec_lo, s28
	s_delay_alu instid0(VALU_DEP_1) | instskip(SKIP_1) | instid1(VALU_DEP_1)
	v_max_f32_e32 v13, v17, v17
	v_max_f32_e32 v17, v49, v49
	v_min_f32_e32 v49, v17, v13
.LBB6_3485:                             ;   in Loop: Header=BB6_3029 Depth=2
	s_delay_alu instid0(VALU_DEP_1) | instskip(NEXT) | instid1(VALU_DEP_1)
	v_and_b32_e32 v13, 0x7f800000, v49
	v_cmp_ne_u32_e32 vcc_lo, 0x7f800000, v13
	v_mov_b32_e32 v13, 0x8000
	s_and_saveexec_b32 s28, vcc_lo
	s_cbranch_execz .LBB6_3028
; %bb.3486:                             ;   in Loop: Header=BB6_3029 Depth=2
	v_mov_b32_e32 v13, 0
	s_mov_b32 s29, exec_lo
	v_cmpx_ne_u32_e32 0, v49
	s_cbranch_execz .LBB6_3027
; %bb.3487:                             ;   in Loop: Header=BB6_3029 Depth=2
	v_bfe_u32 v13, v49, 23, 8
	v_and_b32_e32 v17, 0x7fffff, v49
	s_delay_alu instid0(VALU_DEP_2) | instskip(SKIP_1) | instid1(VALU_DEP_3)
	v_sub_nc_u32_e32 v39, 0x78, v13
	v_cmp_gt_u32_e32 vcc_lo, 0x79, v13
	v_or_b32_e32 v48, 0x800000, v17
	s_delay_alu instid0(VALU_DEP_3) | instskip(SKIP_2) | instid1(VALU_DEP_3)
	v_cndmask_b32_e32 v39, 0, v39, vcc_lo
	v_cmp_eq_u32_e32 vcc_lo, 0, v13
	v_add_nc_u32_e32 v13, 0xffffff89, v13
	v_cndmask_b32_e64 v39, v39, 0x77, vcc_lo
	v_cndmask_b32_e32 v17, v48, v17, vcc_lo
	s_delay_alu instid0(VALU_DEP_3) | instskip(NEXT) | instid1(VALU_DEP_3)
	v_cndmask_b32_e64 v13, v13, 0xffffff8a, vcc_lo
	v_lshl_add_u32 v48, 0x100000, v39, -1
	s_delay_alu instid0(VALU_DEP_3) | instskip(SKIP_1) | instid1(VALU_DEP_4)
	v_lshrrev_b32_e32 v50, v39, v17
	v_lshlrev_b32_e64 v97, v39, 0x80000
	v_add_nc_u32_e32 v39, v39, v13
	s_delay_alu instid0(VALU_DEP_4) | instskip(NEXT) | instid1(VALU_DEP_4)
	v_and_b32_e32 v17, v48, v17
	v_bfe_u32 v51, v50, 20, 1
	s_delay_alu instid0(VALU_DEP_2) | instskip(NEXT) | instid1(VALU_DEP_2)
	v_cmp_eq_u32_e64 s12, v17, v97
	v_add_nc_u32_e32 v48, -1, v51
	s_delay_alu instid0(VALU_DEP_1) | instskip(SKIP_2) | instid1(VALU_DEP_2)
	v_cndmask_b32_e64 v17, 0, v48, s12
	v_lshrrev_b32_e32 v48, 23, v50
	s_mov_b32 s12, exec_lo
	v_add_nc_u32_e32 v17, v17, v50
	s_delay_alu instid0(VALU_DEP_2) | instskip(NEXT) | instid1(VALU_DEP_2)
	v_xor_b32_e32 v48, 1, v48
	v_and_b32_e32 v13, 0xfffff, v17
	s_delay_alu instid0(VALU_DEP_1) | instskip(NEXT) | instid1(VALU_DEP_3)
	v_add_nc_u32_e32 v17, v13, v50
                                        ; implicit-def: $vgpr13
	v_cmpx_ne_u32_e64 v39, v48
	s_xor_b32 s12, exec_lo, s12
; %bb.3488:                             ;   in Loop: Header=BB6_3029 Depth=2
	s_delay_alu instid0(VALU_DEP_2) | instskip(SKIP_2) | instid1(VALU_DEP_2)
	v_cmp_lt_u32_e32 vcc_lo, 0xffffff, v17
	v_sub_nc_u32_e32 v13, v39, v48
	v_cndmask_b32_e64 v39, 0, 1, vcc_lo
	v_add_co_ci_u32_e32 v13, vcc_lo, 0, v13, vcc_lo
	s_delay_alu instid0(VALU_DEP_2)
	v_lshrrev_b32_e32 v17, v39, v17
; %bb.3489:                             ;   in Loop: Header=BB6_3029 Depth=2
	s_and_not1_saveexec_b32 s12, s12
	s_cbranch_execz .LBB6_3026
; %bb.3490:                             ;   in Loop: Header=BB6_3029 Depth=2
	s_delay_alu instid0(VALU_DEP_1)
	v_bfe_u32 v13, v17, 23, 1
	s_branch .LBB6_3026
.LBB6_3491:                             ;   in Loop: Header=BB6_3029 Depth=2
	s_mov_b32 s28, -1
	s_mov_b32 vcc_hi, exec_lo
                                        ; implicit-def: $sgpr29
	v_cmpx_eq_u16_e32 0x80, v28
; %bb.3492:                             ;   in Loop: Header=BB6_3029 Depth=2
	s_mov_b32 s29, 0x7f800001
	s_xor_b32 s28, exec_lo, -1
; %bb.3493:                             ;   in Loop: Header=BB6_3029 Depth=2
	s_or_b32 exec_lo, exec_lo, vcc_hi
	s_delay_alu instid0(SALU_CYCLE_1)
	s_and_b32 s28, s28, exec_lo
	s_or_saveexec_b32 s12, s12
	v_mov_b32_e32 v29, s29
	s_xor_b32 exec_lo, exec_lo, s12
	s_cbranch_execz .LBB6_3032
.LBB6_3494:                             ;   in Loop: Header=BB6_3029 Depth=2
	v_cmp_ne_u16_e32 vcc_lo, 0, v28
	v_mov_b32_e32 v29, 0
	s_and_not1_b32 s28, s28, exec_lo
	s_and_b32 s29, vcc_lo, exec_lo
	s_delay_alu instid0(SALU_CYCLE_1)
	s_or_b32 s28, s28, s29
	s_or_b32 exec_lo, exec_lo, s12
	s_and_saveexec_b32 s12, s28
	s_cbranch_execnz .LBB6_3033
	s_branch .LBB6_3034
.LBB6_3495:                             ;   in Loop: Header=BB6_3029 Depth=2
	s_mov_b32 s12, -1
	s_mov_b32 vcc_hi, exec_lo
                                        ; implicit-def: $sgpr28
	v_cmpx_eq_u16_e32 0x80, v33
; %bb.3496:                             ;   in Loop: Header=BB6_3029 Depth=2
	s_mov_b32 s28, 0x7f800001
	s_xor_b32 s12, exec_lo, -1
; %bb.3497:                             ;   in Loop: Header=BB6_3029 Depth=2
	s_or_b32 exec_lo, exec_lo, vcc_hi
	s_delay_alu instid0(SALU_CYCLE_1)
	s_and_b32 s12, s12, exec_lo
                                        ; implicit-def: $vgpr33
	s_or_saveexec_b32 s29, s29
	v_mov_b32_e32 v32, s28
	s_xor_b32 exec_lo, exec_lo, s29
	s_cbranch_execz .LBB6_3036
.LBB6_3498:                             ;   in Loop: Header=BB6_3029 Depth=2
	v_cmp_ne_u16_e32 vcc_lo, 0, v33
	v_mov_b32_e32 v32, 0
	s_and_not1_b32 s12, s12, exec_lo
	s_and_b32 s28, vcc_lo, exec_lo
	s_delay_alu instid0(SALU_CYCLE_1)
	s_or_b32 s12, s12, s28
	s_or_b32 exec_lo, exec_lo, s29
	s_and_saveexec_b32 s28, s12
	s_cbranch_execnz .LBB6_3037
	s_branch .LBB6_3038
.LBB6_3499:                             ;   in Loop: Header=BB6_3029 Depth=2
	s_mov_b32 s12, -1
	s_mov_b32 vcc_hi, exec_lo
                                        ; implicit-def: $sgpr28
	v_cmpx_eq_u16_e32 0x80, v28
; %bb.3500:                             ;   in Loop: Header=BB6_3029 Depth=2
	s_mov_b32 s28, 0x7f800001
	s_xor_b32 s12, exec_lo, -1
; %bb.3501:                             ;   in Loop: Header=BB6_3029 Depth=2
	s_or_b32 exec_lo, exec_lo, vcc_hi
	s_delay_alu instid0(SALU_CYCLE_1)
	s_and_b32 s12, s12, exec_lo
                                        ; implicit-def: $vgpr28
	s_or_saveexec_b32 s29, s29
	v_mov_b32_e32 v29, s28
	s_xor_b32 exec_lo, exec_lo, s29
	s_cbranch_execz .LBB6_3043
.LBB6_3502:                             ;   in Loop: Header=BB6_3029 Depth=2
	v_cmp_ne_u16_e32 vcc_lo, 0, v28
	v_mov_b32_e32 v29, 0
	s_and_not1_b32 s12, s12, exec_lo
	s_and_b32 s28, vcc_lo, exec_lo
	s_delay_alu instid0(SALU_CYCLE_1)
	s_or_b32 s12, s12, s28
	s_or_b32 exec_lo, exec_lo, s29
	s_and_saveexec_b32 s28, s12
	s_cbranch_execnz .LBB6_3044
	s_branch .LBB6_3045
.LBB6_3503:                             ;   in Loop: Header=BB6_3029 Depth=2
	s_mov_b32 s12, -1
	s_mov_b32 vcc_hi, exec_lo
                                        ; implicit-def: $sgpr28
	v_cmpx_eq_u16_e32 0x80, v32
; %bb.3504:                             ;   in Loop: Header=BB6_3029 Depth=2
	s_mov_b32 s28, 0x7f800001
	s_xor_b32 s12, exec_lo, -1
; %bb.3505:                             ;   in Loop: Header=BB6_3029 Depth=2
	s_or_b32 exec_lo, exec_lo, vcc_hi
	s_delay_alu instid0(SALU_CYCLE_1)
	s_and_b32 s12, s12, exec_lo
                                        ; implicit-def: $vgpr32
	s_or_saveexec_b32 s29, s29
	v_mov_b32_e32 v28, s28
	s_xor_b32 exec_lo, exec_lo, s29
	s_cbranch_execz .LBB6_3047
.LBB6_3506:                             ;   in Loop: Header=BB6_3029 Depth=2
	v_cmp_ne_u16_e32 vcc_lo, 0, v32
	v_mov_b32_e32 v28, 0
	s_and_not1_b32 s12, s12, exec_lo
	s_and_b32 s28, vcc_lo, exec_lo
	s_delay_alu instid0(SALU_CYCLE_1)
	s_or_b32 s12, s12, s28
	s_or_b32 exec_lo, exec_lo, s29
	s_and_saveexec_b32 s28, s12
	s_cbranch_execnz .LBB6_3048
	s_branch .LBB6_3049
.LBB6_3507:                             ;   in Loop: Header=BB6_3029 Depth=2
	s_mov_b32 s28, -1
	s_mov_b32 vcc_hi, exec_lo
                                        ; implicit-def: $sgpr29
	v_cmpx_eq_u16_e32 0x80, v32
; %bb.3508:                             ;   in Loop: Header=BB6_3029 Depth=2
	s_mov_b32 s29, 0x7f800001
	s_xor_b32 s28, exec_lo, -1
; %bb.3509:                             ;   in Loop: Header=BB6_3029 Depth=2
	s_or_b32 exec_lo, exec_lo, vcc_hi
	s_delay_alu instid0(SALU_CYCLE_1)
	s_and_b32 s28, s28, exec_lo
	s_or_saveexec_b32 s12, s12
	v_mov_b32_e32 v33, s29
	s_xor_b32 exec_lo, exec_lo, s12
	s_cbranch_execz .LBB6_3061
.LBB6_3510:                             ;   in Loop: Header=BB6_3029 Depth=2
	v_cmp_ne_u16_e32 vcc_lo, 0, v32
	v_mov_b32_e32 v33, 0
	s_and_not1_b32 s28, s28, exec_lo
	s_and_b32 s29, vcc_lo, exec_lo
	s_delay_alu instid0(SALU_CYCLE_1)
	s_or_b32 s28, s28, s29
	s_or_b32 exec_lo, exec_lo, s12
	s_and_saveexec_b32 s12, s28
	s_cbranch_execnz .LBB6_3062
	s_branch .LBB6_3063
.LBB6_3511:                             ;   in Loop: Header=BB6_3029 Depth=2
	s_mov_b32 s12, -1
	s_mov_b32 vcc_hi, exec_lo
                                        ; implicit-def: $sgpr28
	v_cmpx_eq_u16_e32 0x80, v29
; %bb.3512:                             ;   in Loop: Header=BB6_3029 Depth=2
	s_mov_b32 s28, 0x7f800001
	s_xor_b32 s12, exec_lo, -1
; %bb.3513:                             ;   in Loop: Header=BB6_3029 Depth=2
	s_or_b32 exec_lo, exec_lo, vcc_hi
	s_delay_alu instid0(SALU_CYCLE_1)
	s_and_b32 s12, s12, exec_lo
	s_or_saveexec_b32 s29, s29
	v_mov_b32_e32 v34, s28
	s_xor_b32 exec_lo, exec_lo, s29
	s_cbranch_execz .LBB6_3065
.LBB6_3514:                             ;   in Loop: Header=BB6_3029 Depth=2
	v_cmp_ne_u16_e32 vcc_lo, 0, v29
	v_mov_b32_e32 v34, 0
	s_and_not1_b32 s12, s12, exec_lo
	s_and_b32 s28, vcc_lo, exec_lo
	s_delay_alu instid0(SALU_CYCLE_1)
	s_or_b32 s12, s12, s28
	s_or_b32 exec_lo, exec_lo, s29
	s_and_saveexec_b32 s28, s12
	s_cbranch_execnz .LBB6_3066
	s_branch .LBB6_3067
.LBB6_3515:                             ;   in Loop: Header=BB6_3029 Depth=2
	s_mov_b32 s12, -1
	s_mov_b32 vcc_hi, exec_lo
                                        ; implicit-def: $sgpr28
	v_cmpx_eq_u16_e32 0x80, v32
; %bb.3516:                             ;   in Loop: Header=BB6_3029 Depth=2
	s_mov_b32 s28, 0x7f800001
	s_xor_b32 s12, exec_lo, -1
; %bb.3517:                             ;   in Loop: Header=BB6_3029 Depth=2
	s_or_b32 exec_lo, exec_lo, vcc_hi
	s_delay_alu instid0(SALU_CYCLE_1)
	s_and_b32 s12, s12, exec_lo
	s_or_saveexec_b32 s29, s29
	v_mov_b32_e32 v33, s28
	s_xor_b32 exec_lo, exec_lo, s29
	s_cbranch_execz .LBB6_3072
.LBB6_3518:                             ;   in Loop: Header=BB6_3029 Depth=2
	v_cmp_ne_u16_e32 vcc_lo, 0, v32
	v_mov_b32_e32 v33, 0
	s_and_not1_b32 s12, s12, exec_lo
	s_and_b32 s28, vcc_lo, exec_lo
	s_delay_alu instid0(SALU_CYCLE_1)
	s_or_b32 s12, s12, s28
	s_or_b32 exec_lo, exec_lo, s29
	s_and_saveexec_b32 s28, s12
	s_cbranch_execnz .LBB6_3073
	s_branch .LBB6_3074
.LBB6_3519:                             ;   in Loop: Header=BB6_3029 Depth=2
	s_mov_b32 s12, -1
	s_mov_b32 vcc_hi, exec_lo
                                        ; implicit-def: $sgpr28
	v_cmpx_eq_u16_e32 0x80, v29
; %bb.3520:                             ;   in Loop: Header=BB6_3029 Depth=2
	s_mov_b32 s28, 0x7f800001
	s_xor_b32 s12, exec_lo, -1
; %bb.3521:                             ;   in Loop: Header=BB6_3029 Depth=2
	s_or_b32 exec_lo, exec_lo, vcc_hi
	s_delay_alu instid0(SALU_CYCLE_1)
	s_and_b32 s12, s12, exec_lo
	s_or_saveexec_b32 s29, s29
	v_mov_b32_e32 v32, s28
	s_xor_b32 exec_lo, exec_lo, s29
	s_cbranch_execz .LBB6_3076
.LBB6_3522:                             ;   in Loop: Header=BB6_3029 Depth=2
	v_cmp_ne_u16_e32 vcc_lo, 0, v29
	v_mov_b32_e32 v32, 0
	s_and_not1_b32 s12, s12, exec_lo
	s_and_b32 s28, vcc_lo, exec_lo
	s_delay_alu instid0(SALU_CYCLE_1)
	s_or_b32 s12, s12, s28
	s_or_b32 exec_lo, exec_lo, s29
	s_and_saveexec_b32 s28, s12
	s_cbranch_execnz .LBB6_3077
	s_branch .LBB6_3078
.LBB6_3523:                             ;   in Loop: Header=BB6_3029 Depth=2
	s_mov_b32 s28, -1
	s_mov_b32 vcc_hi, exec_lo
                                        ; implicit-def: $sgpr29
	v_cmpx_eq_u16_e32 0x80, v34
; %bb.3524:                             ;   in Loop: Header=BB6_3029 Depth=2
	s_mov_b32 s29, 0x7f800001
	s_xor_b32 s28, exec_lo, -1
; %bb.3525:                             ;   in Loop: Header=BB6_3029 Depth=2
	s_or_b32 exec_lo, exec_lo, vcc_hi
	s_delay_alu instid0(SALU_CYCLE_1)
	s_and_b32 s28, s28, exec_lo
	s_or_saveexec_b32 s12, s12
	v_mov_b32_e32 v35, s29
	s_xor_b32 exec_lo, exec_lo, s12
	s_cbranch_execz .LBB6_3090
.LBB6_3526:                             ;   in Loop: Header=BB6_3029 Depth=2
	v_cmp_ne_u16_e32 vcc_lo, 0, v34
	v_mov_b32_e32 v35, 0
	s_and_not1_b32 s28, s28, exec_lo
	s_and_b32 s29, vcc_lo, exec_lo
	s_delay_alu instid0(SALU_CYCLE_1)
	s_or_b32 s28, s28, s29
	s_or_b32 exec_lo, exec_lo, s12
	s_and_saveexec_b32 s12, s28
	s_cbranch_execnz .LBB6_3091
	s_branch .LBB6_3092
.LBB6_3527:                             ;   in Loop: Header=BB6_3029 Depth=2
	s_mov_b32 s12, -1
	s_mov_b32 vcc_hi, exec_lo
                                        ; implicit-def: $sgpr28
	v_cmpx_eq_u16_e32 0x80, v37
; %bb.3528:                             ;   in Loop: Header=BB6_3029 Depth=2
	s_mov_b32 s28, 0x7f800001
	s_xor_b32 s12, exec_lo, -1
; %bb.3529:                             ;   in Loop: Header=BB6_3029 Depth=2
	s_or_b32 exec_lo, exec_lo, vcc_hi
	s_delay_alu instid0(SALU_CYCLE_1)
	s_and_b32 s12, s12, exec_lo
                                        ; implicit-def: $vgpr37
	s_or_saveexec_b32 s29, s29
	v_mov_b32_e32 v36, s28
	s_xor_b32 exec_lo, exec_lo, s29
	s_cbranch_execz .LBB6_3094
.LBB6_3530:                             ;   in Loop: Header=BB6_3029 Depth=2
	v_cmp_ne_u16_e32 vcc_lo, 0, v37
	v_mov_b32_e32 v36, 0
	s_and_not1_b32 s12, s12, exec_lo
	s_and_b32 s28, vcc_lo, exec_lo
	s_delay_alu instid0(SALU_CYCLE_1)
	s_or_b32 s12, s12, s28
	s_or_b32 exec_lo, exec_lo, s29
	s_and_saveexec_b32 s28, s12
	s_cbranch_execnz .LBB6_3095
	s_branch .LBB6_3096
.LBB6_3531:                             ;   in Loop: Header=BB6_3029 Depth=2
	s_mov_b32 s12, -1
	s_mov_b32 vcc_hi, exec_lo
                                        ; implicit-def: $sgpr28
	v_cmpx_eq_u16_e32 0x80, v34
; %bb.3532:                             ;   in Loop: Header=BB6_3029 Depth=2
	s_mov_b32 s28, 0x7f800001
	s_xor_b32 s12, exec_lo, -1
; %bb.3533:                             ;   in Loop: Header=BB6_3029 Depth=2
	s_or_b32 exec_lo, exec_lo, vcc_hi
	s_delay_alu instid0(SALU_CYCLE_1)
	s_and_b32 s12, s12, exec_lo
                                        ; implicit-def: $vgpr34
	s_or_saveexec_b32 s29, s29
	v_mov_b32_e32 v35, s28
	s_xor_b32 exec_lo, exec_lo, s29
	s_cbranch_execz .LBB6_3101
.LBB6_3534:                             ;   in Loop: Header=BB6_3029 Depth=2
	v_cmp_ne_u16_e32 vcc_lo, 0, v34
	v_mov_b32_e32 v35, 0
	s_and_not1_b32 s12, s12, exec_lo
	s_and_b32 s28, vcc_lo, exec_lo
	s_delay_alu instid0(SALU_CYCLE_1)
	s_or_b32 s12, s12, s28
	s_or_b32 exec_lo, exec_lo, s29
	s_and_saveexec_b32 s28, s12
	s_cbranch_execnz .LBB6_3102
	s_branch .LBB6_3103
.LBB6_3535:                             ;   in Loop: Header=BB6_3029 Depth=2
	s_mov_b32 s12, -1
	s_mov_b32 vcc_hi, exec_lo
                                        ; implicit-def: $sgpr28
	v_cmpx_eq_u16_e32 0x80, v34
; %bb.3536:                             ;   in Loop: Header=BB6_3029 Depth=2
	s_mov_b32 s28, 0x7f800001
	s_xor_b32 s12, exec_lo, -1
; %bb.3537:                             ;   in Loop: Header=BB6_3029 Depth=2
	s_or_b32 exec_lo, exec_lo, vcc_hi
	s_delay_alu instid0(SALU_CYCLE_1)
	s_and_b32 s12, s12, exec_lo
                                        ; implicit-def: $vgpr34
	s_or_saveexec_b32 s29, s29
	v_mov_b32_e32 v33, s28
	s_xor_b32 exec_lo, exec_lo, s29
	s_cbranch_execz .LBB6_3105
.LBB6_3538:                             ;   in Loop: Header=BB6_3029 Depth=2
	v_cmp_ne_u16_e32 vcc_lo, 0, v34
	v_mov_b32_e32 v33, 0
	s_and_not1_b32 s12, s12, exec_lo
	s_and_b32 s28, vcc_lo, exec_lo
	s_delay_alu instid0(SALU_CYCLE_1)
	s_or_b32 s12, s12, s28
	s_or_b32 exec_lo, exec_lo, s29
	s_and_saveexec_b32 s28, s12
	s_cbranch_execnz .LBB6_3106
	s_branch .LBB6_3107
.LBB6_3539:                             ;   in Loop: Header=BB6_3029 Depth=2
	s_mov_b32 s28, -1
	s_mov_b32 vcc_hi, exec_lo
                                        ; implicit-def: $sgpr29
	v_cmpx_eq_u16_e32 0x80, v34
; %bb.3540:                             ;   in Loop: Header=BB6_3029 Depth=2
	s_mov_b32 s29, 0x7f800001
	s_xor_b32 s28, exec_lo, -1
; %bb.3541:                             ;   in Loop: Header=BB6_3029 Depth=2
	s_or_b32 exec_lo, exec_lo, vcc_hi
	s_delay_alu instid0(SALU_CYCLE_1)
	s_and_b32 s28, s28, exec_lo
	s_or_saveexec_b32 s12, s12
	v_mov_b32_e32 v35, s29
	s_xor_b32 exec_lo, exec_lo, s12
	s_cbranch_execz .LBB6_3119
.LBB6_3542:                             ;   in Loop: Header=BB6_3029 Depth=2
	v_cmp_ne_u16_e32 vcc_lo, 0, v34
	v_mov_b32_e32 v35, 0
	s_and_not1_b32 s28, s28, exec_lo
	s_and_b32 s29, vcc_lo, exec_lo
	s_delay_alu instid0(SALU_CYCLE_1)
	s_or_b32 s28, s28, s29
	s_or_b32 exec_lo, exec_lo, s12
	s_and_saveexec_b32 s12, s28
	s_cbranch_execnz .LBB6_3120
	s_branch .LBB6_3121
.LBB6_3543:                             ;   in Loop: Header=BB6_3029 Depth=2
	s_mov_b32 s12, -1
	s_mov_b32 vcc_hi, exec_lo
                                        ; implicit-def: $sgpr28
	v_cmpx_eq_u16_e32 0x80, v33
; %bb.3544:                             ;   in Loop: Header=BB6_3029 Depth=2
	s_mov_b32 s28, 0x7f800001
	s_xor_b32 s12, exec_lo, -1
; %bb.3545:                             ;   in Loop: Header=BB6_3029 Depth=2
	s_or_b32 exec_lo, exec_lo, vcc_hi
	s_delay_alu instid0(SALU_CYCLE_1)
	s_and_b32 s12, s12, exec_lo
	s_or_saveexec_b32 s29, s29
	v_mov_b32_e32 v36, s28
	s_xor_b32 exec_lo, exec_lo, s29
	s_cbranch_execz .LBB6_3123
.LBB6_3546:                             ;   in Loop: Header=BB6_3029 Depth=2
	v_cmp_ne_u16_e32 vcc_lo, 0, v33
	v_mov_b32_e32 v36, 0
	s_and_not1_b32 s12, s12, exec_lo
	s_and_b32 s28, vcc_lo, exec_lo
	s_delay_alu instid0(SALU_CYCLE_1)
	s_or_b32 s12, s12, s28
	s_or_b32 exec_lo, exec_lo, s29
	s_and_saveexec_b32 s28, s12
	s_cbranch_execnz .LBB6_3124
	s_branch .LBB6_3125
.LBB6_3547:                             ;   in Loop: Header=BB6_3029 Depth=2
	s_mov_b32 s12, -1
	s_mov_b32 vcc_hi, exec_lo
                                        ; implicit-def: $sgpr28
	v_cmpx_eq_u16_e32 0x80, v34
; %bb.3548:                             ;   in Loop: Header=BB6_3029 Depth=2
	s_mov_b32 s28, 0x7f800001
	s_xor_b32 s12, exec_lo, -1
; %bb.3549:                             ;   in Loop: Header=BB6_3029 Depth=2
	s_or_b32 exec_lo, exec_lo, vcc_hi
	s_delay_alu instid0(SALU_CYCLE_1)
	s_and_b32 s12, s12, exec_lo
	s_or_saveexec_b32 s29, s29
	v_mov_b32_e32 v35, s28
	s_xor_b32 exec_lo, exec_lo, s29
	s_cbranch_execz .LBB6_3130
.LBB6_3550:                             ;   in Loop: Header=BB6_3029 Depth=2
	v_cmp_ne_u16_e32 vcc_lo, 0, v34
	v_mov_b32_e32 v35, 0
	s_and_not1_b32 s12, s12, exec_lo
	s_and_b32 s28, vcc_lo, exec_lo
	s_delay_alu instid0(SALU_CYCLE_1)
	s_or_b32 s12, s12, s28
	s_or_b32 exec_lo, exec_lo, s29
	s_and_saveexec_b32 s28, s12
	s_cbranch_execnz .LBB6_3131
	s_branch .LBB6_3132
.LBB6_3551:                             ;   in Loop: Header=BB6_3029 Depth=2
	s_mov_b32 s12, -1
	s_mov_b32 vcc_hi, exec_lo
                                        ; implicit-def: $sgpr28
	v_cmpx_eq_u16_e32 0x80, v33
; %bb.3552:                             ;   in Loop: Header=BB6_3029 Depth=2
	s_mov_b32 s28, 0x7f800001
	s_xor_b32 s12, exec_lo, -1
; %bb.3553:                             ;   in Loop: Header=BB6_3029 Depth=2
	s_or_b32 exec_lo, exec_lo, vcc_hi
	s_delay_alu instid0(SALU_CYCLE_1)
	s_and_b32 s12, s12, exec_lo
	s_or_saveexec_b32 s29, s29
	v_mov_b32_e32 v14, s28
	s_xor_b32 exec_lo, exec_lo, s29
	s_cbranch_execz .LBB6_3134
.LBB6_3554:                             ;   in Loop: Header=BB6_3029 Depth=2
	v_cmp_ne_u16_e32 vcc_lo, 0, v33
	v_mov_b32_e32 v14, 0
	s_and_not1_b32 s12, s12, exec_lo
	s_and_b32 s28, vcc_lo, exec_lo
	s_delay_alu instid0(SALU_CYCLE_1)
	s_or_b32 s12, s12, s28
	s_or_b32 exec_lo, exec_lo, s29
	s_and_saveexec_b32 s28, s12
	s_cbranch_execnz .LBB6_3135
	s_branch .LBB6_3136
.LBB6_3555:                             ;   in Loop: Header=BB6_3029 Depth=2
	s_mov_b32 s28, -1
	s_mov_b32 vcc_hi, exec_lo
                                        ; implicit-def: $sgpr29
	v_cmpx_eq_u16_e32 0x80, v14
; %bb.3556:                             ;   in Loop: Header=BB6_3029 Depth=2
	s_mov_b32 s29, 0x7f800001
	s_xor_b32 s28, exec_lo, -1
; %bb.3557:                             ;   in Loop: Header=BB6_3029 Depth=2
	s_or_b32 exec_lo, exec_lo, vcc_hi
	s_delay_alu instid0(SALU_CYCLE_1)
	s_and_b32 s28, s28, exec_lo
	s_or_saveexec_b32 s12, s12
	v_mov_b32_e32 v33, s29
	s_xor_b32 exec_lo, exec_lo, s12
	s_cbranch_execz .LBB6_3148
.LBB6_3558:                             ;   in Loop: Header=BB6_3029 Depth=2
	v_cmp_ne_u16_e32 vcc_lo, 0, v14
	v_mov_b32_e32 v33, 0
	s_and_not1_b32 s28, s28, exec_lo
	s_and_b32 s29, vcc_lo, exec_lo
	s_delay_alu instid0(SALU_CYCLE_1)
	s_or_b32 s28, s28, s29
	s_or_b32 exec_lo, exec_lo, s12
	s_and_saveexec_b32 s12, s28
	s_cbranch_execnz .LBB6_3149
	s_branch .LBB6_3150
.LBB6_3559:                             ;   in Loop: Header=BB6_3029 Depth=2
	s_mov_b32 s12, -1
	s_mov_b32 vcc_hi, exec_lo
                                        ; implicit-def: $sgpr28
	v_cmpx_eq_u16_e32 0x80, v35
; %bb.3560:                             ;   in Loop: Header=BB6_3029 Depth=2
	s_mov_b32 s28, 0x7f800001
	s_xor_b32 s12, exec_lo, -1
; %bb.3561:                             ;   in Loop: Header=BB6_3029 Depth=2
	s_or_b32 exec_lo, exec_lo, vcc_hi
	s_delay_alu instid0(SALU_CYCLE_1)
	s_and_b32 s12, s12, exec_lo
                                        ; implicit-def: $vgpr35
	s_or_saveexec_b32 s29, s29
	v_mov_b32_e32 v34, s28
	s_xor_b32 exec_lo, exec_lo, s29
	s_cbranch_execz .LBB6_3152
.LBB6_3562:                             ;   in Loop: Header=BB6_3029 Depth=2
	v_cmp_ne_u16_e32 vcc_lo, 0, v35
	v_mov_b32_e32 v34, 0
	s_and_not1_b32 s12, s12, exec_lo
	s_and_b32 s28, vcc_lo, exec_lo
	s_delay_alu instid0(SALU_CYCLE_1)
	s_or_b32 s12, s12, s28
	s_or_b32 exec_lo, exec_lo, s29
	s_and_saveexec_b32 s28, s12
	s_cbranch_execnz .LBB6_3153
	s_branch .LBB6_3154
.LBB6_3563:                             ;   in Loop: Header=BB6_3029 Depth=2
	s_mov_b32 s12, -1
	s_mov_b32 vcc_hi, exec_lo
                                        ; implicit-def: $sgpr28
	v_cmpx_eq_u16_e32 0x80, v14
; %bb.3564:                             ;   in Loop: Header=BB6_3029 Depth=2
	s_mov_b32 s28, 0x7f800001
	s_xor_b32 s12, exec_lo, -1
; %bb.3565:                             ;   in Loop: Header=BB6_3029 Depth=2
	s_or_b32 exec_lo, exec_lo, vcc_hi
	s_delay_alu instid0(SALU_CYCLE_1)
	s_and_b32 s12, s12, exec_lo
                                        ; implicit-def: $vgpr14
	s_or_saveexec_b32 s29, s29
	v_mov_b32_e32 v33, s28
	s_xor_b32 exec_lo, exec_lo, s29
	s_cbranch_execz .LBB6_3159
.LBB6_3566:                             ;   in Loop: Header=BB6_3029 Depth=2
	v_cmp_ne_u16_e32 vcc_lo, 0, v14
	v_mov_b32_e32 v33, 0
	s_and_not1_b32 s12, s12, exec_lo
	s_and_b32 s28, vcc_lo, exec_lo
	s_delay_alu instid0(SALU_CYCLE_1)
	s_or_b32 s12, s12, s28
	s_or_b32 exec_lo, exec_lo, s29
	s_and_saveexec_b32 s28, s12
	s_cbranch_execnz .LBB6_3160
	s_branch .LBB6_3161
.LBB6_3567:                             ;   in Loop: Header=BB6_3029 Depth=2
	s_mov_b32 s12, -1
	s_mov_b32 vcc_hi, exec_lo
                                        ; implicit-def: $sgpr28
	v_cmpx_eq_u16_e32 0x80, v34
; %bb.3568:                             ;   in Loop: Header=BB6_3029 Depth=2
	s_mov_b32 s28, 0x7f800001
	s_xor_b32 s12, exec_lo, -1
; %bb.3569:                             ;   in Loop: Header=BB6_3029 Depth=2
	s_or_b32 exec_lo, exec_lo, vcc_hi
	s_delay_alu instid0(SALU_CYCLE_1)
	s_and_b32 s12, s12, exec_lo
                                        ; implicit-def: $vgpr34
	s_or_saveexec_b32 s29, s29
	v_mov_b32_e32 v14, s28
	s_xor_b32 exec_lo, exec_lo, s29
	s_cbranch_execz .LBB6_3163
.LBB6_3570:                             ;   in Loop: Header=BB6_3029 Depth=2
	v_cmp_ne_u16_e32 vcc_lo, 0, v34
	v_mov_b32_e32 v14, 0
	s_and_not1_b32 s12, s12, exec_lo
	s_and_b32 s28, vcc_lo, exec_lo
	s_delay_alu instid0(SALU_CYCLE_1)
	s_or_b32 s12, s12, s28
	s_or_b32 exec_lo, exec_lo, s29
	s_and_saveexec_b32 s28, s12
	s_cbranch_execnz .LBB6_3164
	s_branch .LBB6_3165
.LBB6_3571:                             ;   in Loop: Header=BB6_3029 Depth=2
	s_mov_b32 s28, -1
	s_mov_b32 vcc_hi, exec_lo
                                        ; implicit-def: $sgpr29
	v_cmpx_eq_u16_e32 0x80, v34
; %bb.3572:                             ;   in Loop: Header=BB6_3029 Depth=2
	s_mov_b32 s29, 0x7f800001
	s_xor_b32 s28, exec_lo, -1
; %bb.3573:                             ;   in Loop: Header=BB6_3029 Depth=2
	s_or_b32 exec_lo, exec_lo, vcc_hi
	s_delay_alu instid0(SALU_CYCLE_1)
	s_and_b32 s28, s28, exec_lo
	s_or_saveexec_b32 s12, s12
	v_mov_b32_e32 v35, s29
	s_xor_b32 exec_lo, exec_lo, s12
	s_cbranch_execz .LBB6_3177
.LBB6_3574:                             ;   in Loop: Header=BB6_3029 Depth=2
	v_cmp_ne_u16_e32 vcc_lo, 0, v34
	v_mov_b32_e32 v35, 0
	s_and_not1_b32 s28, s28, exec_lo
	s_and_b32 s29, vcc_lo, exec_lo
	s_delay_alu instid0(SALU_CYCLE_1)
	s_or_b32 s28, s28, s29
	s_or_b32 exec_lo, exec_lo, s12
	s_and_saveexec_b32 s12, s28
	s_cbranch_execnz .LBB6_3178
	s_branch .LBB6_3179
.LBB6_3575:                             ;   in Loop: Header=BB6_3029 Depth=2
	s_mov_b32 s12, -1
	s_mov_b32 vcc_hi, exec_lo
                                        ; implicit-def: $sgpr28
	v_cmpx_eq_u16_e32 0x80, v33
; %bb.3576:                             ;   in Loop: Header=BB6_3029 Depth=2
	s_mov_b32 s28, 0x7f800001
	s_xor_b32 s12, exec_lo, -1
; %bb.3577:                             ;   in Loop: Header=BB6_3029 Depth=2
	s_or_b32 exec_lo, exec_lo, vcc_hi
	s_delay_alu instid0(SALU_CYCLE_1)
	s_and_b32 s12, s12, exec_lo
	s_or_saveexec_b32 s29, s29
	v_mov_b32_e32 v36, s28
	s_xor_b32 exec_lo, exec_lo, s29
	s_cbranch_execz .LBB6_3181
.LBB6_3578:                             ;   in Loop: Header=BB6_3029 Depth=2
	v_cmp_ne_u16_e32 vcc_lo, 0, v33
	v_mov_b32_e32 v36, 0
	s_and_not1_b32 s12, s12, exec_lo
	s_and_b32 s28, vcc_lo, exec_lo
	s_delay_alu instid0(SALU_CYCLE_1)
	s_or_b32 s12, s12, s28
	s_or_b32 exec_lo, exec_lo, s29
	s_and_saveexec_b32 s28, s12
	s_cbranch_execnz .LBB6_3182
	s_branch .LBB6_3183
.LBB6_3579:                             ;   in Loop: Header=BB6_3029 Depth=2
	s_mov_b32 s12, -1
	s_mov_b32 vcc_hi, exec_lo
                                        ; implicit-def: $sgpr28
	v_cmpx_eq_u16_e32 0x80, v34
; %bb.3580:                             ;   in Loop: Header=BB6_3029 Depth=2
	s_mov_b32 s28, 0x7f800001
	s_xor_b32 s12, exec_lo, -1
; %bb.3581:                             ;   in Loop: Header=BB6_3029 Depth=2
	s_or_b32 exec_lo, exec_lo, vcc_hi
	s_delay_alu instid0(SALU_CYCLE_1)
	s_and_b32 s12, s12, exec_lo
	s_or_saveexec_b32 s29, s29
	v_mov_b32_e32 v35, s28
	s_xor_b32 exec_lo, exec_lo, s29
	s_cbranch_execz .LBB6_3188
.LBB6_3582:                             ;   in Loop: Header=BB6_3029 Depth=2
	v_cmp_ne_u16_e32 vcc_lo, 0, v34
	v_mov_b32_e32 v35, 0
	s_and_not1_b32 s12, s12, exec_lo
	s_and_b32 s28, vcc_lo, exec_lo
	s_delay_alu instid0(SALU_CYCLE_1)
	s_or_b32 s12, s12, s28
	s_or_b32 exec_lo, exec_lo, s29
	s_and_saveexec_b32 s28, s12
	s_cbranch_execnz .LBB6_3189
	s_branch .LBB6_3190
.LBB6_3583:                             ;   in Loop: Header=BB6_3029 Depth=2
	s_mov_b32 s12, -1
	s_mov_b32 vcc_hi, exec_lo
                                        ; implicit-def: $sgpr28
	v_cmpx_eq_u16_e32 0x80, v33
; %bb.3584:                             ;   in Loop: Header=BB6_3029 Depth=2
	s_mov_b32 s28, 0x7f800001
	s_xor_b32 s12, exec_lo, -1
; %bb.3585:                             ;   in Loop: Header=BB6_3029 Depth=2
	s_or_b32 exec_lo, exec_lo, vcc_hi
	s_delay_alu instid0(SALU_CYCLE_1)
	s_and_b32 s12, s12, exec_lo
	s_or_saveexec_b32 s29, s29
	v_mov_b32_e32 v34, s28
	s_xor_b32 exec_lo, exec_lo, s29
	s_cbranch_execz .LBB6_3192
.LBB6_3586:                             ;   in Loop: Header=BB6_3029 Depth=2
	v_cmp_ne_u16_e32 vcc_lo, 0, v33
	v_mov_b32_e32 v34, 0
	s_and_not1_b32 s12, s12, exec_lo
	s_and_b32 s28, vcc_lo, exec_lo
	s_delay_alu instid0(SALU_CYCLE_1)
	s_or_b32 s12, s12, s28
	s_or_b32 exec_lo, exec_lo, s29
	s_and_saveexec_b32 s28, s12
	s_cbranch_execnz .LBB6_3193
	s_branch .LBB6_3194
.LBB6_3587:                             ;   in Loop: Header=BB6_3029 Depth=2
	s_mov_b32 s28, -1
	s_mov_b32 vcc_hi, exec_lo
                                        ; implicit-def: $sgpr29
	v_cmpx_eq_u16_e32 0x80, v36
; %bb.3588:                             ;   in Loop: Header=BB6_3029 Depth=2
	s_mov_b32 s29, 0x7f800001
	s_xor_b32 s28, exec_lo, -1
; %bb.3589:                             ;   in Loop: Header=BB6_3029 Depth=2
	s_or_b32 exec_lo, exec_lo, vcc_hi
	s_delay_alu instid0(SALU_CYCLE_1)
	s_and_b32 s28, s28, exec_lo
	s_or_saveexec_b32 s12, s12
	v_mov_b32_e32 v37, s29
	s_xor_b32 exec_lo, exec_lo, s12
	s_cbranch_execz .LBB6_3206
.LBB6_3590:                             ;   in Loop: Header=BB6_3029 Depth=2
	v_cmp_ne_u16_e32 vcc_lo, 0, v36
	v_mov_b32_e32 v37, 0
	s_and_not1_b32 s28, s28, exec_lo
	s_and_b32 s29, vcc_lo, exec_lo
	s_delay_alu instid0(SALU_CYCLE_1)
	s_or_b32 s28, s28, s29
	s_or_b32 exec_lo, exec_lo, s12
	s_and_saveexec_b32 s12, s28
	s_cbranch_execnz .LBB6_3207
	s_branch .LBB6_3208
.LBB6_3591:                             ;   in Loop: Header=BB6_3029 Depth=2
	s_mov_b32 s12, -1
	s_mov_b32 vcc_hi, exec_lo
                                        ; implicit-def: $sgpr28
	v_cmpx_eq_u16_e32 0x80, v39
; %bb.3592:                             ;   in Loop: Header=BB6_3029 Depth=2
	s_mov_b32 s28, 0x7f800001
	s_xor_b32 s12, exec_lo, -1
; %bb.3593:                             ;   in Loop: Header=BB6_3029 Depth=2
	s_or_b32 exec_lo, exec_lo, vcc_hi
	s_delay_alu instid0(SALU_CYCLE_1)
	s_and_b32 s12, s12, exec_lo
                                        ; implicit-def: $vgpr39
	s_or_saveexec_b32 s29, s29
	v_mov_b32_e32 v38, s28
	s_xor_b32 exec_lo, exec_lo, s29
	s_cbranch_execz .LBB6_3210
.LBB6_3594:                             ;   in Loop: Header=BB6_3029 Depth=2
	v_cmp_ne_u16_e32 vcc_lo, 0, v39
	v_mov_b32_e32 v38, 0
	s_and_not1_b32 s12, s12, exec_lo
	s_and_b32 s28, vcc_lo, exec_lo
	s_delay_alu instid0(SALU_CYCLE_1)
	s_or_b32 s12, s12, s28
	s_or_b32 exec_lo, exec_lo, s29
	s_and_saveexec_b32 s28, s12
	s_cbranch_execnz .LBB6_3211
	s_branch .LBB6_3212
.LBB6_3595:                             ;   in Loop: Header=BB6_3029 Depth=2
	s_mov_b32 s12, -1
	s_mov_b32 vcc_hi, exec_lo
                                        ; implicit-def: $sgpr28
	v_cmpx_eq_u16_e32 0x80, v36
; %bb.3596:                             ;   in Loop: Header=BB6_3029 Depth=2
	s_mov_b32 s28, 0x7f800001
	s_xor_b32 s12, exec_lo, -1
; %bb.3597:                             ;   in Loop: Header=BB6_3029 Depth=2
	s_or_b32 exec_lo, exec_lo, vcc_hi
	s_delay_alu instid0(SALU_CYCLE_1)
	s_and_b32 s12, s12, exec_lo
                                        ; implicit-def: $vgpr36
	s_or_saveexec_b32 s29, s29
	v_mov_b32_e32 v37, s28
	s_xor_b32 exec_lo, exec_lo, s29
	s_cbranch_execz .LBB6_3217
.LBB6_3598:                             ;   in Loop: Header=BB6_3029 Depth=2
	v_cmp_ne_u16_e32 vcc_lo, 0, v36
	v_mov_b32_e32 v37, 0
	s_and_not1_b32 s12, s12, exec_lo
	s_and_b32 s28, vcc_lo, exec_lo
	s_delay_alu instid0(SALU_CYCLE_1)
	s_or_b32 s12, s12, s28
	s_or_b32 exec_lo, exec_lo, s29
	s_and_saveexec_b32 s28, s12
	s_cbranch_execnz .LBB6_3218
	s_branch .LBB6_3219
.LBB6_3599:                             ;   in Loop: Header=BB6_3029 Depth=2
	s_mov_b32 s12, -1
	s_mov_b32 vcc_hi, exec_lo
                                        ; implicit-def: $sgpr28
	v_cmpx_eq_u16_e32 0x80, v36
; %bb.3600:                             ;   in Loop: Header=BB6_3029 Depth=2
	s_mov_b32 s28, 0x7f800001
	s_xor_b32 s12, exec_lo, -1
; %bb.3601:                             ;   in Loop: Header=BB6_3029 Depth=2
	s_or_b32 exec_lo, exec_lo, vcc_hi
	s_delay_alu instid0(SALU_CYCLE_1)
	s_and_b32 s12, s12, exec_lo
                                        ; implicit-def: $vgpr36
	s_or_saveexec_b32 s29, s29
	v_mov_b32_e32 v35, s28
	s_xor_b32 exec_lo, exec_lo, s29
	s_cbranch_execz .LBB6_3221
.LBB6_3602:                             ;   in Loop: Header=BB6_3029 Depth=2
	v_cmp_ne_u16_e32 vcc_lo, 0, v36
	v_mov_b32_e32 v35, 0
	s_and_not1_b32 s12, s12, exec_lo
	s_and_b32 s28, vcc_lo, exec_lo
	s_delay_alu instid0(SALU_CYCLE_1)
	s_or_b32 s12, s12, s28
	s_or_b32 exec_lo, exec_lo, s29
	s_and_saveexec_b32 s28, s12
	s_cbranch_execnz .LBB6_3222
	s_branch .LBB6_3223
.LBB6_3603:                             ;   in Loop: Header=BB6_3029 Depth=2
	s_mov_b32 s28, -1
	s_mov_b32 vcc_hi, exec_lo
                                        ; implicit-def: $sgpr29
	v_cmpx_eq_u16_e32 0x80, v36
; %bb.3604:                             ;   in Loop: Header=BB6_3029 Depth=2
	s_mov_b32 s29, 0x7f800001
	s_xor_b32 s28, exec_lo, -1
; %bb.3605:                             ;   in Loop: Header=BB6_3029 Depth=2
	s_or_b32 exec_lo, exec_lo, vcc_hi
	s_delay_alu instid0(SALU_CYCLE_1)
	s_and_b32 s28, s28, exec_lo
	s_or_saveexec_b32 s12, s12
	v_mov_b32_e32 v37, s29
	s_xor_b32 exec_lo, exec_lo, s12
	s_cbranch_execz .LBB6_3235
.LBB6_3606:                             ;   in Loop: Header=BB6_3029 Depth=2
	v_cmp_ne_u16_e32 vcc_lo, 0, v36
	v_mov_b32_e32 v37, 0
	s_and_not1_b32 s28, s28, exec_lo
	s_and_b32 s29, vcc_lo, exec_lo
	s_delay_alu instid0(SALU_CYCLE_1)
	s_or_b32 s28, s28, s29
	s_or_b32 exec_lo, exec_lo, s12
	s_and_saveexec_b32 s12, s28
	s_cbranch_execnz .LBB6_3236
	s_branch .LBB6_3237
.LBB6_3607:                             ;   in Loop: Header=BB6_3029 Depth=2
	s_mov_b32 s12, -1
	s_mov_b32 vcc_hi, exec_lo
                                        ; implicit-def: $sgpr28
	v_cmpx_eq_u16_e32 0x80, v35
; %bb.3608:                             ;   in Loop: Header=BB6_3029 Depth=2
	s_mov_b32 s28, 0x7f800001
	s_xor_b32 s12, exec_lo, -1
; %bb.3609:                             ;   in Loop: Header=BB6_3029 Depth=2
	s_or_b32 exec_lo, exec_lo, vcc_hi
	s_delay_alu instid0(SALU_CYCLE_1)
	s_and_b32 s12, s12, exec_lo
	s_or_saveexec_b32 s29, s29
	v_mov_b32_e32 v38, s28
	s_xor_b32 exec_lo, exec_lo, s29
	s_cbranch_execz .LBB6_3239
.LBB6_3610:                             ;   in Loop: Header=BB6_3029 Depth=2
	v_cmp_ne_u16_e32 vcc_lo, 0, v35
	v_mov_b32_e32 v38, 0
	s_and_not1_b32 s12, s12, exec_lo
	s_and_b32 s28, vcc_lo, exec_lo
	s_delay_alu instid0(SALU_CYCLE_1)
	s_or_b32 s12, s12, s28
	s_or_b32 exec_lo, exec_lo, s29
	s_and_saveexec_b32 s28, s12
	s_cbranch_execnz .LBB6_3240
	s_branch .LBB6_3241
.LBB6_3611:                             ;   in Loop: Header=BB6_3029 Depth=2
	s_mov_b32 s12, -1
	s_mov_b32 vcc_hi, exec_lo
                                        ; implicit-def: $sgpr28
	v_cmpx_eq_u16_e32 0x80, v36
; %bb.3612:                             ;   in Loop: Header=BB6_3029 Depth=2
	s_mov_b32 s28, 0x7f800001
	s_xor_b32 s12, exec_lo, -1
; %bb.3613:                             ;   in Loop: Header=BB6_3029 Depth=2
	s_or_b32 exec_lo, exec_lo, vcc_hi
	s_delay_alu instid0(SALU_CYCLE_1)
	s_and_b32 s12, s12, exec_lo
	s_or_saveexec_b32 s29, s29
	v_mov_b32_e32 v37, s28
	s_xor_b32 exec_lo, exec_lo, s29
	s_cbranch_execz .LBB6_3246
.LBB6_3614:                             ;   in Loop: Header=BB6_3029 Depth=2
	v_cmp_ne_u16_e32 vcc_lo, 0, v36
	v_mov_b32_e32 v37, 0
	s_and_not1_b32 s12, s12, exec_lo
	s_and_b32 s28, vcc_lo, exec_lo
	s_delay_alu instid0(SALU_CYCLE_1)
	s_or_b32 s12, s12, s28
	s_or_b32 exec_lo, exec_lo, s29
	s_and_saveexec_b32 s28, s12
	s_cbranch_execnz .LBB6_3247
	s_branch .LBB6_3248
.LBB6_3615:                             ;   in Loop: Header=BB6_3029 Depth=2
	s_mov_b32 s12, -1
	s_mov_b32 vcc_hi, exec_lo
                                        ; implicit-def: $sgpr28
	v_cmpx_eq_u16_e32 0x80, v35
; %bb.3616:                             ;   in Loop: Header=BB6_3029 Depth=2
	s_mov_b32 s28, 0x7f800001
	s_xor_b32 s12, exec_lo, -1
; %bb.3617:                             ;   in Loop: Header=BB6_3029 Depth=2
	s_or_b32 exec_lo, exec_lo, vcc_hi
	s_delay_alu instid0(SALU_CYCLE_1)
	s_and_b32 s12, s12, exec_lo
	s_or_saveexec_b32 s29, s29
	v_mov_b32_e32 v15, s28
	s_xor_b32 exec_lo, exec_lo, s29
	s_cbranch_execz .LBB6_3250
.LBB6_3618:                             ;   in Loop: Header=BB6_3029 Depth=2
	v_cmp_ne_u16_e32 vcc_lo, 0, v35
	v_mov_b32_e32 v15, 0
	s_and_not1_b32 s12, s12, exec_lo
	s_and_b32 s28, vcc_lo, exec_lo
	s_delay_alu instid0(SALU_CYCLE_1)
	s_or_b32 s12, s12, s28
	s_or_b32 exec_lo, exec_lo, s29
	s_and_saveexec_b32 s28, s12
	s_cbranch_execnz .LBB6_3251
	s_branch .LBB6_3252
.LBB6_3619:                             ;   in Loop: Header=BB6_3029 Depth=2
	s_mov_b32 s28, -1
	s_mov_b32 vcc_hi, exec_lo
                                        ; implicit-def: $sgpr29
	v_cmpx_eq_u16_e32 0x80, v15
; %bb.3620:                             ;   in Loop: Header=BB6_3029 Depth=2
	s_mov_b32 s29, 0x7f800001
	s_xor_b32 s28, exec_lo, -1
; %bb.3621:                             ;   in Loop: Header=BB6_3029 Depth=2
	s_or_b32 exec_lo, exec_lo, vcc_hi
	s_delay_alu instid0(SALU_CYCLE_1)
	s_and_b32 s28, s28, exec_lo
	s_or_saveexec_b32 s12, s12
	v_mov_b32_e32 v35, s29
	s_xor_b32 exec_lo, exec_lo, s12
	s_cbranch_execz .LBB6_3264
.LBB6_3622:                             ;   in Loop: Header=BB6_3029 Depth=2
	v_cmp_ne_u16_e32 vcc_lo, 0, v15
	v_mov_b32_e32 v35, 0
	s_and_not1_b32 s28, s28, exec_lo
	s_and_b32 s29, vcc_lo, exec_lo
	s_delay_alu instid0(SALU_CYCLE_1)
	s_or_b32 s28, s28, s29
	s_or_b32 exec_lo, exec_lo, s12
	s_and_saveexec_b32 s12, s28
	s_cbranch_execnz .LBB6_3265
	s_branch .LBB6_3266
.LBB6_3623:                             ;   in Loop: Header=BB6_3029 Depth=2
	s_mov_b32 s12, -1
	s_mov_b32 vcc_hi, exec_lo
                                        ; implicit-def: $sgpr28
	v_cmpx_eq_u16_e32 0x80, v37
; %bb.3624:                             ;   in Loop: Header=BB6_3029 Depth=2
	s_mov_b32 s28, 0x7f800001
	s_xor_b32 s12, exec_lo, -1
; %bb.3625:                             ;   in Loop: Header=BB6_3029 Depth=2
	s_or_b32 exec_lo, exec_lo, vcc_hi
	s_delay_alu instid0(SALU_CYCLE_1)
	s_and_b32 s12, s12, exec_lo
                                        ; implicit-def: $vgpr37
	s_or_saveexec_b32 s29, s29
	v_mov_b32_e32 v36, s28
	s_xor_b32 exec_lo, exec_lo, s29
	s_cbranch_execz .LBB6_3268
.LBB6_3626:                             ;   in Loop: Header=BB6_3029 Depth=2
	v_cmp_ne_u16_e32 vcc_lo, 0, v37
	v_mov_b32_e32 v36, 0
	s_and_not1_b32 s12, s12, exec_lo
	s_and_b32 s28, vcc_lo, exec_lo
	s_delay_alu instid0(SALU_CYCLE_1)
	s_or_b32 s12, s12, s28
	s_or_b32 exec_lo, exec_lo, s29
	s_and_saveexec_b32 s28, s12
	s_cbranch_execnz .LBB6_3269
	s_branch .LBB6_3270
.LBB6_3627:                             ;   in Loop: Header=BB6_3029 Depth=2
	s_mov_b32 s12, -1
	s_mov_b32 vcc_hi, exec_lo
                                        ; implicit-def: $sgpr28
	v_cmpx_eq_u16_e32 0x80, v15
; %bb.3628:                             ;   in Loop: Header=BB6_3029 Depth=2
	s_mov_b32 s28, 0x7f800001
	s_xor_b32 s12, exec_lo, -1
; %bb.3629:                             ;   in Loop: Header=BB6_3029 Depth=2
	s_or_b32 exec_lo, exec_lo, vcc_hi
	s_delay_alu instid0(SALU_CYCLE_1)
	s_and_b32 s12, s12, exec_lo
                                        ; implicit-def: $vgpr15
	s_or_saveexec_b32 s29, s29
	v_mov_b32_e32 v35, s28
	s_xor_b32 exec_lo, exec_lo, s29
	s_cbranch_execz .LBB6_3275
.LBB6_3630:                             ;   in Loop: Header=BB6_3029 Depth=2
	v_cmp_ne_u16_e32 vcc_lo, 0, v15
	v_mov_b32_e32 v35, 0
	s_and_not1_b32 s12, s12, exec_lo
	s_and_b32 s28, vcc_lo, exec_lo
	s_delay_alu instid0(SALU_CYCLE_1)
	s_or_b32 s12, s12, s28
	s_or_b32 exec_lo, exec_lo, s29
	s_and_saveexec_b32 s28, s12
	s_cbranch_execnz .LBB6_3276
	s_branch .LBB6_3277
.LBB6_3631:                             ;   in Loop: Header=BB6_3029 Depth=2
	s_mov_b32 s12, -1
	s_mov_b32 vcc_hi, exec_lo
                                        ; implicit-def: $sgpr28
	v_cmpx_eq_u16_e32 0x80, v36
; %bb.3632:                             ;   in Loop: Header=BB6_3029 Depth=2
	s_mov_b32 s28, 0x7f800001
	s_xor_b32 s12, exec_lo, -1
; %bb.3633:                             ;   in Loop: Header=BB6_3029 Depth=2
	s_or_b32 exec_lo, exec_lo, vcc_hi
	s_delay_alu instid0(SALU_CYCLE_1)
	s_and_b32 s12, s12, exec_lo
                                        ; implicit-def: $vgpr36
	s_or_saveexec_b32 s29, s29
	v_mov_b32_e32 v15, s28
	s_xor_b32 exec_lo, exec_lo, s29
	s_cbranch_execz .LBB6_3279
.LBB6_3634:                             ;   in Loop: Header=BB6_3029 Depth=2
	v_cmp_ne_u16_e32 vcc_lo, 0, v36
	v_mov_b32_e32 v15, 0
	s_and_not1_b32 s12, s12, exec_lo
	s_and_b32 s28, vcc_lo, exec_lo
	s_delay_alu instid0(SALU_CYCLE_1)
	s_or_b32 s12, s12, s28
	s_or_b32 exec_lo, exec_lo, s29
	s_and_saveexec_b32 s28, s12
	s_cbranch_execnz .LBB6_3280
	s_branch .LBB6_3281
.LBB6_3635:                             ;   in Loop: Header=BB6_3029 Depth=2
	s_mov_b32 s28, -1
	s_mov_b32 vcc_hi, exec_lo
                                        ; implicit-def: $sgpr29
	v_cmpx_eq_u16_e32 0x80, v36
; %bb.3636:                             ;   in Loop: Header=BB6_3029 Depth=2
	s_mov_b32 s29, 0x7f800001
	s_xor_b32 s28, exec_lo, -1
; %bb.3637:                             ;   in Loop: Header=BB6_3029 Depth=2
	s_or_b32 exec_lo, exec_lo, vcc_hi
	s_delay_alu instid0(SALU_CYCLE_1)
	s_and_b32 s28, s28, exec_lo
	s_or_saveexec_b32 s12, s12
	v_mov_b32_e32 v37, s29
	s_xor_b32 exec_lo, exec_lo, s12
	s_cbranch_execz .LBB6_3293
.LBB6_3638:                             ;   in Loop: Header=BB6_3029 Depth=2
	v_cmp_ne_u16_e32 vcc_lo, 0, v36
	v_mov_b32_e32 v37, 0
	s_and_not1_b32 s28, s28, exec_lo
	s_and_b32 s29, vcc_lo, exec_lo
	s_delay_alu instid0(SALU_CYCLE_1)
	s_or_b32 s28, s28, s29
	s_or_b32 exec_lo, exec_lo, s12
	s_and_saveexec_b32 s12, s28
	s_cbranch_execnz .LBB6_3294
	s_branch .LBB6_3295
.LBB6_3639:                             ;   in Loop: Header=BB6_3029 Depth=2
	s_mov_b32 s12, -1
	s_mov_b32 vcc_hi, exec_lo
                                        ; implicit-def: $sgpr28
	v_cmpx_eq_u16_e32 0x80, v35
; %bb.3640:                             ;   in Loop: Header=BB6_3029 Depth=2
	s_mov_b32 s28, 0x7f800001
	s_xor_b32 s12, exec_lo, -1
; %bb.3641:                             ;   in Loop: Header=BB6_3029 Depth=2
	s_or_b32 exec_lo, exec_lo, vcc_hi
	s_delay_alu instid0(SALU_CYCLE_1)
	s_and_b32 s12, s12, exec_lo
	s_or_saveexec_b32 s29, s29
	v_mov_b32_e32 v38, s28
	s_xor_b32 exec_lo, exec_lo, s29
	s_cbranch_execz .LBB6_3297
.LBB6_3642:                             ;   in Loop: Header=BB6_3029 Depth=2
	v_cmp_ne_u16_e32 vcc_lo, 0, v35
	v_mov_b32_e32 v38, 0
	s_and_not1_b32 s12, s12, exec_lo
	s_and_b32 s28, vcc_lo, exec_lo
	s_delay_alu instid0(SALU_CYCLE_1)
	s_or_b32 s12, s12, s28
	s_or_b32 exec_lo, exec_lo, s29
	s_and_saveexec_b32 s28, s12
	s_cbranch_execnz .LBB6_3298
	s_branch .LBB6_3299
.LBB6_3643:                             ;   in Loop: Header=BB6_3029 Depth=2
	s_mov_b32 s12, -1
	s_mov_b32 vcc_hi, exec_lo
                                        ; implicit-def: $sgpr28
	v_cmpx_eq_u16_e32 0x80, v36
; %bb.3644:                             ;   in Loop: Header=BB6_3029 Depth=2
	s_mov_b32 s28, 0x7f800001
	s_xor_b32 s12, exec_lo, -1
; %bb.3645:                             ;   in Loop: Header=BB6_3029 Depth=2
	s_or_b32 exec_lo, exec_lo, vcc_hi
	s_delay_alu instid0(SALU_CYCLE_1)
	s_and_b32 s12, s12, exec_lo
	s_or_saveexec_b32 s29, s29
	v_mov_b32_e32 v37, s28
	s_xor_b32 exec_lo, exec_lo, s29
	s_cbranch_execz .LBB6_3304
.LBB6_3646:                             ;   in Loop: Header=BB6_3029 Depth=2
	v_cmp_ne_u16_e32 vcc_lo, 0, v36
	v_mov_b32_e32 v37, 0
	s_and_not1_b32 s12, s12, exec_lo
	s_and_b32 s28, vcc_lo, exec_lo
	s_delay_alu instid0(SALU_CYCLE_1)
	s_or_b32 s12, s12, s28
	s_or_b32 exec_lo, exec_lo, s29
	s_and_saveexec_b32 s28, s12
	s_cbranch_execnz .LBB6_3305
	s_branch .LBB6_3306
.LBB6_3647:                             ;   in Loop: Header=BB6_3029 Depth=2
	s_mov_b32 s12, -1
	s_mov_b32 vcc_hi, exec_lo
                                        ; implicit-def: $sgpr28
	v_cmpx_eq_u16_e32 0x80, v35
; %bb.3648:                             ;   in Loop: Header=BB6_3029 Depth=2
	s_mov_b32 s28, 0x7f800001
	s_xor_b32 s12, exec_lo, -1
; %bb.3649:                             ;   in Loop: Header=BB6_3029 Depth=2
	s_or_b32 exec_lo, exec_lo, vcc_hi
	s_delay_alu instid0(SALU_CYCLE_1)
	s_and_b32 s12, s12, exec_lo
	s_or_saveexec_b32 s29, s29
	v_mov_b32_e32 v36, s28
	s_xor_b32 exec_lo, exec_lo, s29
	s_cbranch_execz .LBB6_3308
.LBB6_3650:                             ;   in Loop: Header=BB6_3029 Depth=2
	v_cmp_ne_u16_e32 vcc_lo, 0, v35
	v_mov_b32_e32 v36, 0
	s_and_not1_b32 s12, s12, exec_lo
	s_and_b32 s28, vcc_lo, exec_lo
	s_delay_alu instid0(SALU_CYCLE_1)
	s_or_b32 s12, s12, s28
	s_or_b32 exec_lo, exec_lo, s29
	s_and_saveexec_b32 s28, s12
	s_cbranch_execnz .LBB6_3309
	s_branch .LBB6_3310
.LBB6_3651:                             ;   in Loop: Header=BB6_3029 Depth=2
	s_mov_b32 s28, -1
	s_mov_b32 vcc_hi, exec_lo
                                        ; implicit-def: $sgpr29
	v_cmpx_eq_u16_e32 0x80, v38
; %bb.3652:                             ;   in Loop: Header=BB6_3029 Depth=2
	s_mov_b32 s29, 0x7f800001
	s_xor_b32 s28, exec_lo, -1
; %bb.3653:                             ;   in Loop: Header=BB6_3029 Depth=2
	s_or_b32 exec_lo, exec_lo, vcc_hi
	s_delay_alu instid0(SALU_CYCLE_1)
	s_and_b32 s28, s28, exec_lo
	s_or_saveexec_b32 s12, s12
	v_mov_b32_e32 v39, s29
	s_xor_b32 exec_lo, exec_lo, s12
	s_cbranch_execz .LBB6_3322
.LBB6_3654:                             ;   in Loop: Header=BB6_3029 Depth=2
	v_cmp_ne_u16_e32 vcc_lo, 0, v38
	v_mov_b32_e32 v39, 0
	s_and_not1_b32 s28, s28, exec_lo
	s_and_b32 s29, vcc_lo, exec_lo
	s_delay_alu instid0(SALU_CYCLE_1)
	s_or_b32 s28, s28, s29
	s_or_b32 exec_lo, exec_lo, s12
	s_and_saveexec_b32 s12, s28
	s_cbranch_execnz .LBB6_3323
	s_branch .LBB6_3324
.LBB6_3655:                             ;   in Loop: Header=BB6_3029 Depth=2
	s_mov_b32 s12, -1
	s_mov_b32 vcc_hi, exec_lo
                                        ; implicit-def: $sgpr28
	v_cmpx_eq_u16_e32 0x80, v49
; %bb.3656:                             ;   in Loop: Header=BB6_3029 Depth=2
	s_mov_b32 s28, 0x7f800001
	s_xor_b32 s12, exec_lo, -1
; %bb.3657:                             ;   in Loop: Header=BB6_3029 Depth=2
	s_or_b32 exec_lo, exec_lo, vcc_hi
	s_delay_alu instid0(SALU_CYCLE_1)
	s_and_b32 s12, s12, exec_lo
                                        ; implicit-def: $vgpr49
	s_or_saveexec_b32 s29, s29
	v_mov_b32_e32 v48, s28
	s_xor_b32 exec_lo, exec_lo, s29
	s_cbranch_execz .LBB6_3326
.LBB6_3658:                             ;   in Loop: Header=BB6_3029 Depth=2
	v_cmp_ne_u16_e32 vcc_lo, 0, v49
	v_mov_b32_e32 v48, 0
	s_and_not1_b32 s12, s12, exec_lo
	s_and_b32 s28, vcc_lo, exec_lo
	s_delay_alu instid0(SALU_CYCLE_1)
	s_or_b32 s12, s12, s28
	s_or_b32 exec_lo, exec_lo, s29
	s_and_saveexec_b32 s28, s12
	s_cbranch_execnz .LBB6_3327
	s_branch .LBB6_3328
.LBB6_3659:                             ;   in Loop: Header=BB6_3029 Depth=2
	s_mov_b32 s12, -1
	s_mov_b32 vcc_hi, exec_lo
                                        ; implicit-def: $sgpr28
	v_cmpx_eq_u16_e32 0x80, v38
; %bb.3660:                             ;   in Loop: Header=BB6_3029 Depth=2
	s_mov_b32 s28, 0x7f800001
	s_xor_b32 s12, exec_lo, -1
; %bb.3661:                             ;   in Loop: Header=BB6_3029 Depth=2
	s_or_b32 exec_lo, exec_lo, vcc_hi
	s_delay_alu instid0(SALU_CYCLE_1)
	s_and_b32 s12, s12, exec_lo
                                        ; implicit-def: $vgpr38
	s_or_saveexec_b32 s29, s29
	v_mov_b32_e32 v39, s28
	s_xor_b32 exec_lo, exec_lo, s29
	s_cbranch_execz .LBB6_3333
.LBB6_3662:                             ;   in Loop: Header=BB6_3029 Depth=2
	v_cmp_ne_u16_e32 vcc_lo, 0, v38
	v_mov_b32_e32 v39, 0
	s_and_not1_b32 s12, s12, exec_lo
	s_and_b32 s28, vcc_lo, exec_lo
	s_delay_alu instid0(SALU_CYCLE_1)
	s_or_b32 s12, s12, s28
	s_or_b32 exec_lo, exec_lo, s29
	s_and_saveexec_b32 s28, s12
	s_cbranch_execnz .LBB6_3334
	s_branch .LBB6_3335
.LBB6_3663:                             ;   in Loop: Header=BB6_3029 Depth=2
	s_mov_b32 s12, -1
	s_mov_b32 vcc_hi, exec_lo
                                        ; implicit-def: $sgpr28
	v_cmpx_eq_u16_e32 0x80, v38
; %bb.3664:                             ;   in Loop: Header=BB6_3029 Depth=2
	s_mov_b32 s28, 0x7f800001
	s_xor_b32 s12, exec_lo, -1
; %bb.3665:                             ;   in Loop: Header=BB6_3029 Depth=2
	s_or_b32 exec_lo, exec_lo, vcc_hi
	s_delay_alu instid0(SALU_CYCLE_1)
	s_and_b32 s12, s12, exec_lo
                                        ; implicit-def: $vgpr38
	s_or_saveexec_b32 s29, s29
	v_mov_b32_e32 v37, s28
	s_xor_b32 exec_lo, exec_lo, s29
	s_cbranch_execz .LBB6_3337
.LBB6_3666:                             ;   in Loop: Header=BB6_3029 Depth=2
	v_cmp_ne_u16_e32 vcc_lo, 0, v38
	v_mov_b32_e32 v37, 0
	s_and_not1_b32 s12, s12, exec_lo
	s_and_b32 s28, vcc_lo, exec_lo
	s_delay_alu instid0(SALU_CYCLE_1)
	s_or_b32 s12, s12, s28
	s_or_b32 exec_lo, exec_lo, s29
	s_and_saveexec_b32 s28, s12
	s_cbranch_execnz .LBB6_3338
	s_branch .LBB6_3339
.LBB6_3667:                             ;   in Loop: Header=BB6_3029 Depth=2
	s_mov_b32 s28, -1
	s_mov_b32 vcc_hi, exec_lo
                                        ; implicit-def: $sgpr29
	v_cmpx_eq_u16_e32 0x80, v38
; %bb.3668:                             ;   in Loop: Header=BB6_3029 Depth=2
	s_mov_b32 s29, 0x7f800001
	s_xor_b32 s28, exec_lo, -1
; %bb.3669:                             ;   in Loop: Header=BB6_3029 Depth=2
	s_or_b32 exec_lo, exec_lo, vcc_hi
	s_delay_alu instid0(SALU_CYCLE_1)
	s_and_b32 s28, s28, exec_lo
	s_or_saveexec_b32 s12, s12
	v_mov_b32_e32 v39, s29
	s_xor_b32 exec_lo, exec_lo, s12
	s_cbranch_execz .LBB6_3351
.LBB6_3670:                             ;   in Loop: Header=BB6_3029 Depth=2
	v_cmp_ne_u16_e32 vcc_lo, 0, v38
	v_mov_b32_e32 v39, 0
	s_and_not1_b32 s28, s28, exec_lo
	s_and_b32 s29, vcc_lo, exec_lo
	s_delay_alu instid0(SALU_CYCLE_1)
	s_or_b32 s28, s28, s29
	s_or_b32 exec_lo, exec_lo, s12
	s_and_saveexec_b32 s12, s28
	s_cbranch_execnz .LBB6_3352
	s_branch .LBB6_3353
.LBB6_3671:                             ;   in Loop: Header=BB6_3029 Depth=2
	s_mov_b32 s12, -1
	s_mov_b32 vcc_hi, exec_lo
                                        ; implicit-def: $sgpr28
	v_cmpx_eq_u16_e32 0x80, v37
; %bb.3672:                             ;   in Loop: Header=BB6_3029 Depth=2
	s_mov_b32 s28, 0x7f800001
	s_xor_b32 s12, exec_lo, -1
; %bb.3673:                             ;   in Loop: Header=BB6_3029 Depth=2
	s_or_b32 exec_lo, exec_lo, vcc_hi
	s_delay_alu instid0(SALU_CYCLE_1)
	s_and_b32 s12, s12, exec_lo
	s_or_saveexec_b32 s29, s29
	v_mov_b32_e32 v48, s28
	s_xor_b32 exec_lo, exec_lo, s29
	s_cbranch_execz .LBB6_3355
.LBB6_3674:                             ;   in Loop: Header=BB6_3029 Depth=2
	v_cmp_ne_u16_e32 vcc_lo, 0, v37
	v_mov_b32_e32 v48, 0
	s_and_not1_b32 s12, s12, exec_lo
	s_and_b32 s28, vcc_lo, exec_lo
	s_delay_alu instid0(SALU_CYCLE_1)
	s_or_b32 s12, s12, s28
	s_or_b32 exec_lo, exec_lo, s29
	s_and_saveexec_b32 s28, s12
	s_cbranch_execnz .LBB6_3356
	s_branch .LBB6_3357
.LBB6_3675:                             ;   in Loop: Header=BB6_3029 Depth=2
	s_mov_b32 s12, -1
	s_mov_b32 vcc_hi, exec_lo
                                        ; implicit-def: $sgpr28
	v_cmpx_eq_u16_e32 0x80, v38
; %bb.3676:                             ;   in Loop: Header=BB6_3029 Depth=2
	s_mov_b32 s28, 0x7f800001
	s_xor_b32 s12, exec_lo, -1
; %bb.3677:                             ;   in Loop: Header=BB6_3029 Depth=2
	s_or_b32 exec_lo, exec_lo, vcc_hi
	s_delay_alu instid0(SALU_CYCLE_1)
	s_and_b32 s12, s12, exec_lo
	s_or_saveexec_b32 s29, s29
	v_mov_b32_e32 v39, s28
	s_xor_b32 exec_lo, exec_lo, s29
	s_cbranch_execz .LBB6_3362
.LBB6_3678:                             ;   in Loop: Header=BB6_3029 Depth=2
	v_cmp_ne_u16_e32 vcc_lo, 0, v38
	v_mov_b32_e32 v39, 0
	s_and_not1_b32 s12, s12, exec_lo
	s_and_b32 s28, vcc_lo, exec_lo
	s_delay_alu instid0(SALU_CYCLE_1)
	s_or_b32 s12, s12, s28
	s_or_b32 exec_lo, exec_lo, s29
	s_and_saveexec_b32 s28, s12
	s_cbranch_execnz .LBB6_3363
	s_branch .LBB6_3364
.LBB6_3679:                             ;   in Loop: Header=BB6_3029 Depth=2
	s_mov_b32 s12, -1
	s_mov_b32 vcc_hi, exec_lo
                                        ; implicit-def: $sgpr28
	v_cmpx_eq_u16_e32 0x80, v37
; %bb.3680:                             ;   in Loop: Header=BB6_3029 Depth=2
	s_mov_b32 s28, 0x7f800001
	s_xor_b32 s12, exec_lo, -1
; %bb.3681:                             ;   in Loop: Header=BB6_3029 Depth=2
	s_or_b32 exec_lo, exec_lo, vcc_hi
	s_delay_alu instid0(SALU_CYCLE_1)
	s_and_b32 s12, s12, exec_lo
	s_or_saveexec_b32 s29, s29
	v_mov_b32_e32 v16, s28
	s_xor_b32 exec_lo, exec_lo, s29
	s_cbranch_execz .LBB6_3366
.LBB6_3682:                             ;   in Loop: Header=BB6_3029 Depth=2
	v_cmp_ne_u16_e32 vcc_lo, 0, v37
	v_mov_b32_e32 v16, 0
	s_and_not1_b32 s12, s12, exec_lo
	s_and_b32 s28, vcc_lo, exec_lo
	s_delay_alu instid0(SALU_CYCLE_1)
	s_or_b32 s12, s12, s28
	s_or_b32 exec_lo, exec_lo, s29
	s_and_saveexec_b32 s28, s12
	s_cbranch_execnz .LBB6_3367
	s_branch .LBB6_3368
.LBB6_3683:                             ;   in Loop: Header=BB6_3029 Depth=2
	s_mov_b32 s28, -1
	s_mov_b32 vcc_hi, exec_lo
                                        ; implicit-def: $sgpr29
	v_cmpx_eq_u16_e32 0x80, v16
; %bb.3684:                             ;   in Loop: Header=BB6_3029 Depth=2
	s_mov_b32 s29, 0x7f800001
	s_xor_b32 s28, exec_lo, -1
; %bb.3685:                             ;   in Loop: Header=BB6_3029 Depth=2
	s_or_b32 exec_lo, exec_lo, vcc_hi
	s_delay_alu instid0(SALU_CYCLE_1)
	s_and_b32 s28, s28, exec_lo
	s_or_saveexec_b32 s12, s12
	v_mov_b32_e32 v37, s29
	s_xor_b32 exec_lo, exec_lo, s12
	s_cbranch_execz .LBB6_3380
.LBB6_3686:                             ;   in Loop: Header=BB6_3029 Depth=2
	v_cmp_ne_u16_e32 vcc_lo, 0, v16
	v_mov_b32_e32 v37, 0
	s_and_not1_b32 s28, s28, exec_lo
	s_and_b32 s29, vcc_lo, exec_lo
	s_delay_alu instid0(SALU_CYCLE_1)
	s_or_b32 s28, s28, s29
	s_or_b32 exec_lo, exec_lo, s12
	s_and_saveexec_b32 s12, s28
	s_cbranch_execnz .LBB6_3381
	s_branch .LBB6_3382
.LBB6_3687:                             ;   in Loop: Header=BB6_3029 Depth=2
	s_mov_b32 s12, -1
	s_mov_b32 vcc_hi, exec_lo
                                        ; implicit-def: $sgpr28
	v_cmpx_eq_u16_e32 0x80, v39
; %bb.3688:                             ;   in Loop: Header=BB6_3029 Depth=2
	s_mov_b32 s28, 0x7f800001
	s_xor_b32 s12, exec_lo, -1
; %bb.3689:                             ;   in Loop: Header=BB6_3029 Depth=2
	s_or_b32 exec_lo, exec_lo, vcc_hi
	s_delay_alu instid0(SALU_CYCLE_1)
	s_and_b32 s12, s12, exec_lo
                                        ; implicit-def: $vgpr39
	s_or_saveexec_b32 s29, s29
	v_mov_b32_e32 v38, s28
	s_xor_b32 exec_lo, exec_lo, s29
	s_cbranch_execz .LBB6_3384
.LBB6_3690:                             ;   in Loop: Header=BB6_3029 Depth=2
	v_cmp_ne_u16_e32 vcc_lo, 0, v39
	v_mov_b32_e32 v38, 0
	s_and_not1_b32 s12, s12, exec_lo
	s_and_b32 s28, vcc_lo, exec_lo
	s_delay_alu instid0(SALU_CYCLE_1)
	s_or_b32 s12, s12, s28
	s_or_b32 exec_lo, exec_lo, s29
	s_and_saveexec_b32 s28, s12
	s_cbranch_execnz .LBB6_3385
	s_branch .LBB6_3386
.LBB6_3691:                             ;   in Loop: Header=BB6_3029 Depth=2
	s_mov_b32 s12, -1
	s_mov_b32 vcc_hi, exec_lo
                                        ; implicit-def: $sgpr28
	v_cmpx_eq_u16_e32 0x80, v16
; %bb.3692:                             ;   in Loop: Header=BB6_3029 Depth=2
	s_mov_b32 s28, 0x7f800001
	s_xor_b32 s12, exec_lo, -1
; %bb.3693:                             ;   in Loop: Header=BB6_3029 Depth=2
	s_or_b32 exec_lo, exec_lo, vcc_hi
	s_delay_alu instid0(SALU_CYCLE_1)
	s_and_b32 s12, s12, exec_lo
                                        ; implicit-def: $vgpr16
	s_or_saveexec_b32 s29, s29
	v_mov_b32_e32 v37, s28
	s_xor_b32 exec_lo, exec_lo, s29
	s_cbranch_execz .LBB6_3391
.LBB6_3694:                             ;   in Loop: Header=BB6_3029 Depth=2
	v_cmp_ne_u16_e32 vcc_lo, 0, v16
	v_mov_b32_e32 v37, 0
	s_and_not1_b32 s12, s12, exec_lo
	s_and_b32 s28, vcc_lo, exec_lo
	s_delay_alu instid0(SALU_CYCLE_1)
	s_or_b32 s12, s12, s28
	s_or_b32 exec_lo, exec_lo, s29
	s_and_saveexec_b32 s28, s12
	s_cbranch_execnz .LBB6_3392
	s_branch .LBB6_3393
.LBB6_3695:                             ;   in Loop: Header=BB6_3029 Depth=2
	s_mov_b32 s12, -1
	s_mov_b32 vcc_hi, exec_lo
                                        ; implicit-def: $sgpr28
	v_cmpx_eq_u16_e32 0x80, v38
; %bb.3696:                             ;   in Loop: Header=BB6_3029 Depth=2
	s_mov_b32 s28, 0x7f800001
	s_xor_b32 s12, exec_lo, -1
; %bb.3697:                             ;   in Loop: Header=BB6_3029 Depth=2
	s_or_b32 exec_lo, exec_lo, vcc_hi
	s_delay_alu instid0(SALU_CYCLE_1)
	s_and_b32 s12, s12, exec_lo
                                        ; implicit-def: $vgpr38
	s_or_saveexec_b32 s29, s29
	v_mov_b32_e32 v16, s28
	s_xor_b32 exec_lo, exec_lo, s29
	s_cbranch_execz .LBB6_3395
.LBB6_3698:                             ;   in Loop: Header=BB6_3029 Depth=2
	v_cmp_ne_u16_e32 vcc_lo, 0, v38
	v_mov_b32_e32 v16, 0
	s_and_not1_b32 s12, s12, exec_lo
	s_and_b32 s28, vcc_lo, exec_lo
	s_delay_alu instid0(SALU_CYCLE_1)
	s_or_b32 s12, s12, s28
	s_or_b32 exec_lo, exec_lo, s29
	s_and_saveexec_b32 s28, s12
	s_cbranch_execnz .LBB6_3396
	s_branch .LBB6_3397
.LBB6_3699:                             ;   in Loop: Header=BB6_3029 Depth=2
	s_mov_b32 s28, -1
	s_mov_b32 vcc_hi, exec_lo
                                        ; implicit-def: $sgpr29
	v_cmpx_eq_u16_e32 0x80, v38
; %bb.3700:                             ;   in Loop: Header=BB6_3029 Depth=2
	s_mov_b32 s29, 0x7f800001
	s_xor_b32 s28, exec_lo, -1
; %bb.3701:                             ;   in Loop: Header=BB6_3029 Depth=2
	s_or_b32 exec_lo, exec_lo, vcc_hi
	s_delay_alu instid0(SALU_CYCLE_1)
	s_and_b32 s28, s28, exec_lo
	s_or_saveexec_b32 s12, s12
	v_mov_b32_e32 v39, s29
	s_xor_b32 exec_lo, exec_lo, s12
	s_cbranch_execz .LBB6_3409
.LBB6_3702:                             ;   in Loop: Header=BB6_3029 Depth=2
	v_cmp_ne_u16_e32 vcc_lo, 0, v38
	v_mov_b32_e32 v39, 0
	s_and_not1_b32 s28, s28, exec_lo
	s_and_b32 s29, vcc_lo, exec_lo
	s_delay_alu instid0(SALU_CYCLE_1)
	s_or_b32 s28, s28, s29
	s_or_b32 exec_lo, exec_lo, s12
	s_and_saveexec_b32 s12, s28
	s_cbranch_execnz .LBB6_3410
	s_branch .LBB6_3411
.LBB6_3703:                             ;   in Loop: Header=BB6_3029 Depth=2
	s_mov_b32 s12, -1
	s_mov_b32 vcc_hi, exec_lo
                                        ; implicit-def: $sgpr28
	v_cmpx_eq_u16_e32 0x80, v37
; %bb.3704:                             ;   in Loop: Header=BB6_3029 Depth=2
	s_mov_b32 s28, 0x7f800001
	s_xor_b32 s12, exec_lo, -1
; %bb.3705:                             ;   in Loop: Header=BB6_3029 Depth=2
	s_or_b32 exec_lo, exec_lo, vcc_hi
	s_delay_alu instid0(SALU_CYCLE_1)
	s_and_b32 s12, s12, exec_lo
	s_or_saveexec_b32 s29, s29
	v_mov_b32_e32 v48, s28
	s_xor_b32 exec_lo, exec_lo, s29
	s_cbranch_execz .LBB6_3413
.LBB6_3706:                             ;   in Loop: Header=BB6_3029 Depth=2
	v_cmp_ne_u16_e32 vcc_lo, 0, v37
	v_mov_b32_e32 v48, 0
	s_and_not1_b32 s12, s12, exec_lo
	s_and_b32 s28, vcc_lo, exec_lo
	s_delay_alu instid0(SALU_CYCLE_1)
	s_or_b32 s12, s12, s28
	s_or_b32 exec_lo, exec_lo, s29
	s_and_saveexec_b32 s28, s12
	s_cbranch_execnz .LBB6_3414
	s_branch .LBB6_3415
.LBB6_3707:                             ;   in Loop: Header=BB6_3029 Depth=2
	s_mov_b32 s12, -1
	s_mov_b32 vcc_hi, exec_lo
                                        ; implicit-def: $sgpr28
	v_cmpx_eq_u16_e32 0x80, v38
; %bb.3708:                             ;   in Loop: Header=BB6_3029 Depth=2
	s_mov_b32 s28, 0x7f800001
	s_xor_b32 s12, exec_lo, -1
; %bb.3709:                             ;   in Loop: Header=BB6_3029 Depth=2
	s_or_b32 exec_lo, exec_lo, vcc_hi
	s_delay_alu instid0(SALU_CYCLE_1)
	s_and_b32 s12, s12, exec_lo
	s_or_saveexec_b32 s29, s29
	v_mov_b32_e32 v39, s28
	s_xor_b32 exec_lo, exec_lo, s29
	s_cbranch_execz .LBB6_3420
.LBB6_3710:                             ;   in Loop: Header=BB6_3029 Depth=2
	v_cmp_ne_u16_e32 vcc_lo, 0, v38
	v_mov_b32_e32 v39, 0
	s_and_not1_b32 s12, s12, exec_lo
	s_and_b32 s28, vcc_lo, exec_lo
	s_delay_alu instid0(SALU_CYCLE_1)
	s_or_b32 s12, s12, s28
	s_or_b32 exec_lo, exec_lo, s29
	s_and_saveexec_b32 s28, s12
	s_cbranch_execnz .LBB6_3421
	s_branch .LBB6_3422
.LBB6_3711:                             ;   in Loop: Header=BB6_3029 Depth=2
	s_mov_b32 s12, -1
	s_mov_b32 vcc_hi, exec_lo
                                        ; implicit-def: $sgpr28
	v_cmpx_eq_u16_e32 0x80, v37
; %bb.3712:                             ;   in Loop: Header=BB6_3029 Depth=2
	s_mov_b32 s28, 0x7f800001
	s_xor_b32 s12, exec_lo, -1
; %bb.3713:                             ;   in Loop: Header=BB6_3029 Depth=2
	s_or_b32 exec_lo, exec_lo, vcc_hi
	s_delay_alu instid0(SALU_CYCLE_1)
	s_and_b32 s12, s12, exec_lo
	s_or_saveexec_b32 s29, s29
	v_mov_b32_e32 v38, s28
	s_xor_b32 exec_lo, exec_lo, s29
	s_cbranch_execz .LBB6_3424
.LBB6_3714:                             ;   in Loop: Header=BB6_3029 Depth=2
	v_cmp_ne_u16_e32 vcc_lo, 0, v37
	v_mov_b32_e32 v38, 0
	s_and_not1_b32 s12, s12, exec_lo
	s_and_b32 s28, vcc_lo, exec_lo
	s_delay_alu instid0(SALU_CYCLE_1)
	s_or_b32 s12, s12, s28
	s_or_b32 exec_lo, exec_lo, s29
	s_and_saveexec_b32 s28, s12
	s_cbranch_execnz .LBB6_3425
	s_branch .LBB6_3426
.LBB6_3715:                             ;   in Loop: Header=BB6_3029 Depth=2
	s_mov_b32 s28, -1
	s_mov_b32 vcc_hi, exec_lo
                                        ; implicit-def: $sgpr29
	v_cmpx_eq_u16_e32 0x80, v48
; %bb.3716:                             ;   in Loop: Header=BB6_3029 Depth=2
	s_mov_b32 s29, 0x7f800001
	s_xor_b32 s28, exec_lo, -1
; %bb.3717:                             ;   in Loop: Header=BB6_3029 Depth=2
	s_or_b32 exec_lo, exec_lo, vcc_hi
	s_delay_alu instid0(SALU_CYCLE_1)
	s_and_b32 s28, s28, exec_lo
	s_or_saveexec_b32 s12, s12
	v_mov_b32_e32 v49, s29
	s_xor_b32 exec_lo, exec_lo, s12
	s_cbranch_execz .LBB6_3438
.LBB6_3718:                             ;   in Loop: Header=BB6_3029 Depth=2
	v_cmp_ne_u16_e32 vcc_lo, 0, v48
	v_mov_b32_e32 v49, 0
	s_and_not1_b32 s28, s28, exec_lo
	s_and_b32 s29, vcc_lo, exec_lo
	s_delay_alu instid0(SALU_CYCLE_1)
	s_or_b32 s28, s28, s29
	s_or_b32 exec_lo, exec_lo, s12
	s_and_saveexec_b32 s12, s28
	s_cbranch_execnz .LBB6_3439
	s_branch .LBB6_3440
.LBB6_3719:                             ;   in Loop: Header=BB6_3029 Depth=2
	s_mov_b32 s12, -1
	s_mov_b32 vcc_hi, exec_lo
                                        ; implicit-def: $sgpr28
	v_cmpx_eq_u16_e32 0x80, v51
; %bb.3720:                             ;   in Loop: Header=BB6_3029 Depth=2
	s_mov_b32 s28, 0x7f800001
	s_xor_b32 s12, exec_lo, -1
; %bb.3721:                             ;   in Loop: Header=BB6_3029 Depth=2
	s_or_b32 exec_lo, exec_lo, vcc_hi
	s_delay_alu instid0(SALU_CYCLE_1)
	s_and_b32 s12, s12, exec_lo
                                        ; implicit-def: $vgpr51
	s_or_saveexec_b32 s29, s29
	v_mov_b32_e32 v50, s28
	s_xor_b32 exec_lo, exec_lo, s29
	s_cbranch_execz .LBB6_3442
.LBB6_3722:                             ;   in Loop: Header=BB6_3029 Depth=2
	v_cmp_ne_u16_e32 vcc_lo, 0, v51
	v_mov_b32_e32 v50, 0
	s_and_not1_b32 s12, s12, exec_lo
	s_and_b32 s28, vcc_lo, exec_lo
	s_delay_alu instid0(SALU_CYCLE_1)
	s_or_b32 s12, s12, s28
	s_or_b32 exec_lo, exec_lo, s29
	s_and_saveexec_b32 s28, s12
	s_cbranch_execnz .LBB6_3443
	s_branch .LBB6_3444
.LBB6_3723:                             ;   in Loop: Header=BB6_3029 Depth=2
	s_mov_b32 s12, -1
	s_mov_b32 vcc_hi, exec_lo
                                        ; implicit-def: $sgpr28
	v_cmpx_eq_u16_e32 0x80, v48
; %bb.3724:                             ;   in Loop: Header=BB6_3029 Depth=2
	s_mov_b32 s28, 0x7f800001
	s_xor_b32 s12, exec_lo, -1
; %bb.3725:                             ;   in Loop: Header=BB6_3029 Depth=2
	s_or_b32 exec_lo, exec_lo, vcc_hi
	s_delay_alu instid0(SALU_CYCLE_1)
	s_and_b32 s12, s12, exec_lo
                                        ; implicit-def: $vgpr48
	s_or_saveexec_b32 s29, s29
	v_mov_b32_e32 v49, s28
	s_xor_b32 exec_lo, exec_lo, s29
	s_cbranch_execz .LBB6_3449
.LBB6_3726:                             ;   in Loop: Header=BB6_3029 Depth=2
	v_cmp_ne_u16_e32 vcc_lo, 0, v48
	v_mov_b32_e32 v49, 0
	s_and_not1_b32 s12, s12, exec_lo
	s_and_b32 s28, vcc_lo, exec_lo
	s_delay_alu instid0(SALU_CYCLE_1)
	s_or_b32 s12, s12, s28
	s_or_b32 exec_lo, exec_lo, s29
	s_and_saveexec_b32 s28, s12
	s_cbranch_execnz .LBB6_3450
	s_branch .LBB6_3451
.LBB6_3727:                             ;   in Loop: Header=BB6_3029 Depth=2
	s_mov_b32 s12, -1
	s_mov_b32 vcc_hi, exec_lo
                                        ; implicit-def: $sgpr28
	v_cmpx_eq_u16_e32 0x80, v48
; %bb.3728:                             ;   in Loop: Header=BB6_3029 Depth=2
	s_mov_b32 s28, 0x7f800001
	s_xor_b32 s12, exec_lo, -1
; %bb.3729:                             ;   in Loop: Header=BB6_3029 Depth=2
	s_or_b32 exec_lo, exec_lo, vcc_hi
	s_delay_alu instid0(SALU_CYCLE_1)
	s_and_b32 s12, s12, exec_lo
                                        ; implicit-def: $vgpr48
	s_or_saveexec_b32 s29, s29
	v_mov_b32_e32 v39, s28
	s_xor_b32 exec_lo, exec_lo, s29
	s_cbranch_execz .LBB6_3453
.LBB6_3730:                             ;   in Loop: Header=BB6_3029 Depth=2
	v_cmp_ne_u16_e32 vcc_lo, 0, v48
	v_mov_b32_e32 v39, 0
	s_and_not1_b32 s12, s12, exec_lo
	s_and_b32 s28, vcc_lo, exec_lo
	s_delay_alu instid0(SALU_CYCLE_1)
	s_or_b32 s12, s12, s28
	s_or_b32 exec_lo, exec_lo, s29
	s_and_saveexec_b32 s28, s12
	s_cbranch_execnz .LBB6_3454
	s_branch .LBB6_3455
.LBB6_3731:                             ;   in Loop: Header=BB6_3029 Depth=2
	s_mov_b32 s28, -1
	s_mov_b32 vcc_hi, exec_lo
                                        ; implicit-def: $sgpr29
	v_cmpx_eq_u16_e32 0x80, v48
; %bb.3732:                             ;   in Loop: Header=BB6_3029 Depth=2
	s_mov_b32 s29, 0x7f800001
	s_xor_b32 s28, exec_lo, -1
; %bb.3733:                             ;   in Loop: Header=BB6_3029 Depth=2
	s_or_b32 exec_lo, exec_lo, vcc_hi
	s_delay_alu instid0(SALU_CYCLE_1)
	s_and_b32 s28, s28, exec_lo
	s_or_saveexec_b32 s12, s12
	v_mov_b32_e32 v49, s29
	s_xor_b32 exec_lo, exec_lo, s12
	s_cbranch_execz .LBB6_3467
.LBB6_3734:                             ;   in Loop: Header=BB6_3029 Depth=2
	v_cmp_ne_u16_e32 vcc_lo, 0, v48
	v_mov_b32_e32 v49, 0
	s_and_not1_b32 s28, s28, exec_lo
	s_and_b32 s29, vcc_lo, exec_lo
	s_delay_alu instid0(SALU_CYCLE_1)
	s_or_b32 s28, s28, s29
	s_or_b32 exec_lo, exec_lo, s12
	s_and_saveexec_b32 s12, s28
	s_cbranch_execnz .LBB6_3468
	s_branch .LBB6_3469
.LBB6_3735:                             ;   in Loop: Header=BB6_3029 Depth=2
	s_mov_b32 s12, -1
	s_mov_b32 vcc_hi, exec_lo
                                        ; implicit-def: $sgpr28
	v_cmpx_eq_u16_e32 0x80, v39
; %bb.3736:                             ;   in Loop: Header=BB6_3029 Depth=2
	s_mov_b32 s28, 0x7f800001
	s_xor_b32 s12, exec_lo, -1
; %bb.3737:                             ;   in Loop: Header=BB6_3029 Depth=2
	s_or_b32 exec_lo, exec_lo, vcc_hi
	s_delay_alu instid0(SALU_CYCLE_1)
	s_and_b32 s12, s12, exec_lo
	s_or_saveexec_b32 s29, s29
	v_mov_b32_e32 v50, s28
	s_xor_b32 exec_lo, exec_lo, s29
	s_cbranch_execz .LBB6_3471
.LBB6_3738:                             ;   in Loop: Header=BB6_3029 Depth=2
	v_cmp_ne_u16_e32 vcc_lo, 0, v39
	v_mov_b32_e32 v50, 0
	s_and_not1_b32 s12, s12, exec_lo
	s_and_b32 s28, vcc_lo, exec_lo
	s_delay_alu instid0(SALU_CYCLE_1)
	s_or_b32 s12, s12, s28
	s_or_b32 exec_lo, exec_lo, s29
	s_and_saveexec_b32 s28, s12
	s_cbranch_execnz .LBB6_3472
	s_branch .LBB6_3473
.LBB6_3739:                             ;   in Loop: Header=BB6_3029 Depth=2
	s_mov_b32 s12, -1
	s_mov_b32 vcc_hi, exec_lo
                                        ; implicit-def: $sgpr28
	v_cmpx_eq_u16_e32 0x80, v48
; %bb.3740:                             ;   in Loop: Header=BB6_3029 Depth=2
	s_mov_b32 s28, 0x7f800001
	s_xor_b32 s12, exec_lo, -1
; %bb.3741:                             ;   in Loop: Header=BB6_3029 Depth=2
	s_or_b32 exec_lo, exec_lo, vcc_hi
	s_delay_alu instid0(SALU_CYCLE_1)
	s_and_b32 s12, s12, exec_lo
	s_or_saveexec_b32 s29, s29
	v_mov_b32_e32 v49, s28
	s_xor_b32 exec_lo, exec_lo, s29
	s_cbranch_execz .LBB6_3478
.LBB6_3742:                             ;   in Loop: Header=BB6_3029 Depth=2
	v_cmp_ne_u16_e32 vcc_lo, 0, v48
	v_mov_b32_e32 v49, 0
	s_and_not1_b32 s12, s12, exec_lo
	s_and_b32 s28, vcc_lo, exec_lo
	s_delay_alu instid0(SALU_CYCLE_1)
	s_or_b32 s12, s12, s28
	s_or_b32 exec_lo, exec_lo, s29
	s_and_saveexec_b32 s28, s12
	s_cbranch_execnz .LBB6_3479
	s_branch .LBB6_3480
.LBB6_3743:                             ;   in Loop: Header=BB6_3029 Depth=2
	s_mov_b32 s12, -1
	s_mov_b32 vcc_hi, exec_lo
                                        ; implicit-def: $sgpr28
	v_cmpx_eq_u16_e32 0x80, v39
; %bb.3744:                             ;   in Loop: Header=BB6_3029 Depth=2
	s_mov_b32 s28, 0x7f800001
	s_xor_b32 s12, exec_lo, -1
; %bb.3745:                             ;   in Loop: Header=BB6_3029 Depth=2
	s_or_b32 exec_lo, exec_lo, vcc_hi
	s_delay_alu instid0(SALU_CYCLE_1)
	s_and_b32 s12, s12, exec_lo
	s_or_saveexec_b32 s29, s29
	v_mov_b32_e32 v17, s28
	s_xor_b32 exec_lo, exec_lo, s29
	s_cbranch_execz .LBB6_3482
.LBB6_3746:                             ;   in Loop: Header=BB6_3029 Depth=2
	v_cmp_ne_u16_e32 vcc_lo, 0, v39
	v_mov_b32_e32 v17, 0
	s_and_not1_b32 s12, s12, exec_lo
	s_and_b32 s28, vcc_lo, exec_lo
	s_delay_alu instid0(SALU_CYCLE_1)
	s_or_b32 s12, s12, s28
	s_or_b32 exec_lo, exec_lo, s29
	s_and_saveexec_b32 s28, s12
	s_cbranch_execnz .LBB6_3483
	s_branch .LBB6_3484
.LBB6_3747:                             ;   in Loop: Header=BB6_53 Depth=1
	s_or_b32 exec_lo, exec_lo, s26
.LBB6_3748:                             ;   in Loop: Header=BB6_53 Depth=1
	s_delay_alu instid0(SALU_CYCLE_1) | instskip(SKIP_3) | instid1(VALU_DEP_1)
	s_or_b32 exec_lo, exec_lo, s25
	v_dual_mov_b32 v16, 0 :: v_dual_and_b32 v11, 15, v87
	s_mov_b32 s12, 0
	s_mov_b32 s25, exec_lo
                                        ; implicit-def: $vgpr18
                                        ; implicit-def: $vgpr10
	v_cndmask_b32_e64 v17, v25, v11, s11
	s_delay_alu instid0(VALU_DEP_1)
	v_cmpx_ne_u32_e32 0, v17
	s_cbranch_execz .LBB6_3750
; %bb.3749:                             ;   in Loop: Header=BB6_53 Depth=1
	v_cmp_lt_i32_e32 vcc_lo, 0, v26
	v_sub_nc_u32_e32 v11, v25, v11
	v_and_b32_e32 v12, 0x3ffffe00, v87
	s_mov_b32 s12, exec_lo
	v_cndmask_b32_e32 v10, 0, v115, vcc_lo
	s_delay_alu instid0(VALU_DEP_3) | instskip(NEXT) | instid1(VALU_DEP_2)
	v_cndmask_b32_e64 v11, 0, v11, s11
	v_sub_nc_u32_e32 v10, v10, v26
	s_delay_alu instid0(VALU_DEP_2) | instskip(NEXT) | instid1(VALU_DEP_2)
	v_add_nc_u32_e32 v16, v11, v12
	v_lshl_add_u32 v18, v10, 5, v24
	s_delay_alu instid0(VALU_DEP_1) | instskip(NEXT) | instid1(VALU_DEP_1)
	v_ashrrev_i32_e32 v10, 31, v18
	v_lshrrev_b32_e32 v10, 27, v10
	s_delay_alu instid0(VALU_DEP_1) | instskip(NEXT) | instid1(VALU_DEP_1)
	v_add_nc_u32_e32 v10, v18, v10
	v_ashrrev_i32_e32 v10, 5, v10
.LBB6_3750:                             ;   in Loop: Header=BB6_53 Depth=1
	s_or_b32 exec_lo, exec_lo, s25
	s_delay_alu instid0(SALU_CYCLE_1)
	s_and_b32 s11, s12, exec_lo
.LBB6_3751:                             ;   in Loop: Header=BB6_53 Depth=1
	s_or_b32 exec_lo, exec_lo, s24
.LBB6_3752:                             ;   in Loop: Header=BB6_53 Depth=1
	s_and_saveexec_b32 s12, s11
	s_cbranch_execz .LBB6_5248
; %bb.3753:                             ;   in Loop: Header=BB6_53 Depth=1
	s_delay_alu instid0(VALU_DEP_1) | instskip(SKIP_1) | instid1(VALU_DEP_1)
	v_ashrrev_i32_e32 v11, 31, v17
	s_mov_b32 s24, exec_lo
	v_lshrrev_b32_e32 v11, 22, v11
	s_delay_alu instid0(VALU_DEP_1) | instskip(NEXT) | instid1(VALU_DEP_1)
	v_add_nc_u32_e32 v11, v17, v11
	v_ashrrev_i32_e32 v20, 10, v11
	s_waitcnt vmcnt(0)
	s_delay_alu instid0(VALU_DEP_1) | instskip(NEXT) | instid1(VALU_DEP_1)
	v_sub_nc_u32_e32 v19, v20, v10
	v_cmpx_lt_i32_e32 0, v19
	s_cbranch_execz .LBB6_5198
; %bb.3754:                             ;   in Loop: Header=BB6_53 Depth=1
	s_cbranch_execz .LBB6_3755
; %bb.11195:
	s_getpc_b64 s[34:35]
.Lpost_getpc116:
	s_add_u32 s34, s34, (.LBB6_11055-.Lpost_getpc116)&4294967295
	s_addc_u32 s35, s35, (.LBB6_11055-.Lpost_getpc116)>>32
	s_setpc_b64 s[34:35]
.LBB6_3755:                             ;   in Loop: Header=BB6_53 Depth=1
	v_ashrrev_i32_e32 v11, 31, v18
	ds_load_b64 v[21:22], v0
	v_lshlrev_b32_e32 v10, 10, v10
	s_bitcmp1_b32 s23, 0
	s_mov_b32 s26, 0
	v_lshrrev_b32_e32 v11, 27, v11
	s_cselect_b32 s25, -1, 0
	s_delay_alu instid0(VALU_DEP_1) | instskip(NEXT) | instid1(VALU_DEP_1)
	v_add_nc_u32_e32 v11, v18, v11
	v_and_b32_e32 v15, 0xffffffe0, v11
	ds_load_b128 v[11:14], v0
	v_sub_nc_u32_e32 v15, v18, v15
	s_waitcnt lgkmcnt(1)
	v_add_co_u32 v21, vcc_lo, 0x3e0, v21
	v_add_co_ci_u32_e32 v22, vcc_lo, 0, v22, vcc_lo
	s_delay_alu instid0(VALU_DEP_3) | instskip(NEXT) | instid1(VALU_DEP_1)
	v_add3_u32 v15, v16, v15, v10
	v_ashrrev_i32_e32 v23, 31, v15
	s_waitcnt lgkmcnt(0)
	v_add_co_u32 v10, vcc_lo, v11, v15
	s_delay_alu instid0(VALU_DEP_2)
	v_add_co_ci_u32_e32 v11, vcc_lo, v12, v23, vcc_lo
	v_add_co_u32 v12, vcc_lo, v13, v15
	v_add_co_ci_u32_e32 v13, vcc_lo, v14, v23, vcc_lo
	v_add_co_u32 v14, vcc_lo, v21, v15
	v_add_co_ci_u32_e32 v15, vcc_lo, v22, v23, vcc_lo
	s_branch .LBB6_3759
.LBB6_3756:                             ;   in Loop: Header=BB6_3759 Depth=2
	s_or_b32 exec_lo, exec_lo, s11
	s_delay_alu instid0(VALU_DEP_1) | instskip(NEXT) | instid1(VALU_DEP_2)
	v_lshrrev_b32_e32 v22, 20, v22
	v_cmp_gt_i32_e32 vcc_lo, 16, v21
	v_lshrrev_b32_e32 v25, 24, v25
	v_min_i32_e32 v28, 15, v21
	s_delay_alu instid0(VALU_DEP_2) | instskip(NEXT) | instid1(VALU_DEP_1)
	v_dual_cndmask_b32 v22, 7, v22 :: v_dual_and_b32 v25, 0x80, v25
	v_or_b32_e32 v21, v21, v22
	v_and_b32_e32 v33, 7, v22
	s_delay_alu instid0(VALU_DEP_2) | instskip(SKIP_1) | instid1(VALU_DEP_1)
	v_cmp_ne_u32_e32 vcc_lo, 0, v21
	v_lshlrev_b32_e32 v28, 3, v28
	v_or3_b32 v22, v28, v25, v33
	s_delay_alu instid0(VALU_DEP_1)
	v_cndmask_b32_e32 v21, 0, v22, vcc_lo
.LBB6_3757:                             ;   in Loop: Header=BB6_3759 Depth=2
	s_or_b32 exec_lo, exec_lo, s28
.LBB6_3758:                             ;   in Loop: Header=BB6_3759 Depth=2
	s_delay_alu instid0(SALU_CYCLE_1)
	s_or_b32 exec_lo, exec_lo, s27
	v_add_co_u32 v39, vcc_lo, 0xfffffc20, v14
	v_add_co_ci_u32_e32 v40, vcc_lo, -1, v15, vcc_lo
	v_add_co_u32 v22, vcc_lo, 0xfffffc40, v14
	v_sub_nc_u32_e32 v19, v19, v115
	flat_store_b8 v[39:40], v23 glc slc dlc
	v_add_co_ci_u32_e32 v23, vcc_lo, -1, v15, vcc_lo
	v_add_co_u32 v39, vcc_lo, 0xfffffc60, v14
	v_add_co_ci_u32_e32 v40, vcc_lo, -1, v15, vcc_lo
	v_add_co_u32 v41, vcc_lo, 0xfffffc80, v14
	v_add_co_ci_u32_e32 v42, vcc_lo, -1, v15, vcc_lo
	v_add_co_u32 v43, vcc_lo, 0xfffffca0, v14
	v_add_co_ci_u32_e32 v44, vcc_lo, -1, v15, vcc_lo
	v_add_co_u32 v45, vcc_lo, 0xfffffcc0, v14
	v_add_co_ci_u32_e32 v46, vcc_lo, -1, v15, vcc_lo
	flat_store_b8 v[22:23], v26 glc slc dlc
	flat_store_b8 v[39:40], v29 glc slc dlc
	flat_store_b8 v[41:42], v34 glc slc dlc
	flat_store_b8 v[43:44], v37 glc slc dlc
	flat_store_b8 v[45:46], v48 glc slc dlc
	v_add_co_u32 v22, vcc_lo, 0xfffffce0, v14
	v_add_co_ci_u32_e32 v23, vcc_lo, -1, v15, vcc_lo
	v_add_co_u32 v25, vcc_lo, 0xfffffd00, v14
	v_add_co_ci_u32_e32 v26, vcc_lo, -1, v15, vcc_lo
	v_add_co_u32 v28, vcc_lo, 0xfffffd20, v14
	v_add_co_ci_u32_e32 v29, vcc_lo, -1, v15, vcc_lo
	v_add_co_u32 v33, vcc_lo, 0xfffffd40, v14
	v_add_co_ci_u32_e32 v34, vcc_lo, -1, v15, vcc_lo
	v_add_co_u32 v36, vcc_lo, 0xfffffd60, v14
	v_add_co_ci_u32_e32 v37, vcc_lo, -1, v15, vcc_lo
	flat_store_b8 v[22:23], v51 glc slc dlc
	flat_store_b8 v[25:26], v99 glc slc dlc
	flat_store_b8 v[28:29], v102 glc slc dlc
	flat_store_b8 v[33:34], v148 glc slc dlc
	flat_store_b8 v[36:37], v151 glc slc dlc
	v_add_co_u32 v22, vcc_lo, 0xfffffd80, v14
	;; [unrolled: 15-line block ×5, first 2 shown]
	v_add_co_ci_u32_e32 v23, vcc_lo, -1, v15, vcc_lo
	v_add_co_u32 v25, vcc_lo, 0xffffff80, v14
	v_add_co_ci_u32_e32 v26, vcc_lo, -1, v15, vcc_lo
	v_add_co_u32 v28, vcc_lo, 0xffffffa0, v14
	;; [unrolled: 2-line block ×5, first 2 shown]
	v_add_co_ci_u32_e32 v11, vcc_lo, v11, v135, vcc_lo
	v_add_co_u32 v12, vcc_lo, v12, v134
	v_add_co_ci_u32_e32 v13, vcc_lo, v13, v135, vcc_lo
	flat_store_b8 v[22:23], v38 glc slc dlc
	flat_store_b8 v[25:26], v35 glc slc dlc
	;; [unrolled: 1-line block ×6, first 2 shown]
	v_cmp_gt_i32_e32 vcc_lo, 1, v19
	v_add_co_u32 v14, s11, v14, v134
	s_delay_alu instid0(VALU_DEP_1) | instskip(SKIP_1) | instid1(SALU_CYCLE_1)
	v_add_co_ci_u32_e64 v15, s11, v15, v135, s11
	s_or_b32 s26, vcc_lo, s26
	s_and_not1_b32 exec_lo, exec_lo, s26
	s_cbranch_execz .LBB6_5197
.LBB6_3759:                             ;   Parent Loop BB6_53 Depth=1
                                        ; =>  This Inner Loop Header: Depth=2
	s_clause 0x1f
	flat_load_u8 v62, v[10:11] slc dlc
	flat_load_u8 v61, v[10:11] offset:32 slc dlc
	flat_load_u8 v60, v[10:11] offset:64 slc dlc
	;; [unrolled: 1-line block ×31, first 2 shown]
	s_clause 0x1f
	flat_load_u8 v23, v[12:13] slc dlc
	flat_load_u8 v26, v[12:13] offset:32 slc dlc
	flat_load_u8 v29, v[12:13] offset:64 slc dlc
	;; [unrolled: 1-line block ×31, first 2 shown]
	s_and_b32 vcc_lo, exec_lo, s25
	s_cbranch_vccz .LBB6_3769
; %bb.3760:                             ;   in Loop: Header=BB6_3759 Depth=2
	s_waitcnt vmcnt(62) lgkmcnt(62)
	v_and_b32_e32 v72, 0xff, v62
	s_mov_b32 s11, 0
	s_mov_b32 s28, exec_lo
                                        ; implicit-def: $sgpr27
	s_delay_alu instid0(VALU_DEP_1)
	v_cmpx_lt_i16_e32 0x7f, v72
	s_xor_b32 s28, exec_lo, s28
	s_cbranch_execnz .LBB6_4685
; %bb.3761:                             ;   in Loop: Header=BB6_3759 Depth=2
	s_or_saveexec_b32 s28, s28
	v_mov_b32_e32 v63, s27
	s_xor_b32 exec_lo, exec_lo, s28
	s_cbranch_execnz .LBB6_4688
.LBB6_3762:                             ;   in Loop: Header=BB6_3759 Depth=2
	s_or_b32 exec_lo, exec_lo, s28
	s_and_saveexec_b32 s27, s11
	s_cbranch_execz .LBB6_3764
.LBB6_3763:                             ;   in Loop: Header=BB6_3759 Depth=2
	v_lshrrev_b16 v74, 3, v62
	v_lshlrev_b32_e32 v75, 24, v62
	s_delay_alu instid0(VALU_DEP_2) | instskip(NEXT) | instid1(VALU_DEP_1)
	v_and_b32_e32 v74, 15, v74
	v_cmp_eq_u32_e32 vcc_lo, 0, v74
	v_and_b32_e32 v63, 7, v62
	s_delay_alu instid0(VALU_DEP_1) | instskip(NEXT) | instid1(VALU_DEP_1)
	v_clz_i32_u32_e32 v72, v63
	v_min_u32_e32 v72, 32, v72
	s_delay_alu instid0(VALU_DEP_1) | instskip(SKIP_1) | instid1(VALU_DEP_1)
	v_subrev_nc_u32_e32 v73, 28, v72
	v_sub_nc_u32_e32 v72, 29, v72
	v_dual_cndmask_b32 v72, v74, v72 :: v_dual_lshlrev_b32 v73, v73, v62
	s_delay_alu instid0(VALU_DEP_1) | instskip(NEXT) | instid1(VALU_DEP_2)
	v_and_b32_e32 v73, 7, v73
	v_lshl_add_u32 v72, v72, 23, 0x3b800000
	s_delay_alu instid0(VALU_DEP_2) | instskip(SKIP_1) | instid1(VALU_DEP_2)
	v_cndmask_b32_e32 v63, v63, v73, vcc_lo
	v_and_b32_e32 v73, 0x80000000, v75
	v_lshlrev_b32_e32 v63, 20, v63
	s_delay_alu instid0(VALU_DEP_1)
	v_or3_b32 v63, v73, v72, v63
.LBB6_3764:                             ;   in Loop: Header=BB6_3759 Depth=2
	s_or_b32 exec_lo, exec_lo, s27
	s_waitcnt vmcnt(31) lgkmcnt(31)
	v_and_b32_e32 v73, 0xff, v23
	s_mov_b32 s11, 0
	s_mov_b32 s28, exec_lo
                                        ; implicit-def: $sgpr27
	s_delay_alu instid0(VALU_DEP_1)
	v_cmpx_lt_i16_e32 0x7f, v73
	s_xor_b32 s28, exec_lo, s28
	s_cbranch_execnz .LBB6_4689
; %bb.3765:                             ;   in Loop: Header=BB6_3759 Depth=2
	s_or_saveexec_b32 s28, s28
	v_mov_b32_e32 v72, s27
	s_xor_b32 exec_lo, exec_lo, s28
	s_cbranch_execnz .LBB6_4692
.LBB6_3766:                             ;   in Loop: Header=BB6_3759 Depth=2
	s_or_b32 exec_lo, exec_lo, s28
	s_and_saveexec_b32 s27, s11
	s_cbranch_execz .LBB6_3768
.LBB6_3767:                             ;   in Loop: Header=BB6_3759 Depth=2
	v_lshrrev_b16 v75, 3, v23
	v_lshlrev_b32_e32 v76, 24, v23
	s_delay_alu instid0(VALU_DEP_2) | instskip(NEXT) | instid1(VALU_DEP_1)
	v_and_b32_e32 v75, 15, v75
	v_cmp_eq_u32_e32 vcc_lo, 0, v75
	v_and_b32_e32 v72, 7, v23
	s_delay_alu instid0(VALU_DEP_1) | instskip(NEXT) | instid1(VALU_DEP_1)
	v_clz_i32_u32_e32 v73, v72
	v_min_u32_e32 v73, 32, v73
	s_delay_alu instid0(VALU_DEP_1) | instskip(SKIP_1) | instid1(VALU_DEP_1)
	v_subrev_nc_u32_e32 v74, 28, v73
	v_sub_nc_u32_e32 v73, 29, v73
	v_dual_cndmask_b32 v73, v75, v73 :: v_dual_lshlrev_b32 v74, v74, v23
	s_delay_alu instid0(VALU_DEP_1) | instskip(NEXT) | instid1(VALU_DEP_2)
	v_and_b32_e32 v74, 7, v74
	v_lshl_add_u32 v73, v73, 23, 0x3b800000
	s_delay_alu instid0(VALU_DEP_2) | instskip(SKIP_1) | instid1(VALU_DEP_2)
	v_cndmask_b32_e32 v72, v72, v74, vcc_lo
	v_and_b32_e32 v74, 0x80000000, v76
	v_lshlrev_b32_e32 v72, 20, v72
	s_delay_alu instid0(VALU_DEP_1)
	v_or3_b32 v72, v74, v73, v72
.LBB6_3768:                             ;   in Loop: Header=BB6_3759 Depth=2
	s_or_b32 exec_lo, exec_lo, s27
	s_delay_alu instid0(VALU_DEP_1) | instskip(SKIP_1) | instid1(VALU_DEP_1)
	v_dual_max_f32 v72, v72, v72 :: v_dual_max_f32 v63, v63, v63
	s_mov_b32 s11, 0
	v_max_f32_e32 v63, v63, v72
	s_branch .LBB6_3770
.LBB6_3769:                             ;   in Loop: Header=BB6_3759 Depth=2
	s_mov_b32 s11, -1
                                        ; implicit-def: $vgpr63
.LBB6_3770:                             ;   in Loop: Header=BB6_3759 Depth=2
	s_delay_alu instid0(SALU_CYCLE_1)
	s_and_b32 vcc_lo, exec_lo, s11
	s_cbranch_vccz .LBB6_3780
; %bb.3771:                             ;   in Loop: Header=BB6_3759 Depth=2
	s_waitcnt vmcnt(62) lgkmcnt(62)
	v_and_b32_e32 v72, 0xff, v62
	s_mov_b32 s11, 0
	s_mov_b32 s28, exec_lo
                                        ; implicit-def: $sgpr27
	s_delay_alu instid0(VALU_DEP_1)
	v_cmpx_lt_i16_e32 0x7f, v72
	s_xor_b32 s28, exec_lo, s28
	s_cbranch_execnz .LBB6_4693
; %bb.3772:                             ;   in Loop: Header=BB6_3759 Depth=2
	s_or_saveexec_b32 s28, s28
	v_mov_b32_e32 v63, s27
	s_xor_b32 exec_lo, exec_lo, s28
	s_cbranch_execnz .LBB6_4696
.LBB6_3773:                             ;   in Loop: Header=BB6_3759 Depth=2
	s_or_b32 exec_lo, exec_lo, s28
	s_and_saveexec_b32 s27, s11
	s_cbranch_execz .LBB6_3775
.LBB6_3774:                             ;   in Loop: Header=BB6_3759 Depth=2
	v_lshrrev_b16 v74, 3, v62
	s_delay_alu instid0(VALU_DEP_1) | instskip(NEXT) | instid1(VALU_DEP_1)
	v_and_b32_e32 v74, 15, v74
	v_cmp_eq_u32_e32 vcc_lo, 0, v74
	v_and_b32_e32 v63, 7, v62
	s_delay_alu instid0(VALU_DEP_1) | instskip(NEXT) | instid1(VALU_DEP_1)
	v_clz_i32_u32_e32 v72, v63
	v_min_u32_e32 v72, 32, v72
	s_delay_alu instid0(VALU_DEP_1) | instskip(SKIP_1) | instid1(VALU_DEP_1)
	v_subrev_nc_u32_e32 v73, 28, v72
	v_sub_nc_u32_e32 v72, 29, v72
	v_dual_cndmask_b32 v72, v74, v72 :: v_dual_lshlrev_b32 v73, v73, v62
	v_lshlrev_b32_e32 v62, 24, v62
	s_delay_alu instid0(VALU_DEP_2) | instskip(NEXT) | instid1(VALU_DEP_3)
	v_and_b32_e32 v73, 7, v73
	v_lshl_add_u32 v72, v72, 23, 0x3b800000
	s_delay_alu instid0(VALU_DEP_2) | instskip(NEXT) | instid1(VALU_DEP_1)
	v_dual_cndmask_b32 v63, v63, v73 :: v_dual_and_b32 v62, 0x80000000, v62
	v_lshlrev_b32_e32 v63, 20, v63
	s_delay_alu instid0(VALU_DEP_1)
	v_or3_b32 v63, v62, v72, v63
.LBB6_3775:                             ;   in Loop: Header=BB6_3759 Depth=2
	s_or_b32 exec_lo, exec_lo, s27
	s_waitcnt vmcnt(31) lgkmcnt(31)
	v_and_b32_e32 v72, 0xff, v23
	s_mov_b32 s11, 0
	s_mov_b32 s28, exec_lo
                                        ; implicit-def: $sgpr27
	s_delay_alu instid0(VALU_DEP_1)
	v_cmpx_lt_i16_e32 0x7f, v72
	s_xor_b32 s28, exec_lo, s28
	s_cbranch_execnz .LBB6_4697
; %bb.3776:                             ;   in Loop: Header=BB6_3759 Depth=2
	s_or_saveexec_b32 s28, s28
	v_mov_b32_e32 v62, s27
	s_xor_b32 exec_lo, exec_lo, s28
	s_cbranch_execnz .LBB6_4700
.LBB6_3777:                             ;   in Loop: Header=BB6_3759 Depth=2
	s_or_b32 exec_lo, exec_lo, s28
	s_and_saveexec_b32 s27, s11
	s_cbranch_execz .LBB6_3779
.LBB6_3778:                             ;   in Loop: Header=BB6_3759 Depth=2
	v_and_b32_e32 v62, 7, v23
	v_lshrrev_b16 v74, 3, v23
	s_delay_alu instid0(VALU_DEP_2) | instskip(NEXT) | instid1(VALU_DEP_2)
	v_clz_i32_u32_e32 v72, v62
	v_and_b32_e32 v74, 15, v74
	s_delay_alu instid0(VALU_DEP_2) | instskip(NEXT) | instid1(VALU_DEP_2)
	v_min_u32_e32 v72, 32, v72
	v_cmp_eq_u32_e32 vcc_lo, 0, v74
	s_delay_alu instid0(VALU_DEP_2) | instskip(SKIP_1) | instid1(VALU_DEP_1)
	v_subrev_nc_u32_e32 v73, 28, v72
	v_sub_nc_u32_e32 v72, 29, v72
	v_dual_cndmask_b32 v72, v74, v72 :: v_dual_lshlrev_b32 v73, v73, v23
	s_delay_alu instid0(VALU_DEP_1) | instskip(SKIP_1) | instid1(VALU_DEP_3)
	v_and_b32_e32 v73, 7, v73
	v_lshlrev_b32_e32 v23, 24, v23
	v_lshl_add_u32 v72, v72, 23, 0x3b800000
	s_delay_alu instid0(VALU_DEP_2) | instskip(NEXT) | instid1(VALU_DEP_1)
	v_dual_cndmask_b32 v62, v62, v73 :: v_dual_and_b32 v23, 0x80000000, v23
	v_lshlrev_b32_e32 v62, 20, v62
	s_delay_alu instid0(VALU_DEP_1)
	v_or3_b32 v62, v23, v72, v62
.LBB6_3779:                             ;   in Loop: Header=BB6_3759 Depth=2
	s_or_b32 exec_lo, exec_lo, s27
	s_delay_alu instid0(VALU_DEP_1) | instskip(NEXT) | instid1(VALU_DEP_1)
	v_dual_max_f32 v23, v62, v62 :: v_dual_max_f32 v62, v63, v63
	v_min_f32_e32 v63, v62, v23
.LBB6_3780:                             ;   in Loop: Header=BB6_3759 Depth=2
	s_waitcnt vmcnt(31) lgkmcnt(31)
	s_delay_alu instid0(VALU_DEP_1) | instskip(NEXT) | instid1(VALU_DEP_1)
	v_and_b32_e32 v23, 0x7f800000, v63
	v_cmp_ne_u32_e32 vcc_lo, 0x7f800000, v23
	v_mov_b32_e32 v23, 0x80
	s_and_saveexec_b32 s27, vcc_lo
	s_cbranch_execz .LBB6_3788
; %bb.3781:                             ;   in Loop: Header=BB6_3759 Depth=2
	v_mov_b32_e32 v23, 0
	s_mov_b32 s28, exec_lo
	v_cmpx_ne_u32_e32 0, v63
	s_cbranch_execz .LBB6_3787
; %bb.3782:                             ;   in Loop: Header=BB6_3759 Depth=2
	v_bfe_u32 v23, v63, 23, 8
	v_and_b32_e32 v62, 0x7fffff, v63
	s_delay_alu instid0(VALU_DEP_2) | instskip(SKIP_1) | instid1(VALU_DEP_3)
	v_sub_nc_u32_e32 v72, 0x78, v23
	v_cmp_gt_u32_e32 vcc_lo, 0x79, v23
	v_or_b32_e32 v73, 0x800000, v62
	s_delay_alu instid0(VALU_DEP_3) | instskip(SKIP_2) | instid1(VALU_DEP_3)
	v_cndmask_b32_e32 v72, 0, v72, vcc_lo
	v_cmp_eq_u32_e32 vcc_lo, 0, v23
	v_add_nc_u32_e32 v23, 0xffffff89, v23
	v_cndmask_b32_e64 v72, v72, 0x77, vcc_lo
	v_cndmask_b32_e32 v62, v73, v62, vcc_lo
	s_delay_alu instid0(VALU_DEP_3) | instskip(NEXT) | instid1(VALU_DEP_3)
	v_cndmask_b32_e64 v23, v23, 0xffffff8a, vcc_lo
	v_lshl_add_u32 v73, 0x100000, v72, -1
	s_delay_alu instid0(VALU_DEP_3) | instskip(SKIP_1) | instid1(VALU_DEP_4)
	v_lshrrev_b32_e32 v74, v72, v62
	v_lshlrev_b32_e64 v76, v72, 0x80000
	v_add_nc_u32_e32 v72, v72, v23
	s_delay_alu instid0(VALU_DEP_4) | instskip(NEXT) | instid1(VALU_DEP_4)
	v_and_b32_e32 v62, v73, v62
	v_bfe_u32 v75, v74, 20, 1
	s_delay_alu instid0(VALU_DEP_2) | instskip(NEXT) | instid1(VALU_DEP_2)
	v_cmp_eq_u32_e64 s11, v62, v76
	v_add_nc_u32_e32 v73, -1, v75
	s_delay_alu instid0(VALU_DEP_1) | instskip(SKIP_2) | instid1(VALU_DEP_2)
	v_cndmask_b32_e64 v62, 0, v73, s11
	v_lshrrev_b32_e32 v73, 23, v74
	s_mov_b32 s11, exec_lo
	v_add_nc_u32_e32 v62, v62, v74
	s_delay_alu instid0(VALU_DEP_2) | instskip(NEXT) | instid1(VALU_DEP_2)
	v_xor_b32_e32 v73, 1, v73
	v_and_b32_e32 v23, 0xfffff, v62
	s_delay_alu instid0(VALU_DEP_1) | instskip(NEXT) | instid1(VALU_DEP_3)
	v_add_nc_u32_e32 v62, v23, v74
                                        ; implicit-def: $vgpr23
	v_cmpx_ne_u32_e64 v72, v73
	s_xor_b32 s11, exec_lo, s11
; %bb.3783:                             ;   in Loop: Header=BB6_3759 Depth=2
	s_delay_alu instid0(VALU_DEP_2) | instskip(SKIP_2) | instid1(VALU_DEP_2)
	v_cmp_lt_u32_e32 vcc_lo, 0xffffff, v62
	v_sub_nc_u32_e32 v23, v72, v73
	v_cndmask_b32_e64 v72, 0, 1, vcc_lo
	v_add_co_ci_u32_e32 v23, vcc_lo, 0, v23, vcc_lo
	s_delay_alu instid0(VALU_DEP_2)
	v_lshrrev_b32_e32 v62, v72, v62
; %bb.3784:                             ;   in Loop: Header=BB6_3759 Depth=2
	s_and_not1_saveexec_b32 s11, s11
; %bb.3785:                             ;   in Loop: Header=BB6_3759 Depth=2
	s_delay_alu instid0(VALU_DEP_1)
	v_bfe_u32 v23, v62, 23, 1
; %bb.3786:                             ;   in Loop: Header=BB6_3759 Depth=2
	s_or_b32 exec_lo, exec_lo, s11
	v_lshrrev_b32_e32 v62, 20, v62
	s_delay_alu instid0(VALU_DEP_2) | instskip(SKIP_2) | instid1(VALU_DEP_2)
	v_cmp_gt_i32_e32 vcc_lo, 16, v23
	v_lshrrev_b32_e32 v63, 24, v63
	v_min_i32_e32 v72, 15, v23
	v_dual_cndmask_b32 v62, 7, v62 :: v_dual_and_b32 v63, 0x80, v63
	s_delay_alu instid0(VALU_DEP_1) | instskip(SKIP_1) | instid1(VALU_DEP_2)
	v_or_b32_e32 v23, v23, v62
	v_and_b32_e32 v73, 7, v62
	v_cmp_ne_u32_e32 vcc_lo, 0, v23
	v_lshlrev_b32_e32 v72, 3, v72
	s_delay_alu instid0(VALU_DEP_1) | instskip(NEXT) | instid1(VALU_DEP_1)
	v_or3_b32 v62, v72, v63, v73
	v_cndmask_b32_e32 v23, 0, v62, vcc_lo
.LBB6_3787:                             ;   in Loop: Header=BB6_3759 Depth=2
	s_or_b32 exec_lo, exec_lo, s28
.LBB6_3788:                             ;   in Loop: Header=BB6_3759 Depth=2
	s_delay_alu instid0(SALU_CYCLE_1) | instskip(NEXT) | instid1(SALU_CYCLE_1)
	s_or_b32 exec_lo, exec_lo, s27
	s_and_not1_b32 vcc_lo, exec_lo, s25
	s_cbranch_vccnz .LBB6_3798
; %bb.3789:                             ;   in Loop: Header=BB6_3759 Depth=2
	v_and_b32_e32 v63, 0xff, v61
	s_mov_b32 s11, 0
	s_mov_b32 s28, exec_lo
                                        ; implicit-def: $sgpr27
	s_delay_alu instid0(VALU_DEP_1)
	v_cmpx_lt_i16_e32 0x7f, v63
	s_xor_b32 s28, exec_lo, s28
	s_cbranch_execnz .LBB6_4701
; %bb.3790:                             ;   in Loop: Header=BB6_3759 Depth=2
	s_or_saveexec_b32 s28, s28
	v_mov_b32_e32 v62, s27
	s_xor_b32 exec_lo, exec_lo, s28
	s_cbranch_execnz .LBB6_4704
.LBB6_3791:                             ;   in Loop: Header=BB6_3759 Depth=2
	s_or_b32 exec_lo, exec_lo, s28
	s_and_saveexec_b32 s27, s11
	s_cbranch_execz .LBB6_3793
.LBB6_3792:                             ;   in Loop: Header=BB6_3759 Depth=2
	v_lshrrev_b16 v73, 3, v61
	v_lshlrev_b32_e32 v74, 24, v61
	s_delay_alu instid0(VALU_DEP_2) | instskip(NEXT) | instid1(VALU_DEP_1)
	v_and_b32_e32 v73, 15, v73
	v_cmp_eq_u32_e32 vcc_lo, 0, v73
	v_and_b32_e32 v62, 7, v61
	s_delay_alu instid0(VALU_DEP_1) | instskip(NEXT) | instid1(VALU_DEP_1)
	v_clz_i32_u32_e32 v63, v62
	v_min_u32_e32 v63, 32, v63
	s_delay_alu instid0(VALU_DEP_1) | instskip(SKIP_1) | instid1(VALU_DEP_1)
	v_subrev_nc_u32_e32 v72, 28, v63
	v_sub_nc_u32_e32 v63, 29, v63
	v_dual_cndmask_b32 v63, v73, v63 :: v_dual_lshlrev_b32 v72, v72, v61
	s_delay_alu instid0(VALU_DEP_1) | instskip(NEXT) | instid1(VALU_DEP_2)
	v_and_b32_e32 v72, 7, v72
	v_lshl_add_u32 v63, v63, 23, 0x3b800000
	s_delay_alu instid0(VALU_DEP_2) | instskip(SKIP_1) | instid1(VALU_DEP_2)
	v_cndmask_b32_e32 v62, v62, v72, vcc_lo
	v_and_b32_e32 v72, 0x80000000, v74
	v_lshlrev_b32_e32 v62, 20, v62
	s_delay_alu instid0(VALU_DEP_1)
	v_or3_b32 v62, v72, v63, v62
.LBB6_3793:                             ;   in Loop: Header=BB6_3759 Depth=2
	s_or_b32 exec_lo, exec_lo, s27
	s_waitcnt vmcnt(30) lgkmcnt(30)
	v_and_b32_e32 v72, 0xff, v26
	s_mov_b32 s11, 0
	s_mov_b32 s28, exec_lo
                                        ; implicit-def: $sgpr27
	s_delay_alu instid0(VALU_DEP_1)
	v_cmpx_lt_i16_e32 0x7f, v72
	s_xor_b32 s28, exec_lo, s28
	s_cbranch_execnz .LBB6_4705
; %bb.3794:                             ;   in Loop: Header=BB6_3759 Depth=2
	s_or_saveexec_b32 s28, s28
	v_mov_b32_e32 v63, s27
	s_xor_b32 exec_lo, exec_lo, s28
	s_cbranch_execnz .LBB6_4708
.LBB6_3795:                             ;   in Loop: Header=BB6_3759 Depth=2
	s_or_b32 exec_lo, exec_lo, s28
	s_and_saveexec_b32 s27, s11
	s_cbranch_execz .LBB6_3797
.LBB6_3796:                             ;   in Loop: Header=BB6_3759 Depth=2
	v_lshrrev_b16 v74, 3, v26
	v_lshlrev_b32_e32 v75, 24, v26
	s_delay_alu instid0(VALU_DEP_2) | instskip(NEXT) | instid1(VALU_DEP_1)
	v_and_b32_e32 v74, 15, v74
	v_cmp_eq_u32_e32 vcc_lo, 0, v74
	v_and_b32_e32 v63, 7, v26
	s_delay_alu instid0(VALU_DEP_1) | instskip(NEXT) | instid1(VALU_DEP_1)
	v_clz_i32_u32_e32 v72, v63
	v_min_u32_e32 v72, 32, v72
	s_delay_alu instid0(VALU_DEP_1) | instskip(SKIP_1) | instid1(VALU_DEP_1)
	v_subrev_nc_u32_e32 v73, 28, v72
	v_sub_nc_u32_e32 v72, 29, v72
	v_dual_cndmask_b32 v72, v74, v72 :: v_dual_lshlrev_b32 v73, v73, v26
	s_delay_alu instid0(VALU_DEP_1) | instskip(NEXT) | instid1(VALU_DEP_2)
	v_and_b32_e32 v73, 7, v73
	v_lshl_add_u32 v72, v72, 23, 0x3b800000
	s_delay_alu instid0(VALU_DEP_2) | instskip(SKIP_1) | instid1(VALU_DEP_2)
	v_cndmask_b32_e32 v63, v63, v73, vcc_lo
	v_and_b32_e32 v73, 0x80000000, v75
	v_lshlrev_b32_e32 v63, 20, v63
	s_delay_alu instid0(VALU_DEP_1)
	v_or3_b32 v63, v73, v72, v63
.LBB6_3797:                             ;   in Loop: Header=BB6_3759 Depth=2
	s_or_b32 exec_lo, exec_lo, s27
	s_delay_alu instid0(VALU_DEP_1) | instskip(SKIP_1) | instid1(VALU_DEP_1)
	v_dual_max_f32 v63, v63, v63 :: v_dual_max_f32 v62, v62, v62
	s_mov_b32 s11, 0
	v_max_f32_e32 v62, v62, v63
	s_branch .LBB6_3799
.LBB6_3798:                             ;   in Loop: Header=BB6_3759 Depth=2
	s_mov_b32 s11, -1
                                        ; implicit-def: $vgpr62
.LBB6_3799:                             ;   in Loop: Header=BB6_3759 Depth=2
	s_delay_alu instid0(SALU_CYCLE_1)
	s_and_b32 vcc_lo, exec_lo, s11
	s_cbranch_vccz .LBB6_3809
; %bb.3800:                             ;   in Loop: Header=BB6_3759 Depth=2
	v_and_b32_e32 v63, 0xff, v61
	s_mov_b32 s11, 0
	s_mov_b32 s28, exec_lo
                                        ; implicit-def: $sgpr27
	s_delay_alu instid0(VALU_DEP_1)
	v_cmpx_lt_i16_e32 0x7f, v63
	s_xor_b32 s28, exec_lo, s28
	s_cbranch_execnz .LBB6_4709
; %bb.3801:                             ;   in Loop: Header=BB6_3759 Depth=2
	s_or_saveexec_b32 s28, s28
	v_mov_b32_e32 v62, s27
	s_xor_b32 exec_lo, exec_lo, s28
	s_cbranch_execnz .LBB6_4712
.LBB6_3802:                             ;   in Loop: Header=BB6_3759 Depth=2
	s_or_b32 exec_lo, exec_lo, s28
	s_and_saveexec_b32 s27, s11
	s_cbranch_execz .LBB6_3804
.LBB6_3803:                             ;   in Loop: Header=BB6_3759 Depth=2
	v_lshrrev_b16 v73, 3, v61
	s_delay_alu instid0(VALU_DEP_1) | instskip(NEXT) | instid1(VALU_DEP_1)
	v_and_b32_e32 v73, 15, v73
	v_cmp_eq_u32_e32 vcc_lo, 0, v73
	v_and_b32_e32 v62, 7, v61
	s_delay_alu instid0(VALU_DEP_1) | instskip(NEXT) | instid1(VALU_DEP_1)
	v_clz_i32_u32_e32 v63, v62
	v_min_u32_e32 v63, 32, v63
	s_delay_alu instid0(VALU_DEP_1) | instskip(SKIP_1) | instid1(VALU_DEP_1)
	v_subrev_nc_u32_e32 v72, 28, v63
	v_sub_nc_u32_e32 v63, 29, v63
	v_dual_cndmask_b32 v63, v73, v63 :: v_dual_lshlrev_b32 v72, v72, v61
	v_lshlrev_b32_e32 v61, 24, v61
	s_delay_alu instid0(VALU_DEP_2) | instskip(NEXT) | instid1(VALU_DEP_3)
	v_and_b32_e32 v72, 7, v72
	v_lshl_add_u32 v63, v63, 23, 0x3b800000
	s_delay_alu instid0(VALU_DEP_2) | instskip(NEXT) | instid1(VALU_DEP_1)
	v_dual_cndmask_b32 v62, v62, v72 :: v_dual_and_b32 v61, 0x80000000, v61
	v_lshlrev_b32_e32 v62, 20, v62
	s_delay_alu instid0(VALU_DEP_1)
	v_or3_b32 v62, v61, v63, v62
.LBB6_3804:                             ;   in Loop: Header=BB6_3759 Depth=2
	s_or_b32 exec_lo, exec_lo, s27
	s_waitcnt vmcnt(30) lgkmcnt(30)
	v_and_b32_e32 v63, 0xff, v26
	s_mov_b32 s11, 0
	s_mov_b32 s28, exec_lo
                                        ; implicit-def: $sgpr27
	s_delay_alu instid0(VALU_DEP_1)
	v_cmpx_lt_i16_e32 0x7f, v63
	s_xor_b32 s28, exec_lo, s28
	s_cbranch_execnz .LBB6_4713
; %bb.3805:                             ;   in Loop: Header=BB6_3759 Depth=2
	s_or_saveexec_b32 s28, s28
	v_mov_b32_e32 v61, s27
	s_xor_b32 exec_lo, exec_lo, s28
	s_cbranch_execnz .LBB6_4716
.LBB6_3806:                             ;   in Loop: Header=BB6_3759 Depth=2
	s_or_b32 exec_lo, exec_lo, s28
	s_and_saveexec_b32 s27, s11
	s_cbranch_execz .LBB6_3808
.LBB6_3807:                             ;   in Loop: Header=BB6_3759 Depth=2
	v_and_b32_e32 v61, 7, v26
	v_lshrrev_b16 v73, 3, v26
	s_delay_alu instid0(VALU_DEP_2) | instskip(NEXT) | instid1(VALU_DEP_2)
	v_clz_i32_u32_e32 v63, v61
	v_and_b32_e32 v73, 15, v73
	s_delay_alu instid0(VALU_DEP_2) | instskip(NEXT) | instid1(VALU_DEP_2)
	v_min_u32_e32 v63, 32, v63
	v_cmp_eq_u32_e32 vcc_lo, 0, v73
	s_delay_alu instid0(VALU_DEP_2) | instskip(SKIP_1) | instid1(VALU_DEP_1)
	v_subrev_nc_u32_e32 v72, 28, v63
	v_sub_nc_u32_e32 v63, 29, v63
	v_dual_cndmask_b32 v63, v73, v63 :: v_dual_lshlrev_b32 v72, v72, v26
	s_delay_alu instid0(VALU_DEP_1) | instskip(SKIP_1) | instid1(VALU_DEP_3)
	v_and_b32_e32 v72, 7, v72
	v_lshlrev_b32_e32 v26, 24, v26
	v_lshl_add_u32 v63, v63, 23, 0x3b800000
	s_delay_alu instid0(VALU_DEP_2) | instskip(NEXT) | instid1(VALU_DEP_1)
	v_dual_cndmask_b32 v61, v61, v72 :: v_dual_and_b32 v26, 0x80000000, v26
	v_lshlrev_b32_e32 v61, 20, v61
	s_delay_alu instid0(VALU_DEP_1)
	v_or3_b32 v61, v26, v63, v61
.LBB6_3808:                             ;   in Loop: Header=BB6_3759 Depth=2
	s_or_b32 exec_lo, exec_lo, s27
	s_delay_alu instid0(VALU_DEP_1) | instskip(NEXT) | instid1(VALU_DEP_1)
	v_dual_max_f32 v26, v61, v61 :: v_dual_max_f32 v61, v62, v62
	v_min_f32_e32 v62, v61, v26
.LBB6_3809:                             ;   in Loop: Header=BB6_3759 Depth=2
	s_waitcnt vmcnt(30) lgkmcnt(30)
	s_delay_alu instid0(VALU_DEP_1) | instskip(NEXT) | instid1(VALU_DEP_1)
	v_and_b32_e32 v26, 0x7f800000, v62
	v_cmp_ne_u32_e32 vcc_lo, 0x7f800000, v26
	v_mov_b32_e32 v26, 0x80
	s_and_saveexec_b32 s27, vcc_lo
	s_cbranch_execz .LBB6_3817
; %bb.3810:                             ;   in Loop: Header=BB6_3759 Depth=2
	v_mov_b32_e32 v26, 0
	s_mov_b32 s28, exec_lo
	v_cmpx_ne_u32_e32 0, v62
	s_cbranch_execz .LBB6_3816
; %bb.3811:                             ;   in Loop: Header=BB6_3759 Depth=2
	v_bfe_u32 v26, v62, 23, 8
	v_and_b32_e32 v61, 0x7fffff, v62
	s_delay_alu instid0(VALU_DEP_2) | instskip(SKIP_1) | instid1(VALU_DEP_3)
	v_sub_nc_u32_e32 v63, 0x78, v26
	v_cmp_gt_u32_e32 vcc_lo, 0x79, v26
	v_or_b32_e32 v72, 0x800000, v61
	s_delay_alu instid0(VALU_DEP_3) | instskip(SKIP_2) | instid1(VALU_DEP_3)
	v_cndmask_b32_e32 v63, 0, v63, vcc_lo
	v_cmp_eq_u32_e32 vcc_lo, 0, v26
	v_add_nc_u32_e32 v26, 0xffffff89, v26
	v_cndmask_b32_e64 v63, v63, 0x77, vcc_lo
	v_cndmask_b32_e32 v61, v72, v61, vcc_lo
	s_delay_alu instid0(VALU_DEP_3) | instskip(NEXT) | instid1(VALU_DEP_3)
	v_cndmask_b32_e64 v26, v26, 0xffffff8a, vcc_lo
	v_lshl_add_u32 v72, 0x100000, v63, -1
	s_delay_alu instid0(VALU_DEP_3) | instskip(SKIP_1) | instid1(VALU_DEP_4)
	v_lshrrev_b32_e32 v73, v63, v61
	v_lshlrev_b32_e64 v75, v63, 0x80000
	v_add_nc_u32_e32 v63, v63, v26
	s_delay_alu instid0(VALU_DEP_4) | instskip(NEXT) | instid1(VALU_DEP_4)
	v_and_b32_e32 v61, v72, v61
	v_bfe_u32 v74, v73, 20, 1
	s_delay_alu instid0(VALU_DEP_2) | instskip(NEXT) | instid1(VALU_DEP_2)
	v_cmp_eq_u32_e64 s11, v61, v75
	v_add_nc_u32_e32 v72, -1, v74
	s_delay_alu instid0(VALU_DEP_1) | instskip(SKIP_2) | instid1(VALU_DEP_2)
	v_cndmask_b32_e64 v61, 0, v72, s11
	v_lshrrev_b32_e32 v72, 23, v73
	s_mov_b32 s11, exec_lo
	v_add_nc_u32_e32 v61, v61, v73
	s_delay_alu instid0(VALU_DEP_2) | instskip(NEXT) | instid1(VALU_DEP_2)
	v_xor_b32_e32 v72, 1, v72
	v_and_b32_e32 v26, 0xfffff, v61
	s_delay_alu instid0(VALU_DEP_1) | instskip(NEXT) | instid1(VALU_DEP_3)
	v_add_nc_u32_e32 v61, v26, v73
                                        ; implicit-def: $vgpr26
	v_cmpx_ne_u32_e64 v63, v72
	s_xor_b32 s11, exec_lo, s11
; %bb.3812:                             ;   in Loop: Header=BB6_3759 Depth=2
	s_delay_alu instid0(VALU_DEP_2) | instskip(SKIP_2) | instid1(VALU_DEP_2)
	v_cmp_lt_u32_e32 vcc_lo, 0xffffff, v61
	v_sub_nc_u32_e32 v26, v63, v72
	v_cndmask_b32_e64 v63, 0, 1, vcc_lo
	v_add_co_ci_u32_e32 v26, vcc_lo, 0, v26, vcc_lo
	s_delay_alu instid0(VALU_DEP_2)
	v_lshrrev_b32_e32 v61, v63, v61
; %bb.3813:                             ;   in Loop: Header=BB6_3759 Depth=2
	s_and_not1_saveexec_b32 s11, s11
; %bb.3814:                             ;   in Loop: Header=BB6_3759 Depth=2
	s_delay_alu instid0(VALU_DEP_1)
	v_bfe_u32 v26, v61, 23, 1
; %bb.3815:                             ;   in Loop: Header=BB6_3759 Depth=2
	s_or_b32 exec_lo, exec_lo, s11
	v_lshrrev_b32_e32 v61, 20, v61
	s_delay_alu instid0(VALU_DEP_2) | instskip(SKIP_2) | instid1(VALU_DEP_2)
	v_cmp_gt_i32_e32 vcc_lo, 16, v26
	v_lshrrev_b32_e32 v62, 24, v62
	v_min_i32_e32 v63, 15, v26
	v_dual_cndmask_b32 v61, 7, v61 :: v_dual_and_b32 v62, 0x80, v62
	s_delay_alu instid0(VALU_DEP_1) | instskip(SKIP_1) | instid1(VALU_DEP_2)
	v_or_b32_e32 v26, v26, v61
	v_and_b32_e32 v72, 7, v61
	v_cmp_ne_u32_e32 vcc_lo, 0, v26
	v_lshlrev_b32_e32 v63, 3, v63
	s_delay_alu instid0(VALU_DEP_1) | instskip(NEXT) | instid1(VALU_DEP_1)
	v_or3_b32 v61, v63, v62, v72
	v_cndmask_b32_e32 v26, 0, v61, vcc_lo
.LBB6_3816:                             ;   in Loop: Header=BB6_3759 Depth=2
	s_or_b32 exec_lo, exec_lo, s28
.LBB6_3817:                             ;   in Loop: Header=BB6_3759 Depth=2
	s_delay_alu instid0(SALU_CYCLE_1) | instskip(NEXT) | instid1(SALU_CYCLE_1)
	s_or_b32 exec_lo, exec_lo, s27
	s_and_not1_b32 vcc_lo, exec_lo, s25
	s_cbranch_vccnz .LBB6_3827
; %bb.3818:                             ;   in Loop: Header=BB6_3759 Depth=2
	v_and_b32_e32 v62, 0xff, v60
	s_mov_b32 s11, 0
	s_mov_b32 s28, exec_lo
                                        ; implicit-def: $sgpr27
	s_delay_alu instid0(VALU_DEP_1)
	v_cmpx_lt_i16_e32 0x7f, v62
	s_xor_b32 s28, exec_lo, s28
	s_cbranch_execnz .LBB6_4717
; %bb.3819:                             ;   in Loop: Header=BB6_3759 Depth=2
	s_or_saveexec_b32 s28, s28
	v_mov_b32_e32 v61, s27
	s_xor_b32 exec_lo, exec_lo, s28
	s_cbranch_execnz .LBB6_4720
.LBB6_3820:                             ;   in Loop: Header=BB6_3759 Depth=2
	s_or_b32 exec_lo, exec_lo, s28
	s_and_saveexec_b32 s27, s11
	s_cbranch_execz .LBB6_3822
.LBB6_3821:                             ;   in Loop: Header=BB6_3759 Depth=2
	v_lshrrev_b16 v72, 3, v60
	v_lshlrev_b32_e32 v73, 24, v60
	s_delay_alu instid0(VALU_DEP_2) | instskip(NEXT) | instid1(VALU_DEP_1)
	v_and_b32_e32 v72, 15, v72
	v_cmp_eq_u32_e32 vcc_lo, 0, v72
	v_and_b32_e32 v61, 7, v60
	s_delay_alu instid0(VALU_DEP_1) | instskip(NEXT) | instid1(VALU_DEP_1)
	v_clz_i32_u32_e32 v62, v61
	v_min_u32_e32 v62, 32, v62
	s_delay_alu instid0(VALU_DEP_1) | instskip(SKIP_1) | instid1(VALU_DEP_1)
	v_subrev_nc_u32_e32 v63, 28, v62
	v_sub_nc_u32_e32 v62, 29, v62
	v_dual_cndmask_b32 v62, v72, v62 :: v_dual_lshlrev_b32 v63, v63, v60
	s_delay_alu instid0(VALU_DEP_1) | instskip(NEXT) | instid1(VALU_DEP_2)
	v_and_b32_e32 v63, 7, v63
	v_lshl_add_u32 v62, v62, 23, 0x3b800000
	s_delay_alu instid0(VALU_DEP_2) | instskip(SKIP_1) | instid1(VALU_DEP_2)
	v_cndmask_b32_e32 v61, v61, v63, vcc_lo
	v_and_b32_e32 v63, 0x80000000, v73
	v_lshlrev_b32_e32 v61, 20, v61
	s_delay_alu instid0(VALU_DEP_1)
	v_or3_b32 v61, v63, v62, v61
.LBB6_3822:                             ;   in Loop: Header=BB6_3759 Depth=2
	s_or_b32 exec_lo, exec_lo, s27
	s_waitcnt vmcnt(29) lgkmcnt(29)
	v_and_b32_e32 v63, 0xff, v29
	s_mov_b32 s11, 0
	s_mov_b32 s28, exec_lo
                                        ; implicit-def: $sgpr27
	s_delay_alu instid0(VALU_DEP_1)
	v_cmpx_lt_i16_e32 0x7f, v63
	s_xor_b32 s28, exec_lo, s28
	s_cbranch_execnz .LBB6_4721
; %bb.3823:                             ;   in Loop: Header=BB6_3759 Depth=2
	s_or_saveexec_b32 s28, s28
	v_mov_b32_e32 v62, s27
	s_xor_b32 exec_lo, exec_lo, s28
	s_cbranch_execnz .LBB6_4724
.LBB6_3824:                             ;   in Loop: Header=BB6_3759 Depth=2
	s_or_b32 exec_lo, exec_lo, s28
	s_and_saveexec_b32 s27, s11
	s_cbranch_execz .LBB6_3826
.LBB6_3825:                             ;   in Loop: Header=BB6_3759 Depth=2
	v_lshrrev_b16 v73, 3, v29
	v_lshlrev_b32_e32 v74, 24, v29
	s_delay_alu instid0(VALU_DEP_2) | instskip(NEXT) | instid1(VALU_DEP_1)
	v_and_b32_e32 v73, 15, v73
	v_cmp_eq_u32_e32 vcc_lo, 0, v73
	v_and_b32_e32 v62, 7, v29
	s_delay_alu instid0(VALU_DEP_1) | instskip(NEXT) | instid1(VALU_DEP_1)
	v_clz_i32_u32_e32 v63, v62
	v_min_u32_e32 v63, 32, v63
	s_delay_alu instid0(VALU_DEP_1) | instskip(SKIP_1) | instid1(VALU_DEP_1)
	v_subrev_nc_u32_e32 v72, 28, v63
	v_sub_nc_u32_e32 v63, 29, v63
	v_dual_cndmask_b32 v63, v73, v63 :: v_dual_lshlrev_b32 v72, v72, v29
	s_delay_alu instid0(VALU_DEP_1) | instskip(NEXT) | instid1(VALU_DEP_2)
	v_and_b32_e32 v72, 7, v72
	v_lshl_add_u32 v63, v63, 23, 0x3b800000
	s_delay_alu instid0(VALU_DEP_2) | instskip(SKIP_1) | instid1(VALU_DEP_2)
	v_cndmask_b32_e32 v62, v62, v72, vcc_lo
	v_and_b32_e32 v72, 0x80000000, v74
	v_lshlrev_b32_e32 v62, 20, v62
	s_delay_alu instid0(VALU_DEP_1)
	v_or3_b32 v62, v72, v63, v62
.LBB6_3826:                             ;   in Loop: Header=BB6_3759 Depth=2
	s_or_b32 exec_lo, exec_lo, s27
	s_delay_alu instid0(VALU_DEP_1) | instskip(SKIP_1) | instid1(VALU_DEP_1)
	v_dual_max_f32 v62, v62, v62 :: v_dual_max_f32 v61, v61, v61
	s_mov_b32 s11, 0
	v_max_f32_e32 v61, v61, v62
	s_branch .LBB6_3828
.LBB6_3827:                             ;   in Loop: Header=BB6_3759 Depth=2
	s_mov_b32 s11, -1
                                        ; implicit-def: $vgpr61
.LBB6_3828:                             ;   in Loop: Header=BB6_3759 Depth=2
	s_delay_alu instid0(SALU_CYCLE_1)
	s_and_b32 vcc_lo, exec_lo, s11
	s_cbranch_vccz .LBB6_3838
; %bb.3829:                             ;   in Loop: Header=BB6_3759 Depth=2
	v_and_b32_e32 v62, 0xff, v60
	s_mov_b32 s11, 0
	s_mov_b32 s28, exec_lo
                                        ; implicit-def: $sgpr27
	s_delay_alu instid0(VALU_DEP_1)
	v_cmpx_lt_i16_e32 0x7f, v62
	s_xor_b32 s28, exec_lo, s28
	s_cbranch_execnz .LBB6_4725
; %bb.3830:                             ;   in Loop: Header=BB6_3759 Depth=2
	s_or_saveexec_b32 s28, s28
	v_mov_b32_e32 v61, s27
	s_xor_b32 exec_lo, exec_lo, s28
	s_cbranch_execnz .LBB6_4728
.LBB6_3831:                             ;   in Loop: Header=BB6_3759 Depth=2
	s_or_b32 exec_lo, exec_lo, s28
	s_and_saveexec_b32 s27, s11
	s_cbranch_execz .LBB6_3833
.LBB6_3832:                             ;   in Loop: Header=BB6_3759 Depth=2
	v_lshrrev_b16 v72, 3, v60
	s_delay_alu instid0(VALU_DEP_1) | instskip(NEXT) | instid1(VALU_DEP_1)
	v_and_b32_e32 v72, 15, v72
	v_cmp_eq_u32_e32 vcc_lo, 0, v72
	v_and_b32_e32 v61, 7, v60
	s_delay_alu instid0(VALU_DEP_1) | instskip(NEXT) | instid1(VALU_DEP_1)
	v_clz_i32_u32_e32 v62, v61
	v_min_u32_e32 v62, 32, v62
	s_delay_alu instid0(VALU_DEP_1) | instskip(SKIP_1) | instid1(VALU_DEP_1)
	v_subrev_nc_u32_e32 v63, 28, v62
	v_sub_nc_u32_e32 v62, 29, v62
	v_dual_cndmask_b32 v62, v72, v62 :: v_dual_lshlrev_b32 v63, v63, v60
	v_lshlrev_b32_e32 v60, 24, v60
	s_delay_alu instid0(VALU_DEP_2) | instskip(NEXT) | instid1(VALU_DEP_3)
	v_and_b32_e32 v63, 7, v63
	v_lshl_add_u32 v62, v62, 23, 0x3b800000
	s_delay_alu instid0(VALU_DEP_2) | instskip(NEXT) | instid1(VALU_DEP_1)
	v_dual_cndmask_b32 v61, v61, v63 :: v_dual_and_b32 v60, 0x80000000, v60
	v_lshlrev_b32_e32 v61, 20, v61
	s_delay_alu instid0(VALU_DEP_1)
	v_or3_b32 v61, v60, v62, v61
.LBB6_3833:                             ;   in Loop: Header=BB6_3759 Depth=2
	s_or_b32 exec_lo, exec_lo, s27
	s_waitcnt vmcnt(29) lgkmcnt(29)
	v_and_b32_e32 v62, 0xff, v29
	s_mov_b32 s11, 0
	s_mov_b32 s28, exec_lo
                                        ; implicit-def: $sgpr27
	s_delay_alu instid0(VALU_DEP_1)
	v_cmpx_lt_i16_e32 0x7f, v62
	s_xor_b32 s28, exec_lo, s28
	s_cbranch_execnz .LBB6_4729
; %bb.3834:                             ;   in Loop: Header=BB6_3759 Depth=2
	s_or_saveexec_b32 s28, s28
	v_mov_b32_e32 v60, s27
	s_xor_b32 exec_lo, exec_lo, s28
	s_cbranch_execnz .LBB6_4732
.LBB6_3835:                             ;   in Loop: Header=BB6_3759 Depth=2
	s_or_b32 exec_lo, exec_lo, s28
	s_and_saveexec_b32 s27, s11
	s_cbranch_execz .LBB6_3837
.LBB6_3836:                             ;   in Loop: Header=BB6_3759 Depth=2
	v_and_b32_e32 v60, 7, v29
	v_lshrrev_b16 v72, 3, v29
	s_delay_alu instid0(VALU_DEP_2) | instskip(NEXT) | instid1(VALU_DEP_2)
	v_clz_i32_u32_e32 v62, v60
	v_and_b32_e32 v72, 15, v72
	s_delay_alu instid0(VALU_DEP_2) | instskip(NEXT) | instid1(VALU_DEP_2)
	v_min_u32_e32 v62, 32, v62
	v_cmp_eq_u32_e32 vcc_lo, 0, v72
	s_delay_alu instid0(VALU_DEP_2) | instskip(SKIP_1) | instid1(VALU_DEP_1)
	v_subrev_nc_u32_e32 v63, 28, v62
	v_sub_nc_u32_e32 v62, 29, v62
	v_dual_cndmask_b32 v62, v72, v62 :: v_dual_lshlrev_b32 v63, v63, v29
	s_delay_alu instid0(VALU_DEP_1) | instskip(SKIP_1) | instid1(VALU_DEP_3)
	v_and_b32_e32 v63, 7, v63
	v_lshlrev_b32_e32 v29, 24, v29
	v_lshl_add_u32 v62, v62, 23, 0x3b800000
	s_delay_alu instid0(VALU_DEP_2) | instskip(NEXT) | instid1(VALU_DEP_1)
	v_dual_cndmask_b32 v60, v60, v63 :: v_dual_and_b32 v29, 0x80000000, v29
	v_lshlrev_b32_e32 v60, 20, v60
	s_delay_alu instid0(VALU_DEP_1)
	v_or3_b32 v60, v29, v62, v60
.LBB6_3837:                             ;   in Loop: Header=BB6_3759 Depth=2
	s_or_b32 exec_lo, exec_lo, s27
	s_delay_alu instid0(VALU_DEP_1) | instskip(NEXT) | instid1(VALU_DEP_1)
	v_dual_max_f32 v29, v60, v60 :: v_dual_max_f32 v60, v61, v61
	v_min_f32_e32 v61, v60, v29
.LBB6_3838:                             ;   in Loop: Header=BB6_3759 Depth=2
	s_waitcnt vmcnt(29) lgkmcnt(29)
	s_delay_alu instid0(VALU_DEP_1) | instskip(NEXT) | instid1(VALU_DEP_1)
	v_and_b32_e32 v29, 0x7f800000, v61
	v_cmp_ne_u32_e32 vcc_lo, 0x7f800000, v29
	v_mov_b32_e32 v29, 0x80
	s_and_saveexec_b32 s27, vcc_lo
	s_cbranch_execz .LBB6_3846
; %bb.3839:                             ;   in Loop: Header=BB6_3759 Depth=2
	v_mov_b32_e32 v29, 0
	s_mov_b32 s28, exec_lo
	v_cmpx_ne_u32_e32 0, v61
	s_cbranch_execz .LBB6_3845
; %bb.3840:                             ;   in Loop: Header=BB6_3759 Depth=2
	v_bfe_u32 v29, v61, 23, 8
	v_and_b32_e32 v60, 0x7fffff, v61
	s_delay_alu instid0(VALU_DEP_2) | instskip(SKIP_1) | instid1(VALU_DEP_3)
	v_sub_nc_u32_e32 v62, 0x78, v29
	v_cmp_gt_u32_e32 vcc_lo, 0x79, v29
	v_or_b32_e32 v63, 0x800000, v60
	s_delay_alu instid0(VALU_DEP_3) | instskip(SKIP_2) | instid1(VALU_DEP_3)
	v_cndmask_b32_e32 v62, 0, v62, vcc_lo
	v_cmp_eq_u32_e32 vcc_lo, 0, v29
	v_add_nc_u32_e32 v29, 0xffffff89, v29
	v_cndmask_b32_e64 v62, v62, 0x77, vcc_lo
	v_cndmask_b32_e32 v60, v63, v60, vcc_lo
	s_delay_alu instid0(VALU_DEP_3) | instskip(NEXT) | instid1(VALU_DEP_3)
	v_cndmask_b32_e64 v29, v29, 0xffffff8a, vcc_lo
	v_lshl_add_u32 v63, 0x100000, v62, -1
	s_delay_alu instid0(VALU_DEP_3) | instskip(SKIP_1) | instid1(VALU_DEP_4)
	v_lshrrev_b32_e32 v72, v62, v60
	v_lshlrev_b32_e64 v74, v62, 0x80000
	v_add_nc_u32_e32 v62, v62, v29
	s_delay_alu instid0(VALU_DEP_4) | instskip(NEXT) | instid1(VALU_DEP_4)
	v_and_b32_e32 v60, v63, v60
	v_bfe_u32 v73, v72, 20, 1
	s_delay_alu instid0(VALU_DEP_2) | instskip(NEXT) | instid1(VALU_DEP_2)
	v_cmp_eq_u32_e64 s11, v60, v74
	v_add_nc_u32_e32 v63, -1, v73
	s_delay_alu instid0(VALU_DEP_1) | instskip(SKIP_2) | instid1(VALU_DEP_2)
	v_cndmask_b32_e64 v60, 0, v63, s11
	v_lshrrev_b32_e32 v63, 23, v72
	s_mov_b32 s11, exec_lo
	v_add_nc_u32_e32 v60, v60, v72
	s_delay_alu instid0(VALU_DEP_2) | instskip(NEXT) | instid1(VALU_DEP_2)
	v_xor_b32_e32 v63, 1, v63
	v_and_b32_e32 v29, 0xfffff, v60
	s_delay_alu instid0(VALU_DEP_1) | instskip(NEXT) | instid1(VALU_DEP_3)
	v_add_nc_u32_e32 v60, v29, v72
                                        ; implicit-def: $vgpr29
	v_cmpx_ne_u32_e64 v62, v63
	s_xor_b32 s11, exec_lo, s11
; %bb.3841:                             ;   in Loop: Header=BB6_3759 Depth=2
	s_delay_alu instid0(VALU_DEP_2) | instskip(SKIP_2) | instid1(VALU_DEP_2)
	v_cmp_lt_u32_e32 vcc_lo, 0xffffff, v60
	v_sub_nc_u32_e32 v29, v62, v63
	v_cndmask_b32_e64 v62, 0, 1, vcc_lo
	v_add_co_ci_u32_e32 v29, vcc_lo, 0, v29, vcc_lo
	s_delay_alu instid0(VALU_DEP_2)
	v_lshrrev_b32_e32 v60, v62, v60
; %bb.3842:                             ;   in Loop: Header=BB6_3759 Depth=2
	s_and_not1_saveexec_b32 s11, s11
; %bb.3843:                             ;   in Loop: Header=BB6_3759 Depth=2
	s_delay_alu instid0(VALU_DEP_1)
	v_bfe_u32 v29, v60, 23, 1
; %bb.3844:                             ;   in Loop: Header=BB6_3759 Depth=2
	s_or_b32 exec_lo, exec_lo, s11
	v_lshrrev_b32_e32 v60, 20, v60
	s_delay_alu instid0(VALU_DEP_2) | instskip(SKIP_2) | instid1(VALU_DEP_2)
	v_cmp_gt_i32_e32 vcc_lo, 16, v29
	v_lshrrev_b32_e32 v61, 24, v61
	v_min_i32_e32 v62, 15, v29
	v_dual_cndmask_b32 v60, 7, v60 :: v_dual_and_b32 v61, 0x80, v61
	s_delay_alu instid0(VALU_DEP_1) | instskip(SKIP_1) | instid1(VALU_DEP_2)
	v_or_b32_e32 v29, v29, v60
	v_and_b32_e32 v63, 7, v60
	v_cmp_ne_u32_e32 vcc_lo, 0, v29
	v_lshlrev_b32_e32 v62, 3, v62
	s_delay_alu instid0(VALU_DEP_1) | instskip(NEXT) | instid1(VALU_DEP_1)
	v_or3_b32 v60, v62, v61, v63
	v_cndmask_b32_e32 v29, 0, v60, vcc_lo
.LBB6_3845:                             ;   in Loop: Header=BB6_3759 Depth=2
	s_or_b32 exec_lo, exec_lo, s28
.LBB6_3846:                             ;   in Loop: Header=BB6_3759 Depth=2
	s_delay_alu instid0(SALU_CYCLE_1) | instskip(NEXT) | instid1(SALU_CYCLE_1)
	s_or_b32 exec_lo, exec_lo, s27
	s_and_not1_b32 vcc_lo, exec_lo, s25
	s_cbranch_vccnz .LBB6_3856
; %bb.3847:                             ;   in Loop: Header=BB6_3759 Depth=2
	v_and_b32_e32 v61, 0xff, v59
	s_mov_b32 s11, 0
	s_mov_b32 s28, exec_lo
                                        ; implicit-def: $sgpr27
	s_delay_alu instid0(VALU_DEP_1)
	v_cmpx_lt_i16_e32 0x7f, v61
	s_xor_b32 s28, exec_lo, s28
	s_cbranch_execnz .LBB6_4733
; %bb.3848:                             ;   in Loop: Header=BB6_3759 Depth=2
	s_or_saveexec_b32 s28, s28
	v_mov_b32_e32 v60, s27
	s_xor_b32 exec_lo, exec_lo, s28
	s_cbranch_execnz .LBB6_4736
.LBB6_3849:                             ;   in Loop: Header=BB6_3759 Depth=2
	s_or_b32 exec_lo, exec_lo, s28
	s_and_saveexec_b32 s27, s11
	s_cbranch_execz .LBB6_3851
.LBB6_3850:                             ;   in Loop: Header=BB6_3759 Depth=2
	v_lshrrev_b16 v63, 3, v59
	v_lshlrev_b32_e32 v72, 24, v59
	s_delay_alu instid0(VALU_DEP_2) | instskip(NEXT) | instid1(VALU_DEP_1)
	v_and_b32_e32 v63, 15, v63
	v_cmp_eq_u32_e32 vcc_lo, 0, v63
	v_and_b32_e32 v60, 7, v59
	s_delay_alu instid0(VALU_DEP_1) | instskip(NEXT) | instid1(VALU_DEP_1)
	v_clz_i32_u32_e32 v61, v60
	v_min_u32_e32 v61, 32, v61
	s_delay_alu instid0(VALU_DEP_1) | instskip(SKIP_1) | instid1(VALU_DEP_1)
	v_subrev_nc_u32_e32 v62, 28, v61
	v_sub_nc_u32_e32 v61, 29, v61
	v_dual_cndmask_b32 v61, v63, v61 :: v_dual_lshlrev_b32 v62, v62, v59
	s_delay_alu instid0(VALU_DEP_1) | instskip(NEXT) | instid1(VALU_DEP_2)
	v_and_b32_e32 v62, 7, v62
	v_lshl_add_u32 v61, v61, 23, 0x3b800000
	s_delay_alu instid0(VALU_DEP_2) | instskip(SKIP_1) | instid1(VALU_DEP_2)
	v_cndmask_b32_e32 v60, v60, v62, vcc_lo
	v_and_b32_e32 v62, 0x80000000, v72
	v_lshlrev_b32_e32 v60, 20, v60
	s_delay_alu instid0(VALU_DEP_1)
	v_or3_b32 v60, v62, v61, v60
.LBB6_3851:                             ;   in Loop: Header=BB6_3759 Depth=2
	s_or_b32 exec_lo, exec_lo, s27
	s_waitcnt vmcnt(28) lgkmcnt(28)
	v_and_b32_e32 v62, 0xff, v34
	s_mov_b32 s11, 0
	s_mov_b32 s28, exec_lo
                                        ; implicit-def: $sgpr27
	s_delay_alu instid0(VALU_DEP_1)
	v_cmpx_lt_i16_e32 0x7f, v62
	s_xor_b32 s28, exec_lo, s28
	s_cbranch_execnz .LBB6_4737
; %bb.3852:                             ;   in Loop: Header=BB6_3759 Depth=2
	s_or_saveexec_b32 s28, s28
	v_mov_b32_e32 v61, s27
	s_xor_b32 exec_lo, exec_lo, s28
	s_cbranch_execnz .LBB6_4740
.LBB6_3853:                             ;   in Loop: Header=BB6_3759 Depth=2
	s_or_b32 exec_lo, exec_lo, s28
	s_and_saveexec_b32 s27, s11
	s_cbranch_execz .LBB6_3855
.LBB6_3854:                             ;   in Loop: Header=BB6_3759 Depth=2
	v_and_b32_e32 v61, 7, v34
	v_lshrrev_b16 v72, 3, v34
	v_lshlrev_b32_e32 v73, 24, v34
	s_delay_alu instid0(VALU_DEP_3) | instskip(NEXT) | instid1(VALU_DEP_1)
	v_clz_i32_u32_e32 v62, v61
	v_min_u32_e32 v62, 32, v62
	s_delay_alu instid0(VALU_DEP_1) | instskip(SKIP_1) | instid1(VALU_DEP_2)
	v_subrev_nc_u32_e32 v63, 28, v62
	v_sub_nc_u32_e32 v62, 29, v62
	v_lshlrev_b32_e32 v63, v63, v34
	s_delay_alu instid0(VALU_DEP_1) | instskip(SKIP_1) | instid1(VALU_DEP_1)
	v_and_b32_e32 v63, 7, v63
	v_and_b32_e32 v72, 15, v72
	v_cmp_eq_u32_e32 vcc_lo, 0, v72
	s_delay_alu instid0(VALU_DEP_3) | instskip(SKIP_1) | instid1(VALU_DEP_2)
	v_dual_cndmask_b32 v61, v61, v63 :: v_dual_cndmask_b32 v62, v72, v62
	v_and_b32_e32 v63, 0x80000000, v73
	v_lshlrev_b32_e32 v61, 20, v61
	s_delay_alu instid0(VALU_DEP_3) | instskip(NEXT) | instid1(VALU_DEP_1)
	v_lshl_add_u32 v62, v62, 23, 0x3b800000
	v_or3_b32 v61, v63, v62, v61
.LBB6_3855:                             ;   in Loop: Header=BB6_3759 Depth=2
	s_or_b32 exec_lo, exec_lo, s27
	s_delay_alu instid0(VALU_DEP_1) | instskip(SKIP_1) | instid1(VALU_DEP_1)
	v_dual_max_f32 v61, v61, v61 :: v_dual_max_f32 v60, v60, v60
	s_mov_b32 s11, 0
	v_max_f32_e32 v60, v60, v61
	s_branch .LBB6_3857
.LBB6_3856:                             ;   in Loop: Header=BB6_3759 Depth=2
	s_mov_b32 s11, -1
                                        ; implicit-def: $vgpr60
.LBB6_3857:                             ;   in Loop: Header=BB6_3759 Depth=2
	s_delay_alu instid0(SALU_CYCLE_1)
	s_and_b32 vcc_lo, exec_lo, s11
	s_cbranch_vccz .LBB6_3867
; %bb.3858:                             ;   in Loop: Header=BB6_3759 Depth=2
	v_and_b32_e32 v61, 0xff, v59
	s_mov_b32 s11, 0
	s_mov_b32 s28, exec_lo
                                        ; implicit-def: $sgpr27
	s_delay_alu instid0(VALU_DEP_1)
	v_cmpx_lt_i16_e32 0x7f, v61
	s_xor_b32 s28, exec_lo, s28
	s_cbranch_execnz .LBB6_4741
; %bb.3859:                             ;   in Loop: Header=BB6_3759 Depth=2
	s_or_saveexec_b32 s28, s28
	v_mov_b32_e32 v60, s27
	s_xor_b32 exec_lo, exec_lo, s28
	s_cbranch_execnz .LBB6_4744
.LBB6_3860:                             ;   in Loop: Header=BB6_3759 Depth=2
	s_or_b32 exec_lo, exec_lo, s28
	s_and_saveexec_b32 s27, s11
	s_cbranch_execz .LBB6_3862
.LBB6_3861:                             ;   in Loop: Header=BB6_3759 Depth=2
	v_lshrrev_b16 v63, 3, v59
	s_delay_alu instid0(VALU_DEP_1) | instskip(NEXT) | instid1(VALU_DEP_1)
	v_and_b32_e32 v63, 15, v63
	v_cmp_eq_u32_e32 vcc_lo, 0, v63
	v_and_b32_e32 v60, 7, v59
	s_delay_alu instid0(VALU_DEP_1) | instskip(NEXT) | instid1(VALU_DEP_1)
	v_clz_i32_u32_e32 v61, v60
	v_min_u32_e32 v61, 32, v61
	s_delay_alu instid0(VALU_DEP_1) | instskip(SKIP_1) | instid1(VALU_DEP_1)
	v_subrev_nc_u32_e32 v62, 28, v61
	v_sub_nc_u32_e32 v61, 29, v61
	v_dual_cndmask_b32 v61, v63, v61 :: v_dual_lshlrev_b32 v62, v62, v59
	v_lshlrev_b32_e32 v59, 24, v59
	s_delay_alu instid0(VALU_DEP_2) | instskip(NEXT) | instid1(VALU_DEP_3)
	v_and_b32_e32 v62, 7, v62
	v_lshl_add_u32 v61, v61, 23, 0x3b800000
	s_delay_alu instid0(VALU_DEP_2) | instskip(NEXT) | instid1(VALU_DEP_1)
	v_dual_cndmask_b32 v60, v60, v62 :: v_dual_and_b32 v59, 0x80000000, v59
	v_lshlrev_b32_e32 v60, 20, v60
	s_delay_alu instid0(VALU_DEP_1)
	v_or3_b32 v60, v59, v61, v60
.LBB6_3862:                             ;   in Loop: Header=BB6_3759 Depth=2
	s_or_b32 exec_lo, exec_lo, s27
	s_waitcnt vmcnt(28) lgkmcnt(28)
	v_and_b32_e32 v61, 0xff, v34
	s_mov_b32 s11, 0
	s_mov_b32 s28, exec_lo
                                        ; implicit-def: $sgpr27
	s_delay_alu instid0(VALU_DEP_1)
	v_cmpx_lt_i16_e32 0x7f, v61
	s_xor_b32 s28, exec_lo, s28
	s_cbranch_execnz .LBB6_4745
; %bb.3863:                             ;   in Loop: Header=BB6_3759 Depth=2
	s_or_saveexec_b32 s28, s28
	v_mov_b32_e32 v59, s27
	s_xor_b32 exec_lo, exec_lo, s28
	s_cbranch_execnz .LBB6_4748
.LBB6_3864:                             ;   in Loop: Header=BB6_3759 Depth=2
	s_or_b32 exec_lo, exec_lo, s28
	s_and_saveexec_b32 s27, s11
	s_cbranch_execz .LBB6_3866
.LBB6_3865:                             ;   in Loop: Header=BB6_3759 Depth=2
	v_and_b32_e32 v59, 7, v34
	v_lshrrev_b16 v63, 3, v34
	s_delay_alu instid0(VALU_DEP_2) | instskip(NEXT) | instid1(VALU_DEP_2)
	v_clz_i32_u32_e32 v61, v59
	v_and_b32_e32 v63, 15, v63
	s_delay_alu instid0(VALU_DEP_2) | instskip(NEXT) | instid1(VALU_DEP_2)
	v_min_u32_e32 v61, 32, v61
	v_cmp_eq_u32_e32 vcc_lo, 0, v63
	s_delay_alu instid0(VALU_DEP_2) | instskip(SKIP_1) | instid1(VALU_DEP_1)
	v_subrev_nc_u32_e32 v62, 28, v61
	v_sub_nc_u32_e32 v61, 29, v61
	v_dual_cndmask_b32 v61, v63, v61 :: v_dual_lshlrev_b32 v62, v62, v34
	v_lshlrev_b32_e32 v34, 24, v34
	s_delay_alu instid0(VALU_DEP_2) | instskip(NEXT) | instid1(VALU_DEP_3)
	v_and_b32_e32 v62, 7, v62
	v_lshl_add_u32 v61, v61, 23, 0x3b800000
	s_delay_alu instid0(VALU_DEP_3) | instskip(NEXT) | instid1(VALU_DEP_3)
	v_and_b32_e32 v34, 0x80000000, v34
	v_cndmask_b32_e32 v59, v59, v62, vcc_lo
	s_delay_alu instid0(VALU_DEP_1) | instskip(NEXT) | instid1(VALU_DEP_1)
	v_lshlrev_b32_e32 v59, 20, v59
	v_or3_b32 v59, v34, v61, v59
.LBB6_3866:                             ;   in Loop: Header=BB6_3759 Depth=2
	s_or_b32 exec_lo, exec_lo, s27
	s_delay_alu instid0(VALU_DEP_1) | instskip(NEXT) | instid1(VALU_DEP_1)
	v_dual_max_f32 v34, v59, v59 :: v_dual_max_f32 v59, v60, v60
	v_min_f32_e32 v60, v59, v34
.LBB6_3867:                             ;   in Loop: Header=BB6_3759 Depth=2
	s_waitcnt vmcnt(28) lgkmcnt(28)
	s_delay_alu instid0(VALU_DEP_1) | instskip(NEXT) | instid1(VALU_DEP_1)
	v_and_b32_e32 v34, 0x7f800000, v60
	v_cmp_ne_u32_e32 vcc_lo, 0x7f800000, v34
	v_mov_b32_e32 v34, 0x80
	s_and_saveexec_b32 s27, vcc_lo
	s_cbranch_execz .LBB6_3875
; %bb.3868:                             ;   in Loop: Header=BB6_3759 Depth=2
	v_mov_b32_e32 v34, 0
	s_mov_b32 s28, exec_lo
	v_cmpx_ne_u32_e32 0, v60
	s_cbranch_execz .LBB6_3874
; %bb.3869:                             ;   in Loop: Header=BB6_3759 Depth=2
	v_bfe_u32 v34, v60, 23, 8
	v_and_b32_e32 v59, 0x7fffff, v60
	s_delay_alu instid0(VALU_DEP_2) | instskip(SKIP_1) | instid1(VALU_DEP_3)
	v_sub_nc_u32_e32 v61, 0x78, v34
	v_cmp_gt_u32_e32 vcc_lo, 0x79, v34
	v_or_b32_e32 v62, 0x800000, v59
	s_delay_alu instid0(VALU_DEP_3) | instskip(SKIP_2) | instid1(VALU_DEP_3)
	v_cndmask_b32_e32 v61, 0, v61, vcc_lo
	v_cmp_eq_u32_e32 vcc_lo, 0, v34
	v_add_nc_u32_e32 v34, 0xffffff89, v34
	v_cndmask_b32_e64 v61, v61, 0x77, vcc_lo
	v_cndmask_b32_e32 v59, v62, v59, vcc_lo
	s_delay_alu instid0(VALU_DEP_3) | instskip(NEXT) | instid1(VALU_DEP_3)
	v_cndmask_b32_e64 v34, v34, 0xffffff8a, vcc_lo
	v_lshl_add_u32 v62, 0x100000, v61, -1
	s_delay_alu instid0(VALU_DEP_3) | instskip(SKIP_1) | instid1(VALU_DEP_4)
	v_lshrrev_b32_e32 v63, v61, v59
	v_lshlrev_b32_e64 v73, v61, 0x80000
	v_add_nc_u32_e32 v61, v61, v34
	s_delay_alu instid0(VALU_DEP_4) | instskip(NEXT) | instid1(VALU_DEP_4)
	v_and_b32_e32 v59, v62, v59
	v_bfe_u32 v72, v63, 20, 1
	s_delay_alu instid0(VALU_DEP_2) | instskip(NEXT) | instid1(VALU_DEP_2)
	v_cmp_eq_u32_e64 s11, v59, v73
	v_add_nc_u32_e32 v62, -1, v72
	s_delay_alu instid0(VALU_DEP_1) | instskip(SKIP_2) | instid1(VALU_DEP_2)
	v_cndmask_b32_e64 v59, 0, v62, s11
	v_lshrrev_b32_e32 v62, 23, v63
	s_mov_b32 s11, exec_lo
	v_add_nc_u32_e32 v59, v59, v63
	s_delay_alu instid0(VALU_DEP_2) | instskip(NEXT) | instid1(VALU_DEP_2)
	v_xor_b32_e32 v62, 1, v62
	v_and_b32_e32 v34, 0xfffff, v59
	s_delay_alu instid0(VALU_DEP_1) | instskip(NEXT) | instid1(VALU_DEP_3)
	v_add_nc_u32_e32 v59, v34, v63
                                        ; implicit-def: $vgpr34
	v_cmpx_ne_u32_e64 v61, v62
	s_xor_b32 s11, exec_lo, s11
; %bb.3870:                             ;   in Loop: Header=BB6_3759 Depth=2
	s_delay_alu instid0(VALU_DEP_2) | instskip(SKIP_2) | instid1(VALU_DEP_2)
	v_cmp_lt_u32_e32 vcc_lo, 0xffffff, v59
	v_sub_nc_u32_e32 v34, v61, v62
	v_cndmask_b32_e64 v61, 0, 1, vcc_lo
	v_add_co_ci_u32_e32 v34, vcc_lo, 0, v34, vcc_lo
	s_delay_alu instid0(VALU_DEP_2)
	v_lshrrev_b32_e32 v59, v61, v59
; %bb.3871:                             ;   in Loop: Header=BB6_3759 Depth=2
	s_and_not1_saveexec_b32 s11, s11
; %bb.3872:                             ;   in Loop: Header=BB6_3759 Depth=2
	s_delay_alu instid0(VALU_DEP_1)
	v_bfe_u32 v34, v59, 23, 1
; %bb.3873:                             ;   in Loop: Header=BB6_3759 Depth=2
	s_or_b32 exec_lo, exec_lo, s11
	v_lshrrev_b32_e32 v59, 20, v59
	s_delay_alu instid0(VALU_DEP_2) | instskip(SKIP_2) | instid1(VALU_DEP_2)
	v_cmp_gt_i32_e32 vcc_lo, 16, v34
	v_lshrrev_b32_e32 v60, 24, v60
	v_min_i32_e32 v61, 15, v34
	v_dual_cndmask_b32 v59, 7, v59 :: v_dual_and_b32 v60, 0x80, v60
	s_delay_alu instid0(VALU_DEP_1) | instskip(SKIP_1) | instid1(VALU_DEP_2)
	v_or_b32_e32 v34, v34, v59
	v_and_b32_e32 v62, 7, v59
	v_cmp_ne_u32_e32 vcc_lo, 0, v34
	v_lshlrev_b32_e32 v61, 3, v61
	s_delay_alu instid0(VALU_DEP_1) | instskip(NEXT) | instid1(VALU_DEP_1)
	v_or3_b32 v59, v61, v60, v62
	v_cndmask_b32_e32 v34, 0, v59, vcc_lo
.LBB6_3874:                             ;   in Loop: Header=BB6_3759 Depth=2
	s_or_b32 exec_lo, exec_lo, s28
.LBB6_3875:                             ;   in Loop: Header=BB6_3759 Depth=2
	s_delay_alu instid0(SALU_CYCLE_1) | instskip(NEXT) | instid1(SALU_CYCLE_1)
	s_or_b32 exec_lo, exec_lo, s27
	s_and_not1_b32 vcc_lo, exec_lo, s25
	s_cbranch_vccnz .LBB6_3885
; %bb.3876:                             ;   in Loop: Header=BB6_3759 Depth=2
	v_and_b32_e32 v60, 0xff, v58
	s_mov_b32 s11, 0
	s_mov_b32 s28, exec_lo
                                        ; implicit-def: $sgpr27
	s_delay_alu instid0(VALU_DEP_1)
	v_cmpx_lt_i16_e32 0x7f, v60
	s_xor_b32 s28, exec_lo, s28
	s_cbranch_execnz .LBB6_4749
; %bb.3877:                             ;   in Loop: Header=BB6_3759 Depth=2
	s_or_saveexec_b32 s28, s28
	v_mov_b32_e32 v59, s27
	s_xor_b32 exec_lo, exec_lo, s28
	s_cbranch_execnz .LBB6_4752
.LBB6_3878:                             ;   in Loop: Header=BB6_3759 Depth=2
	s_or_b32 exec_lo, exec_lo, s28
	s_and_saveexec_b32 s27, s11
	s_cbranch_execz .LBB6_3880
.LBB6_3879:                             ;   in Loop: Header=BB6_3759 Depth=2
	v_lshrrev_b16 v62, 3, v58
	v_lshlrev_b32_e32 v63, 24, v58
	s_delay_alu instid0(VALU_DEP_2) | instskip(NEXT) | instid1(VALU_DEP_1)
	v_and_b32_e32 v62, 15, v62
	v_cmp_eq_u32_e32 vcc_lo, 0, v62
	v_and_b32_e32 v59, 7, v58
	s_delay_alu instid0(VALU_DEP_1) | instskip(NEXT) | instid1(VALU_DEP_1)
	v_clz_i32_u32_e32 v60, v59
	v_min_u32_e32 v60, 32, v60
	s_delay_alu instid0(VALU_DEP_1) | instskip(SKIP_1) | instid1(VALU_DEP_1)
	v_subrev_nc_u32_e32 v61, 28, v60
	v_sub_nc_u32_e32 v60, 29, v60
	v_dual_cndmask_b32 v60, v62, v60 :: v_dual_lshlrev_b32 v61, v61, v58
	s_delay_alu instid0(VALU_DEP_1) | instskip(NEXT) | instid1(VALU_DEP_2)
	v_and_b32_e32 v61, 7, v61
	v_lshl_add_u32 v60, v60, 23, 0x3b800000
	s_delay_alu instid0(VALU_DEP_2) | instskip(SKIP_1) | instid1(VALU_DEP_2)
	v_cndmask_b32_e32 v59, v59, v61, vcc_lo
	v_and_b32_e32 v61, 0x80000000, v63
	v_lshlrev_b32_e32 v59, 20, v59
	s_delay_alu instid0(VALU_DEP_1)
	v_or3_b32 v59, v61, v60, v59
.LBB6_3880:                             ;   in Loop: Header=BB6_3759 Depth=2
	s_or_b32 exec_lo, exec_lo, s27
	s_waitcnt vmcnt(27) lgkmcnt(27)
	v_and_b32_e32 v61, 0xff, v37
	s_mov_b32 s11, 0
	s_mov_b32 s28, exec_lo
                                        ; implicit-def: $sgpr27
	s_delay_alu instid0(VALU_DEP_1)
	v_cmpx_lt_i16_e32 0x7f, v61
	s_xor_b32 s28, exec_lo, s28
	s_cbranch_execnz .LBB6_4753
; %bb.3881:                             ;   in Loop: Header=BB6_3759 Depth=2
	s_or_saveexec_b32 s28, s28
	v_mov_b32_e32 v60, s27
	s_xor_b32 exec_lo, exec_lo, s28
	s_cbranch_execnz .LBB6_4756
.LBB6_3882:                             ;   in Loop: Header=BB6_3759 Depth=2
	s_or_b32 exec_lo, exec_lo, s28
	s_and_saveexec_b32 s27, s11
	s_cbranch_execz .LBB6_3884
.LBB6_3883:                             ;   in Loop: Header=BB6_3759 Depth=2
	v_and_b32_e32 v60, 7, v37
	v_lshrrev_b16 v63, 3, v37
	v_lshlrev_b32_e32 v72, 24, v37
	s_delay_alu instid0(VALU_DEP_3) | instskip(NEXT) | instid1(VALU_DEP_1)
	v_clz_i32_u32_e32 v61, v60
	v_min_u32_e32 v61, 32, v61
	s_delay_alu instid0(VALU_DEP_1) | instskip(SKIP_1) | instid1(VALU_DEP_2)
	v_subrev_nc_u32_e32 v62, 28, v61
	v_sub_nc_u32_e32 v61, 29, v61
	v_lshlrev_b32_e32 v62, v62, v37
	s_delay_alu instid0(VALU_DEP_1) | instskip(SKIP_1) | instid1(VALU_DEP_1)
	v_and_b32_e32 v62, 7, v62
	v_and_b32_e32 v63, 15, v63
	v_cmp_eq_u32_e32 vcc_lo, 0, v63
	s_delay_alu instid0(VALU_DEP_3) | instskip(SKIP_1) | instid1(VALU_DEP_2)
	v_dual_cndmask_b32 v60, v60, v62 :: v_dual_cndmask_b32 v61, v63, v61
	v_and_b32_e32 v62, 0x80000000, v72
	v_lshlrev_b32_e32 v60, 20, v60
	s_delay_alu instid0(VALU_DEP_3) | instskip(NEXT) | instid1(VALU_DEP_1)
	v_lshl_add_u32 v61, v61, 23, 0x3b800000
	v_or3_b32 v60, v62, v61, v60
.LBB6_3884:                             ;   in Loop: Header=BB6_3759 Depth=2
	s_or_b32 exec_lo, exec_lo, s27
	s_delay_alu instid0(VALU_DEP_1) | instskip(SKIP_1) | instid1(VALU_DEP_1)
	v_dual_max_f32 v60, v60, v60 :: v_dual_max_f32 v59, v59, v59
	s_mov_b32 s11, 0
	v_max_f32_e32 v59, v59, v60
	s_branch .LBB6_3886
.LBB6_3885:                             ;   in Loop: Header=BB6_3759 Depth=2
	s_mov_b32 s11, -1
                                        ; implicit-def: $vgpr59
.LBB6_3886:                             ;   in Loop: Header=BB6_3759 Depth=2
	s_delay_alu instid0(SALU_CYCLE_1)
	s_and_b32 vcc_lo, exec_lo, s11
	s_cbranch_vccz .LBB6_3896
; %bb.3887:                             ;   in Loop: Header=BB6_3759 Depth=2
	v_and_b32_e32 v60, 0xff, v58
	s_mov_b32 s11, 0
	s_mov_b32 s28, exec_lo
                                        ; implicit-def: $sgpr27
	s_delay_alu instid0(VALU_DEP_1)
	v_cmpx_lt_i16_e32 0x7f, v60
	s_xor_b32 s28, exec_lo, s28
	s_cbranch_execnz .LBB6_4757
; %bb.3888:                             ;   in Loop: Header=BB6_3759 Depth=2
	s_or_saveexec_b32 s28, s28
	v_mov_b32_e32 v59, s27
	s_xor_b32 exec_lo, exec_lo, s28
	s_cbranch_execnz .LBB6_4760
.LBB6_3889:                             ;   in Loop: Header=BB6_3759 Depth=2
	s_or_b32 exec_lo, exec_lo, s28
	s_and_saveexec_b32 s27, s11
	s_cbranch_execz .LBB6_3891
.LBB6_3890:                             ;   in Loop: Header=BB6_3759 Depth=2
	v_lshrrev_b16 v62, 3, v58
	s_delay_alu instid0(VALU_DEP_1) | instskip(NEXT) | instid1(VALU_DEP_1)
	v_and_b32_e32 v62, 15, v62
	v_cmp_eq_u32_e32 vcc_lo, 0, v62
	v_and_b32_e32 v59, 7, v58
	s_delay_alu instid0(VALU_DEP_1) | instskip(NEXT) | instid1(VALU_DEP_1)
	v_clz_i32_u32_e32 v60, v59
	v_min_u32_e32 v60, 32, v60
	s_delay_alu instid0(VALU_DEP_1) | instskip(SKIP_1) | instid1(VALU_DEP_1)
	v_subrev_nc_u32_e32 v61, 28, v60
	v_sub_nc_u32_e32 v60, 29, v60
	v_dual_cndmask_b32 v60, v62, v60 :: v_dual_lshlrev_b32 v61, v61, v58
	v_lshlrev_b32_e32 v58, 24, v58
	s_delay_alu instid0(VALU_DEP_2) | instskip(NEXT) | instid1(VALU_DEP_3)
	v_and_b32_e32 v61, 7, v61
	v_lshl_add_u32 v60, v60, 23, 0x3b800000
	s_delay_alu instid0(VALU_DEP_2) | instskip(NEXT) | instid1(VALU_DEP_1)
	v_dual_cndmask_b32 v59, v59, v61 :: v_dual_and_b32 v58, 0x80000000, v58
	v_lshlrev_b32_e32 v59, 20, v59
	s_delay_alu instid0(VALU_DEP_1)
	v_or3_b32 v59, v58, v60, v59
.LBB6_3891:                             ;   in Loop: Header=BB6_3759 Depth=2
	s_or_b32 exec_lo, exec_lo, s27
	s_waitcnt vmcnt(27) lgkmcnt(27)
	v_and_b32_e32 v60, 0xff, v37
	s_mov_b32 s11, 0
	s_mov_b32 s28, exec_lo
                                        ; implicit-def: $sgpr27
	s_delay_alu instid0(VALU_DEP_1)
	v_cmpx_lt_i16_e32 0x7f, v60
	s_xor_b32 s28, exec_lo, s28
	s_cbranch_execnz .LBB6_4761
; %bb.3892:                             ;   in Loop: Header=BB6_3759 Depth=2
	s_or_saveexec_b32 s28, s28
	v_mov_b32_e32 v58, s27
	s_xor_b32 exec_lo, exec_lo, s28
	s_cbranch_execnz .LBB6_4764
.LBB6_3893:                             ;   in Loop: Header=BB6_3759 Depth=2
	s_or_b32 exec_lo, exec_lo, s28
	s_and_saveexec_b32 s27, s11
	s_cbranch_execz .LBB6_3895
.LBB6_3894:                             ;   in Loop: Header=BB6_3759 Depth=2
	v_and_b32_e32 v58, 7, v37
	v_lshrrev_b16 v62, 3, v37
	s_delay_alu instid0(VALU_DEP_2) | instskip(NEXT) | instid1(VALU_DEP_2)
	v_clz_i32_u32_e32 v60, v58
	v_and_b32_e32 v62, 15, v62
	s_delay_alu instid0(VALU_DEP_2) | instskip(NEXT) | instid1(VALU_DEP_2)
	v_min_u32_e32 v60, 32, v60
	v_cmp_eq_u32_e32 vcc_lo, 0, v62
	s_delay_alu instid0(VALU_DEP_2) | instskip(SKIP_1) | instid1(VALU_DEP_1)
	v_subrev_nc_u32_e32 v61, 28, v60
	v_sub_nc_u32_e32 v60, 29, v60
	v_dual_cndmask_b32 v60, v62, v60 :: v_dual_lshlrev_b32 v61, v61, v37
	v_lshlrev_b32_e32 v37, 24, v37
	s_delay_alu instid0(VALU_DEP_2) | instskip(NEXT) | instid1(VALU_DEP_3)
	v_and_b32_e32 v61, 7, v61
	v_lshl_add_u32 v60, v60, 23, 0x3b800000
	s_delay_alu instid0(VALU_DEP_3) | instskip(NEXT) | instid1(VALU_DEP_3)
	v_and_b32_e32 v37, 0x80000000, v37
	v_cndmask_b32_e32 v58, v58, v61, vcc_lo
	s_delay_alu instid0(VALU_DEP_1) | instskip(NEXT) | instid1(VALU_DEP_1)
	v_lshlrev_b32_e32 v58, 20, v58
	v_or3_b32 v58, v37, v60, v58
.LBB6_3895:                             ;   in Loop: Header=BB6_3759 Depth=2
	s_or_b32 exec_lo, exec_lo, s27
	s_delay_alu instid0(VALU_DEP_1) | instskip(NEXT) | instid1(VALU_DEP_1)
	v_dual_max_f32 v37, v58, v58 :: v_dual_max_f32 v58, v59, v59
	v_min_f32_e32 v59, v58, v37
.LBB6_3896:                             ;   in Loop: Header=BB6_3759 Depth=2
	s_waitcnt vmcnt(27) lgkmcnt(27)
	s_delay_alu instid0(VALU_DEP_1) | instskip(NEXT) | instid1(VALU_DEP_1)
	v_and_b32_e32 v37, 0x7f800000, v59
	v_cmp_ne_u32_e32 vcc_lo, 0x7f800000, v37
	v_mov_b32_e32 v37, 0x80
	s_and_saveexec_b32 s27, vcc_lo
	s_cbranch_execz .LBB6_3904
; %bb.3897:                             ;   in Loop: Header=BB6_3759 Depth=2
	v_mov_b32_e32 v37, 0
	s_mov_b32 s28, exec_lo
	v_cmpx_ne_u32_e32 0, v59
	s_cbranch_execz .LBB6_3903
; %bb.3898:                             ;   in Loop: Header=BB6_3759 Depth=2
	v_bfe_u32 v37, v59, 23, 8
	v_and_b32_e32 v58, 0x7fffff, v59
	s_delay_alu instid0(VALU_DEP_2) | instskip(SKIP_1) | instid1(VALU_DEP_3)
	v_sub_nc_u32_e32 v60, 0x78, v37
	v_cmp_gt_u32_e32 vcc_lo, 0x79, v37
	v_or_b32_e32 v61, 0x800000, v58
	s_delay_alu instid0(VALU_DEP_3) | instskip(SKIP_2) | instid1(VALU_DEP_3)
	v_cndmask_b32_e32 v60, 0, v60, vcc_lo
	v_cmp_eq_u32_e32 vcc_lo, 0, v37
	v_add_nc_u32_e32 v37, 0xffffff89, v37
	v_cndmask_b32_e64 v60, v60, 0x77, vcc_lo
	v_cndmask_b32_e32 v58, v61, v58, vcc_lo
	s_delay_alu instid0(VALU_DEP_3) | instskip(NEXT) | instid1(VALU_DEP_3)
	v_cndmask_b32_e64 v37, v37, 0xffffff8a, vcc_lo
	v_lshl_add_u32 v61, 0x100000, v60, -1
	s_delay_alu instid0(VALU_DEP_3) | instskip(SKIP_1) | instid1(VALU_DEP_4)
	v_lshrrev_b32_e32 v62, v60, v58
	v_lshlrev_b32_e64 v72, v60, 0x80000
	v_add_nc_u32_e32 v60, v60, v37
	s_delay_alu instid0(VALU_DEP_4) | instskip(NEXT) | instid1(VALU_DEP_4)
	v_and_b32_e32 v58, v61, v58
	v_bfe_u32 v63, v62, 20, 1
	s_delay_alu instid0(VALU_DEP_2) | instskip(NEXT) | instid1(VALU_DEP_2)
	v_cmp_eq_u32_e64 s11, v58, v72
	v_add_nc_u32_e32 v61, -1, v63
	s_delay_alu instid0(VALU_DEP_1) | instskip(SKIP_2) | instid1(VALU_DEP_2)
	v_cndmask_b32_e64 v58, 0, v61, s11
	v_lshrrev_b32_e32 v61, 23, v62
	s_mov_b32 s11, exec_lo
	v_add_nc_u32_e32 v58, v58, v62
	s_delay_alu instid0(VALU_DEP_2) | instskip(NEXT) | instid1(VALU_DEP_2)
	v_xor_b32_e32 v61, 1, v61
	v_and_b32_e32 v37, 0xfffff, v58
	s_delay_alu instid0(VALU_DEP_1) | instskip(NEXT) | instid1(VALU_DEP_3)
	v_add_nc_u32_e32 v58, v37, v62
                                        ; implicit-def: $vgpr37
	v_cmpx_ne_u32_e64 v60, v61
	s_xor_b32 s11, exec_lo, s11
; %bb.3899:                             ;   in Loop: Header=BB6_3759 Depth=2
	s_delay_alu instid0(VALU_DEP_2) | instskip(SKIP_2) | instid1(VALU_DEP_2)
	v_cmp_lt_u32_e32 vcc_lo, 0xffffff, v58
	v_sub_nc_u32_e32 v37, v60, v61
	v_cndmask_b32_e64 v60, 0, 1, vcc_lo
	v_add_co_ci_u32_e32 v37, vcc_lo, 0, v37, vcc_lo
	s_delay_alu instid0(VALU_DEP_2)
	v_lshrrev_b32_e32 v58, v60, v58
; %bb.3900:                             ;   in Loop: Header=BB6_3759 Depth=2
	s_and_not1_saveexec_b32 s11, s11
; %bb.3901:                             ;   in Loop: Header=BB6_3759 Depth=2
	s_delay_alu instid0(VALU_DEP_1)
	v_bfe_u32 v37, v58, 23, 1
; %bb.3902:                             ;   in Loop: Header=BB6_3759 Depth=2
	s_or_b32 exec_lo, exec_lo, s11
	v_lshrrev_b32_e32 v58, 20, v58
	s_delay_alu instid0(VALU_DEP_2) | instskip(SKIP_2) | instid1(VALU_DEP_2)
	v_cmp_gt_i32_e32 vcc_lo, 16, v37
	v_lshrrev_b32_e32 v59, 24, v59
	v_min_i32_e32 v60, 15, v37
	v_dual_cndmask_b32 v58, 7, v58 :: v_dual_and_b32 v59, 0x80, v59
	s_delay_alu instid0(VALU_DEP_1) | instskip(SKIP_1) | instid1(VALU_DEP_2)
	v_or_b32_e32 v37, v37, v58
	v_and_b32_e32 v61, 7, v58
	v_cmp_ne_u32_e32 vcc_lo, 0, v37
	v_lshlrev_b32_e32 v60, 3, v60
	s_delay_alu instid0(VALU_DEP_1) | instskip(NEXT) | instid1(VALU_DEP_1)
	v_or3_b32 v58, v60, v59, v61
	v_cndmask_b32_e32 v37, 0, v58, vcc_lo
.LBB6_3903:                             ;   in Loop: Header=BB6_3759 Depth=2
	s_or_b32 exec_lo, exec_lo, s28
.LBB6_3904:                             ;   in Loop: Header=BB6_3759 Depth=2
	s_delay_alu instid0(SALU_CYCLE_1) | instskip(NEXT) | instid1(SALU_CYCLE_1)
	s_or_b32 exec_lo, exec_lo, s27
	s_and_not1_b32 vcc_lo, exec_lo, s25
	s_cbranch_vccnz .LBB6_3914
; %bb.3905:                             ;   in Loop: Header=BB6_3759 Depth=2
	v_and_b32_e32 v59, 0xff, v57
	s_mov_b32 s11, 0
	s_mov_b32 s28, exec_lo
                                        ; implicit-def: $sgpr27
	s_delay_alu instid0(VALU_DEP_1)
	v_cmpx_lt_i16_e32 0x7f, v59
	s_xor_b32 s28, exec_lo, s28
	s_cbranch_execnz .LBB6_4765
; %bb.3906:                             ;   in Loop: Header=BB6_3759 Depth=2
	s_or_saveexec_b32 s28, s28
	v_mov_b32_e32 v58, s27
	s_xor_b32 exec_lo, exec_lo, s28
	s_cbranch_execnz .LBB6_4768
.LBB6_3907:                             ;   in Loop: Header=BB6_3759 Depth=2
	s_or_b32 exec_lo, exec_lo, s28
	s_and_saveexec_b32 s27, s11
	s_cbranch_execz .LBB6_3909
.LBB6_3908:                             ;   in Loop: Header=BB6_3759 Depth=2
	v_lshrrev_b16 v61, 3, v57
	v_lshlrev_b32_e32 v62, 24, v57
	s_delay_alu instid0(VALU_DEP_2) | instskip(NEXT) | instid1(VALU_DEP_1)
	v_and_b32_e32 v61, 15, v61
	v_cmp_eq_u32_e32 vcc_lo, 0, v61
	v_and_b32_e32 v58, 7, v57
	s_delay_alu instid0(VALU_DEP_1) | instskip(NEXT) | instid1(VALU_DEP_1)
	v_clz_i32_u32_e32 v59, v58
	v_min_u32_e32 v59, 32, v59
	s_delay_alu instid0(VALU_DEP_1) | instskip(SKIP_1) | instid1(VALU_DEP_1)
	v_subrev_nc_u32_e32 v60, 28, v59
	v_sub_nc_u32_e32 v59, 29, v59
	v_dual_cndmask_b32 v59, v61, v59 :: v_dual_lshlrev_b32 v60, v60, v57
	s_delay_alu instid0(VALU_DEP_1) | instskip(NEXT) | instid1(VALU_DEP_2)
	v_and_b32_e32 v60, 7, v60
	v_lshl_add_u32 v59, v59, 23, 0x3b800000
	s_delay_alu instid0(VALU_DEP_2) | instskip(SKIP_1) | instid1(VALU_DEP_2)
	v_cndmask_b32_e32 v58, v58, v60, vcc_lo
	v_and_b32_e32 v60, 0x80000000, v62
	v_lshlrev_b32_e32 v58, 20, v58
	s_delay_alu instid0(VALU_DEP_1)
	v_or3_b32 v58, v60, v59, v58
.LBB6_3909:                             ;   in Loop: Header=BB6_3759 Depth=2
	s_or_b32 exec_lo, exec_lo, s27
	s_waitcnt vmcnt(26) lgkmcnt(26)
	v_and_b32_e32 v60, 0xff, v48
	s_mov_b32 s11, 0
	s_mov_b32 s28, exec_lo
                                        ; implicit-def: $sgpr27
	s_delay_alu instid0(VALU_DEP_1)
	v_cmpx_lt_i16_e32 0x7f, v60
	s_xor_b32 s28, exec_lo, s28
	s_cbranch_execnz .LBB6_4769
; %bb.3910:                             ;   in Loop: Header=BB6_3759 Depth=2
	s_or_saveexec_b32 s28, s28
	v_mov_b32_e32 v59, s27
	s_xor_b32 exec_lo, exec_lo, s28
	s_cbranch_execnz .LBB6_4772
.LBB6_3911:                             ;   in Loop: Header=BB6_3759 Depth=2
	s_or_b32 exec_lo, exec_lo, s28
	s_and_saveexec_b32 s27, s11
	s_cbranch_execz .LBB6_3913
.LBB6_3912:                             ;   in Loop: Header=BB6_3759 Depth=2
	v_and_b32_e32 v59, 7, v48
	v_lshrrev_b16 v62, 3, v48
	v_lshlrev_b32_e32 v63, 24, v48
	s_delay_alu instid0(VALU_DEP_3) | instskip(NEXT) | instid1(VALU_DEP_1)
	v_clz_i32_u32_e32 v60, v59
	v_min_u32_e32 v60, 32, v60
	s_delay_alu instid0(VALU_DEP_1) | instskip(SKIP_1) | instid1(VALU_DEP_2)
	v_subrev_nc_u32_e32 v61, 28, v60
	v_sub_nc_u32_e32 v60, 29, v60
	v_lshlrev_b32_e32 v61, v61, v48
	s_delay_alu instid0(VALU_DEP_1) | instskip(SKIP_1) | instid1(VALU_DEP_1)
	v_and_b32_e32 v61, 7, v61
	v_and_b32_e32 v62, 15, v62
	v_cmp_eq_u32_e32 vcc_lo, 0, v62
	s_delay_alu instid0(VALU_DEP_3) | instskip(SKIP_1) | instid1(VALU_DEP_2)
	v_dual_cndmask_b32 v59, v59, v61 :: v_dual_cndmask_b32 v60, v62, v60
	v_and_b32_e32 v61, 0x80000000, v63
	v_lshlrev_b32_e32 v59, 20, v59
	s_delay_alu instid0(VALU_DEP_3) | instskip(NEXT) | instid1(VALU_DEP_1)
	v_lshl_add_u32 v60, v60, 23, 0x3b800000
	v_or3_b32 v59, v61, v60, v59
.LBB6_3913:                             ;   in Loop: Header=BB6_3759 Depth=2
	s_or_b32 exec_lo, exec_lo, s27
	s_delay_alu instid0(VALU_DEP_1) | instskip(SKIP_1) | instid1(VALU_DEP_1)
	v_dual_max_f32 v59, v59, v59 :: v_dual_max_f32 v58, v58, v58
	s_mov_b32 s11, 0
	v_max_f32_e32 v58, v58, v59
	s_branch .LBB6_3915
.LBB6_3914:                             ;   in Loop: Header=BB6_3759 Depth=2
	s_mov_b32 s11, -1
                                        ; implicit-def: $vgpr58
.LBB6_3915:                             ;   in Loop: Header=BB6_3759 Depth=2
	s_delay_alu instid0(SALU_CYCLE_1)
	s_and_b32 vcc_lo, exec_lo, s11
	s_cbranch_vccz .LBB6_3925
; %bb.3916:                             ;   in Loop: Header=BB6_3759 Depth=2
	v_and_b32_e32 v59, 0xff, v57
	s_mov_b32 s11, 0
	s_mov_b32 s28, exec_lo
                                        ; implicit-def: $sgpr27
	s_delay_alu instid0(VALU_DEP_1)
	v_cmpx_lt_i16_e32 0x7f, v59
	s_xor_b32 s28, exec_lo, s28
	s_cbranch_execnz .LBB6_4773
; %bb.3917:                             ;   in Loop: Header=BB6_3759 Depth=2
	s_or_saveexec_b32 s28, s28
	v_mov_b32_e32 v58, s27
	s_xor_b32 exec_lo, exec_lo, s28
	s_cbranch_execnz .LBB6_4776
.LBB6_3918:                             ;   in Loop: Header=BB6_3759 Depth=2
	s_or_b32 exec_lo, exec_lo, s28
	s_and_saveexec_b32 s27, s11
	s_cbranch_execz .LBB6_3920
.LBB6_3919:                             ;   in Loop: Header=BB6_3759 Depth=2
	v_lshrrev_b16 v61, 3, v57
	s_delay_alu instid0(VALU_DEP_1) | instskip(NEXT) | instid1(VALU_DEP_1)
	v_and_b32_e32 v61, 15, v61
	v_cmp_eq_u32_e32 vcc_lo, 0, v61
	v_and_b32_e32 v58, 7, v57
	s_delay_alu instid0(VALU_DEP_1) | instskip(NEXT) | instid1(VALU_DEP_1)
	v_clz_i32_u32_e32 v59, v58
	v_min_u32_e32 v59, 32, v59
	s_delay_alu instid0(VALU_DEP_1) | instskip(SKIP_1) | instid1(VALU_DEP_1)
	v_subrev_nc_u32_e32 v60, 28, v59
	v_sub_nc_u32_e32 v59, 29, v59
	v_dual_cndmask_b32 v59, v61, v59 :: v_dual_lshlrev_b32 v60, v60, v57
	v_lshlrev_b32_e32 v57, 24, v57
	s_delay_alu instid0(VALU_DEP_2) | instskip(NEXT) | instid1(VALU_DEP_3)
	v_and_b32_e32 v60, 7, v60
	v_lshl_add_u32 v59, v59, 23, 0x3b800000
	s_delay_alu instid0(VALU_DEP_2) | instskip(NEXT) | instid1(VALU_DEP_1)
	v_dual_cndmask_b32 v58, v58, v60 :: v_dual_and_b32 v57, 0x80000000, v57
	v_lshlrev_b32_e32 v58, 20, v58
	s_delay_alu instid0(VALU_DEP_1)
	v_or3_b32 v58, v57, v59, v58
.LBB6_3920:                             ;   in Loop: Header=BB6_3759 Depth=2
	s_or_b32 exec_lo, exec_lo, s27
	s_waitcnt vmcnt(26) lgkmcnt(26)
	v_and_b32_e32 v59, 0xff, v48
	s_mov_b32 s11, 0
	s_mov_b32 s28, exec_lo
                                        ; implicit-def: $sgpr27
	s_delay_alu instid0(VALU_DEP_1)
	v_cmpx_lt_i16_e32 0x7f, v59
	s_xor_b32 s28, exec_lo, s28
	s_cbranch_execnz .LBB6_4777
; %bb.3921:                             ;   in Loop: Header=BB6_3759 Depth=2
	s_or_saveexec_b32 s28, s28
	v_mov_b32_e32 v57, s27
	s_xor_b32 exec_lo, exec_lo, s28
	s_cbranch_execnz .LBB6_4780
.LBB6_3922:                             ;   in Loop: Header=BB6_3759 Depth=2
	s_or_b32 exec_lo, exec_lo, s28
	s_and_saveexec_b32 s27, s11
	s_cbranch_execz .LBB6_3924
.LBB6_3923:                             ;   in Loop: Header=BB6_3759 Depth=2
	v_and_b32_e32 v57, 7, v48
	v_lshrrev_b16 v61, 3, v48
	s_delay_alu instid0(VALU_DEP_2) | instskip(NEXT) | instid1(VALU_DEP_2)
	v_clz_i32_u32_e32 v59, v57
	v_and_b32_e32 v61, 15, v61
	s_delay_alu instid0(VALU_DEP_2) | instskip(NEXT) | instid1(VALU_DEP_2)
	v_min_u32_e32 v59, 32, v59
	v_cmp_eq_u32_e32 vcc_lo, 0, v61
	s_delay_alu instid0(VALU_DEP_2) | instskip(SKIP_1) | instid1(VALU_DEP_1)
	v_subrev_nc_u32_e32 v60, 28, v59
	v_sub_nc_u32_e32 v59, 29, v59
	v_dual_cndmask_b32 v59, v61, v59 :: v_dual_lshlrev_b32 v60, v60, v48
	v_lshlrev_b32_e32 v48, 24, v48
	s_delay_alu instid0(VALU_DEP_2) | instskip(NEXT) | instid1(VALU_DEP_3)
	v_and_b32_e32 v60, 7, v60
	v_lshl_add_u32 v59, v59, 23, 0x3b800000
	s_delay_alu instid0(VALU_DEP_3) | instskip(NEXT) | instid1(VALU_DEP_3)
	v_and_b32_e32 v48, 0x80000000, v48
	v_cndmask_b32_e32 v57, v57, v60, vcc_lo
	s_delay_alu instid0(VALU_DEP_1) | instskip(NEXT) | instid1(VALU_DEP_1)
	v_lshlrev_b32_e32 v57, 20, v57
	v_or3_b32 v57, v48, v59, v57
.LBB6_3924:                             ;   in Loop: Header=BB6_3759 Depth=2
	s_or_b32 exec_lo, exec_lo, s27
	s_delay_alu instid0(VALU_DEP_1) | instskip(NEXT) | instid1(VALU_DEP_1)
	v_dual_max_f32 v48, v57, v57 :: v_dual_max_f32 v57, v58, v58
	v_min_f32_e32 v58, v57, v48
.LBB6_3925:                             ;   in Loop: Header=BB6_3759 Depth=2
	s_waitcnt vmcnt(26) lgkmcnt(26)
	s_delay_alu instid0(VALU_DEP_1) | instskip(NEXT) | instid1(VALU_DEP_1)
	v_and_b32_e32 v48, 0x7f800000, v58
	v_cmp_ne_u32_e32 vcc_lo, 0x7f800000, v48
	v_mov_b32_e32 v48, 0x80
	s_and_saveexec_b32 s27, vcc_lo
	s_cbranch_execz .LBB6_3933
; %bb.3926:                             ;   in Loop: Header=BB6_3759 Depth=2
	v_mov_b32_e32 v48, 0
	s_mov_b32 s28, exec_lo
	v_cmpx_ne_u32_e32 0, v58
	s_cbranch_execz .LBB6_3932
; %bb.3927:                             ;   in Loop: Header=BB6_3759 Depth=2
	v_bfe_u32 v48, v58, 23, 8
	v_and_b32_e32 v57, 0x7fffff, v58
	s_delay_alu instid0(VALU_DEP_2) | instskip(SKIP_1) | instid1(VALU_DEP_3)
	v_sub_nc_u32_e32 v59, 0x78, v48
	v_cmp_gt_u32_e32 vcc_lo, 0x79, v48
	v_or_b32_e32 v60, 0x800000, v57
	s_delay_alu instid0(VALU_DEP_3) | instskip(SKIP_2) | instid1(VALU_DEP_3)
	v_cndmask_b32_e32 v59, 0, v59, vcc_lo
	v_cmp_eq_u32_e32 vcc_lo, 0, v48
	v_add_nc_u32_e32 v48, 0xffffff89, v48
	v_cndmask_b32_e64 v59, v59, 0x77, vcc_lo
	v_cndmask_b32_e32 v57, v60, v57, vcc_lo
	s_delay_alu instid0(VALU_DEP_3) | instskip(NEXT) | instid1(VALU_DEP_3)
	v_cndmask_b32_e64 v48, v48, 0xffffff8a, vcc_lo
	v_lshl_add_u32 v60, 0x100000, v59, -1
	s_delay_alu instid0(VALU_DEP_3) | instskip(SKIP_1) | instid1(VALU_DEP_4)
	v_lshrrev_b32_e32 v61, v59, v57
	v_lshlrev_b32_e64 v63, v59, 0x80000
	v_add_nc_u32_e32 v59, v59, v48
	s_delay_alu instid0(VALU_DEP_4) | instskip(NEXT) | instid1(VALU_DEP_4)
	v_and_b32_e32 v57, v60, v57
	v_bfe_u32 v62, v61, 20, 1
	s_delay_alu instid0(VALU_DEP_2) | instskip(NEXT) | instid1(VALU_DEP_2)
	v_cmp_eq_u32_e64 s11, v57, v63
	v_add_nc_u32_e32 v60, -1, v62
	s_delay_alu instid0(VALU_DEP_1) | instskip(SKIP_2) | instid1(VALU_DEP_2)
	v_cndmask_b32_e64 v57, 0, v60, s11
	v_lshrrev_b32_e32 v60, 23, v61
	s_mov_b32 s11, exec_lo
	v_add_nc_u32_e32 v57, v57, v61
	s_delay_alu instid0(VALU_DEP_2) | instskip(NEXT) | instid1(VALU_DEP_2)
	v_xor_b32_e32 v60, 1, v60
	v_and_b32_e32 v48, 0xfffff, v57
	s_delay_alu instid0(VALU_DEP_1) | instskip(NEXT) | instid1(VALU_DEP_3)
	v_add_nc_u32_e32 v57, v48, v61
                                        ; implicit-def: $vgpr48
	v_cmpx_ne_u32_e64 v59, v60
	s_xor_b32 s11, exec_lo, s11
; %bb.3928:                             ;   in Loop: Header=BB6_3759 Depth=2
	s_delay_alu instid0(VALU_DEP_2) | instskip(SKIP_2) | instid1(VALU_DEP_2)
	v_cmp_lt_u32_e32 vcc_lo, 0xffffff, v57
	v_sub_nc_u32_e32 v48, v59, v60
	v_cndmask_b32_e64 v59, 0, 1, vcc_lo
	v_add_co_ci_u32_e32 v48, vcc_lo, 0, v48, vcc_lo
	s_delay_alu instid0(VALU_DEP_2)
	v_lshrrev_b32_e32 v57, v59, v57
; %bb.3929:                             ;   in Loop: Header=BB6_3759 Depth=2
	s_and_not1_saveexec_b32 s11, s11
; %bb.3930:                             ;   in Loop: Header=BB6_3759 Depth=2
	s_delay_alu instid0(VALU_DEP_1)
	v_bfe_u32 v48, v57, 23, 1
; %bb.3931:                             ;   in Loop: Header=BB6_3759 Depth=2
	s_or_b32 exec_lo, exec_lo, s11
	v_lshrrev_b32_e32 v57, 20, v57
	s_delay_alu instid0(VALU_DEP_2) | instskip(SKIP_2) | instid1(VALU_DEP_2)
	v_cmp_gt_i32_e32 vcc_lo, 16, v48
	v_lshrrev_b32_e32 v58, 24, v58
	v_min_i32_e32 v59, 15, v48
	v_dual_cndmask_b32 v57, 7, v57 :: v_dual_and_b32 v58, 0x80, v58
	s_delay_alu instid0(VALU_DEP_1) | instskip(SKIP_1) | instid1(VALU_DEP_2)
	v_or_b32_e32 v48, v48, v57
	v_and_b32_e32 v60, 7, v57
	v_cmp_ne_u32_e32 vcc_lo, 0, v48
	v_lshlrev_b32_e32 v59, 3, v59
	s_delay_alu instid0(VALU_DEP_1) | instskip(NEXT) | instid1(VALU_DEP_1)
	v_or3_b32 v57, v59, v58, v60
	v_cndmask_b32_e32 v48, 0, v57, vcc_lo
.LBB6_3932:                             ;   in Loop: Header=BB6_3759 Depth=2
	s_or_b32 exec_lo, exec_lo, s28
.LBB6_3933:                             ;   in Loop: Header=BB6_3759 Depth=2
	s_delay_alu instid0(SALU_CYCLE_1) | instskip(NEXT) | instid1(SALU_CYCLE_1)
	s_or_b32 exec_lo, exec_lo, s27
	s_and_not1_b32 vcc_lo, exec_lo, s25
	s_cbranch_vccnz .LBB6_3943
; %bb.3934:                             ;   in Loop: Header=BB6_3759 Depth=2
	v_and_b32_e32 v58, 0xff, v56
	s_mov_b32 s11, 0
	s_mov_b32 s28, exec_lo
                                        ; implicit-def: $sgpr27
	s_delay_alu instid0(VALU_DEP_1)
	v_cmpx_lt_i16_e32 0x7f, v58
	s_xor_b32 s28, exec_lo, s28
	s_cbranch_execnz .LBB6_4781
; %bb.3935:                             ;   in Loop: Header=BB6_3759 Depth=2
	s_or_saveexec_b32 s28, s28
	v_mov_b32_e32 v57, s27
	s_xor_b32 exec_lo, exec_lo, s28
	s_cbranch_execnz .LBB6_4784
.LBB6_3936:                             ;   in Loop: Header=BB6_3759 Depth=2
	s_or_b32 exec_lo, exec_lo, s28
	s_and_saveexec_b32 s27, s11
	s_cbranch_execz .LBB6_3938
.LBB6_3937:                             ;   in Loop: Header=BB6_3759 Depth=2
	v_lshrrev_b16 v60, 3, v56
	v_lshlrev_b32_e32 v61, 24, v56
	s_delay_alu instid0(VALU_DEP_2) | instskip(NEXT) | instid1(VALU_DEP_1)
	v_and_b32_e32 v60, 15, v60
	v_cmp_eq_u32_e32 vcc_lo, 0, v60
	v_and_b32_e32 v57, 7, v56
	s_delay_alu instid0(VALU_DEP_1) | instskip(NEXT) | instid1(VALU_DEP_1)
	v_clz_i32_u32_e32 v58, v57
	v_min_u32_e32 v58, 32, v58
	s_delay_alu instid0(VALU_DEP_1) | instskip(SKIP_1) | instid1(VALU_DEP_1)
	v_subrev_nc_u32_e32 v59, 28, v58
	v_sub_nc_u32_e32 v58, 29, v58
	v_dual_cndmask_b32 v58, v60, v58 :: v_dual_lshlrev_b32 v59, v59, v56
	s_delay_alu instid0(VALU_DEP_1) | instskip(NEXT) | instid1(VALU_DEP_2)
	v_and_b32_e32 v59, 7, v59
	v_lshl_add_u32 v58, v58, 23, 0x3b800000
	s_delay_alu instid0(VALU_DEP_2) | instskip(SKIP_1) | instid1(VALU_DEP_2)
	v_cndmask_b32_e32 v57, v57, v59, vcc_lo
	v_and_b32_e32 v59, 0x80000000, v61
	v_lshlrev_b32_e32 v57, 20, v57
	s_delay_alu instid0(VALU_DEP_1)
	v_or3_b32 v57, v59, v58, v57
.LBB6_3938:                             ;   in Loop: Header=BB6_3759 Depth=2
	s_or_b32 exec_lo, exec_lo, s27
	s_waitcnt vmcnt(25) lgkmcnt(25)
	v_and_b32_e32 v59, 0xff, v51
	s_mov_b32 s11, 0
	s_mov_b32 s28, exec_lo
                                        ; implicit-def: $sgpr27
	s_delay_alu instid0(VALU_DEP_1)
	v_cmpx_lt_i16_e32 0x7f, v59
	s_xor_b32 s28, exec_lo, s28
	s_cbranch_execnz .LBB6_4785
; %bb.3939:                             ;   in Loop: Header=BB6_3759 Depth=2
	s_or_saveexec_b32 s28, s28
	v_mov_b32_e32 v58, s27
	s_xor_b32 exec_lo, exec_lo, s28
	s_cbranch_execnz .LBB6_4788
.LBB6_3940:                             ;   in Loop: Header=BB6_3759 Depth=2
	s_or_b32 exec_lo, exec_lo, s28
	s_and_saveexec_b32 s27, s11
	s_cbranch_execz .LBB6_3942
.LBB6_3941:                             ;   in Loop: Header=BB6_3759 Depth=2
	v_and_b32_e32 v58, 7, v51
	v_lshrrev_b16 v61, 3, v51
	v_lshlrev_b32_e32 v62, 24, v51
	s_delay_alu instid0(VALU_DEP_3) | instskip(NEXT) | instid1(VALU_DEP_1)
	v_clz_i32_u32_e32 v59, v58
	v_min_u32_e32 v59, 32, v59
	s_delay_alu instid0(VALU_DEP_1) | instskip(SKIP_1) | instid1(VALU_DEP_2)
	v_subrev_nc_u32_e32 v60, 28, v59
	v_sub_nc_u32_e32 v59, 29, v59
	v_lshlrev_b32_e32 v60, v60, v51
	s_delay_alu instid0(VALU_DEP_1) | instskip(SKIP_1) | instid1(VALU_DEP_1)
	v_and_b32_e32 v60, 7, v60
	v_and_b32_e32 v61, 15, v61
	v_cmp_eq_u32_e32 vcc_lo, 0, v61
	s_delay_alu instid0(VALU_DEP_3) | instskip(SKIP_1) | instid1(VALU_DEP_2)
	v_dual_cndmask_b32 v58, v58, v60 :: v_dual_cndmask_b32 v59, v61, v59
	v_and_b32_e32 v60, 0x80000000, v62
	v_lshlrev_b32_e32 v58, 20, v58
	s_delay_alu instid0(VALU_DEP_3) | instskip(NEXT) | instid1(VALU_DEP_1)
	v_lshl_add_u32 v59, v59, 23, 0x3b800000
	v_or3_b32 v58, v60, v59, v58
.LBB6_3942:                             ;   in Loop: Header=BB6_3759 Depth=2
	s_or_b32 exec_lo, exec_lo, s27
	s_delay_alu instid0(VALU_DEP_1) | instskip(SKIP_1) | instid1(VALU_DEP_1)
	v_dual_max_f32 v58, v58, v58 :: v_dual_max_f32 v57, v57, v57
	s_mov_b32 s11, 0
	v_max_f32_e32 v57, v57, v58
	s_branch .LBB6_3944
.LBB6_3943:                             ;   in Loop: Header=BB6_3759 Depth=2
	s_mov_b32 s11, -1
                                        ; implicit-def: $vgpr57
.LBB6_3944:                             ;   in Loop: Header=BB6_3759 Depth=2
	s_delay_alu instid0(SALU_CYCLE_1)
	s_and_b32 vcc_lo, exec_lo, s11
	s_cbranch_vccz .LBB6_3954
; %bb.3945:                             ;   in Loop: Header=BB6_3759 Depth=2
	v_and_b32_e32 v58, 0xff, v56
	s_mov_b32 s11, 0
	s_mov_b32 s28, exec_lo
                                        ; implicit-def: $sgpr27
	s_delay_alu instid0(VALU_DEP_1)
	v_cmpx_lt_i16_e32 0x7f, v58
	s_xor_b32 s28, exec_lo, s28
	s_cbranch_execnz .LBB6_4789
; %bb.3946:                             ;   in Loop: Header=BB6_3759 Depth=2
	s_or_saveexec_b32 s28, s28
	v_mov_b32_e32 v57, s27
	s_xor_b32 exec_lo, exec_lo, s28
	s_cbranch_execnz .LBB6_4792
.LBB6_3947:                             ;   in Loop: Header=BB6_3759 Depth=2
	s_or_b32 exec_lo, exec_lo, s28
	s_and_saveexec_b32 s27, s11
	s_cbranch_execz .LBB6_3949
.LBB6_3948:                             ;   in Loop: Header=BB6_3759 Depth=2
	v_lshrrev_b16 v60, 3, v56
	s_delay_alu instid0(VALU_DEP_1) | instskip(NEXT) | instid1(VALU_DEP_1)
	v_and_b32_e32 v60, 15, v60
	v_cmp_eq_u32_e32 vcc_lo, 0, v60
	v_and_b32_e32 v57, 7, v56
	s_delay_alu instid0(VALU_DEP_1) | instskip(NEXT) | instid1(VALU_DEP_1)
	v_clz_i32_u32_e32 v58, v57
	v_min_u32_e32 v58, 32, v58
	s_delay_alu instid0(VALU_DEP_1) | instskip(SKIP_1) | instid1(VALU_DEP_1)
	v_subrev_nc_u32_e32 v59, 28, v58
	v_sub_nc_u32_e32 v58, 29, v58
	v_dual_cndmask_b32 v58, v60, v58 :: v_dual_lshlrev_b32 v59, v59, v56
	v_lshlrev_b32_e32 v56, 24, v56
	s_delay_alu instid0(VALU_DEP_2) | instskip(NEXT) | instid1(VALU_DEP_3)
	v_and_b32_e32 v59, 7, v59
	v_lshl_add_u32 v58, v58, 23, 0x3b800000
	s_delay_alu instid0(VALU_DEP_2) | instskip(NEXT) | instid1(VALU_DEP_1)
	v_dual_cndmask_b32 v57, v57, v59 :: v_dual_and_b32 v56, 0x80000000, v56
	v_lshlrev_b32_e32 v57, 20, v57
	s_delay_alu instid0(VALU_DEP_1)
	v_or3_b32 v57, v56, v58, v57
.LBB6_3949:                             ;   in Loop: Header=BB6_3759 Depth=2
	s_or_b32 exec_lo, exec_lo, s27
	s_waitcnt vmcnt(25) lgkmcnt(25)
	v_and_b32_e32 v58, 0xff, v51
	s_mov_b32 s11, 0
	s_mov_b32 s28, exec_lo
                                        ; implicit-def: $sgpr27
	s_delay_alu instid0(VALU_DEP_1)
	v_cmpx_lt_i16_e32 0x7f, v58
	s_xor_b32 s28, exec_lo, s28
	s_cbranch_execnz .LBB6_4793
; %bb.3950:                             ;   in Loop: Header=BB6_3759 Depth=2
	s_or_saveexec_b32 s28, s28
	v_mov_b32_e32 v56, s27
	s_xor_b32 exec_lo, exec_lo, s28
	s_cbranch_execnz .LBB6_4796
.LBB6_3951:                             ;   in Loop: Header=BB6_3759 Depth=2
	s_or_b32 exec_lo, exec_lo, s28
	s_and_saveexec_b32 s27, s11
	s_cbranch_execz .LBB6_3953
.LBB6_3952:                             ;   in Loop: Header=BB6_3759 Depth=2
	v_and_b32_e32 v56, 7, v51
	v_lshrrev_b16 v60, 3, v51
	s_delay_alu instid0(VALU_DEP_2) | instskip(NEXT) | instid1(VALU_DEP_2)
	v_clz_i32_u32_e32 v58, v56
	v_and_b32_e32 v60, 15, v60
	s_delay_alu instid0(VALU_DEP_2) | instskip(NEXT) | instid1(VALU_DEP_2)
	v_min_u32_e32 v58, 32, v58
	v_cmp_eq_u32_e32 vcc_lo, 0, v60
	s_delay_alu instid0(VALU_DEP_2) | instskip(SKIP_1) | instid1(VALU_DEP_1)
	v_subrev_nc_u32_e32 v59, 28, v58
	v_sub_nc_u32_e32 v58, 29, v58
	v_dual_cndmask_b32 v58, v60, v58 :: v_dual_lshlrev_b32 v59, v59, v51
	v_lshlrev_b32_e32 v51, 24, v51
	s_delay_alu instid0(VALU_DEP_2) | instskip(NEXT) | instid1(VALU_DEP_3)
	v_and_b32_e32 v59, 7, v59
	v_lshl_add_u32 v58, v58, 23, 0x3b800000
	s_delay_alu instid0(VALU_DEP_3) | instskip(NEXT) | instid1(VALU_DEP_3)
	v_and_b32_e32 v51, 0x80000000, v51
	v_cndmask_b32_e32 v56, v56, v59, vcc_lo
	s_delay_alu instid0(VALU_DEP_1) | instskip(NEXT) | instid1(VALU_DEP_1)
	v_lshlrev_b32_e32 v56, 20, v56
	v_or3_b32 v56, v51, v58, v56
.LBB6_3953:                             ;   in Loop: Header=BB6_3759 Depth=2
	s_or_b32 exec_lo, exec_lo, s27
	s_delay_alu instid0(VALU_DEP_1) | instskip(NEXT) | instid1(VALU_DEP_1)
	v_dual_max_f32 v51, v56, v56 :: v_dual_max_f32 v56, v57, v57
	v_min_f32_e32 v57, v56, v51
.LBB6_3954:                             ;   in Loop: Header=BB6_3759 Depth=2
	s_waitcnt vmcnt(25) lgkmcnt(25)
	s_delay_alu instid0(VALU_DEP_1) | instskip(NEXT) | instid1(VALU_DEP_1)
	v_and_b32_e32 v51, 0x7f800000, v57
	v_cmp_ne_u32_e32 vcc_lo, 0x7f800000, v51
	v_mov_b32_e32 v51, 0x80
	s_and_saveexec_b32 s27, vcc_lo
	s_cbranch_execz .LBB6_3962
; %bb.3955:                             ;   in Loop: Header=BB6_3759 Depth=2
	v_mov_b32_e32 v51, 0
	s_mov_b32 s28, exec_lo
	v_cmpx_ne_u32_e32 0, v57
	s_cbranch_execz .LBB6_3961
; %bb.3956:                             ;   in Loop: Header=BB6_3759 Depth=2
	v_bfe_u32 v51, v57, 23, 8
	v_and_b32_e32 v56, 0x7fffff, v57
	s_delay_alu instid0(VALU_DEP_2) | instskip(SKIP_1) | instid1(VALU_DEP_3)
	v_sub_nc_u32_e32 v58, 0x78, v51
	v_cmp_gt_u32_e32 vcc_lo, 0x79, v51
	v_or_b32_e32 v59, 0x800000, v56
	s_delay_alu instid0(VALU_DEP_3) | instskip(SKIP_2) | instid1(VALU_DEP_3)
	v_cndmask_b32_e32 v58, 0, v58, vcc_lo
	v_cmp_eq_u32_e32 vcc_lo, 0, v51
	v_add_nc_u32_e32 v51, 0xffffff89, v51
	v_cndmask_b32_e64 v58, v58, 0x77, vcc_lo
	v_cndmask_b32_e32 v56, v59, v56, vcc_lo
	s_delay_alu instid0(VALU_DEP_3) | instskip(NEXT) | instid1(VALU_DEP_3)
	v_cndmask_b32_e64 v51, v51, 0xffffff8a, vcc_lo
	v_lshl_add_u32 v59, 0x100000, v58, -1
	s_delay_alu instid0(VALU_DEP_3) | instskip(SKIP_1) | instid1(VALU_DEP_4)
	v_lshrrev_b32_e32 v60, v58, v56
	v_lshlrev_b32_e64 v62, v58, 0x80000
	v_add_nc_u32_e32 v58, v58, v51
	s_delay_alu instid0(VALU_DEP_4) | instskip(NEXT) | instid1(VALU_DEP_4)
	v_and_b32_e32 v56, v59, v56
	v_bfe_u32 v61, v60, 20, 1
	s_delay_alu instid0(VALU_DEP_2) | instskip(NEXT) | instid1(VALU_DEP_2)
	v_cmp_eq_u32_e64 s11, v56, v62
	v_add_nc_u32_e32 v59, -1, v61
	s_delay_alu instid0(VALU_DEP_1) | instskip(SKIP_2) | instid1(VALU_DEP_2)
	v_cndmask_b32_e64 v56, 0, v59, s11
	v_lshrrev_b32_e32 v59, 23, v60
	s_mov_b32 s11, exec_lo
	v_add_nc_u32_e32 v56, v56, v60
	s_delay_alu instid0(VALU_DEP_2) | instskip(NEXT) | instid1(VALU_DEP_2)
	v_xor_b32_e32 v59, 1, v59
	v_and_b32_e32 v51, 0xfffff, v56
	s_delay_alu instid0(VALU_DEP_1) | instskip(NEXT) | instid1(VALU_DEP_3)
	v_add_nc_u32_e32 v56, v51, v60
                                        ; implicit-def: $vgpr51
	v_cmpx_ne_u32_e64 v58, v59
	s_xor_b32 s11, exec_lo, s11
; %bb.3957:                             ;   in Loop: Header=BB6_3759 Depth=2
	s_delay_alu instid0(VALU_DEP_2) | instskip(SKIP_2) | instid1(VALU_DEP_2)
	v_cmp_lt_u32_e32 vcc_lo, 0xffffff, v56
	v_sub_nc_u32_e32 v51, v58, v59
	v_cndmask_b32_e64 v58, 0, 1, vcc_lo
	v_add_co_ci_u32_e32 v51, vcc_lo, 0, v51, vcc_lo
	s_delay_alu instid0(VALU_DEP_2)
	v_lshrrev_b32_e32 v56, v58, v56
; %bb.3958:                             ;   in Loop: Header=BB6_3759 Depth=2
	s_and_not1_saveexec_b32 s11, s11
; %bb.3959:                             ;   in Loop: Header=BB6_3759 Depth=2
	s_delay_alu instid0(VALU_DEP_1)
	v_bfe_u32 v51, v56, 23, 1
; %bb.3960:                             ;   in Loop: Header=BB6_3759 Depth=2
	s_or_b32 exec_lo, exec_lo, s11
	v_lshrrev_b32_e32 v56, 20, v56
	s_delay_alu instid0(VALU_DEP_2) | instskip(SKIP_2) | instid1(VALU_DEP_2)
	v_cmp_gt_i32_e32 vcc_lo, 16, v51
	v_lshrrev_b32_e32 v57, 24, v57
	v_min_i32_e32 v58, 15, v51
	v_dual_cndmask_b32 v56, 7, v56 :: v_dual_and_b32 v57, 0x80, v57
	s_delay_alu instid0(VALU_DEP_1) | instskip(SKIP_1) | instid1(VALU_DEP_2)
	v_or_b32_e32 v51, v51, v56
	v_and_b32_e32 v59, 7, v56
	v_cmp_ne_u32_e32 vcc_lo, 0, v51
	v_lshlrev_b32_e32 v58, 3, v58
	s_delay_alu instid0(VALU_DEP_1) | instskip(NEXT) | instid1(VALU_DEP_1)
	v_or3_b32 v56, v58, v57, v59
	v_cndmask_b32_e32 v51, 0, v56, vcc_lo
.LBB6_3961:                             ;   in Loop: Header=BB6_3759 Depth=2
	s_or_b32 exec_lo, exec_lo, s28
.LBB6_3962:                             ;   in Loop: Header=BB6_3759 Depth=2
	s_delay_alu instid0(SALU_CYCLE_1) | instskip(NEXT) | instid1(SALU_CYCLE_1)
	s_or_b32 exec_lo, exec_lo, s27
	s_and_not1_b32 vcc_lo, exec_lo, s25
	s_cbranch_vccnz .LBB6_3972
; %bb.3963:                             ;   in Loop: Header=BB6_3759 Depth=2
	v_and_b32_e32 v57, 0xff, v47
	s_mov_b32 s11, 0
	s_mov_b32 s28, exec_lo
                                        ; implicit-def: $sgpr27
	s_delay_alu instid0(VALU_DEP_1)
	v_cmpx_lt_i16_e32 0x7f, v57
	s_xor_b32 s28, exec_lo, s28
	s_cbranch_execnz .LBB6_4797
; %bb.3964:                             ;   in Loop: Header=BB6_3759 Depth=2
	s_or_saveexec_b32 s28, s28
	v_mov_b32_e32 v56, s27
	s_xor_b32 exec_lo, exec_lo, s28
	s_cbranch_execnz .LBB6_4800
.LBB6_3965:                             ;   in Loop: Header=BB6_3759 Depth=2
	s_or_b32 exec_lo, exec_lo, s28
	s_and_saveexec_b32 s27, s11
	s_cbranch_execz .LBB6_3967
.LBB6_3966:                             ;   in Loop: Header=BB6_3759 Depth=2
	v_lshrrev_b16 v59, 3, v47
	v_lshlrev_b32_e32 v60, 24, v47
	s_delay_alu instid0(VALU_DEP_2) | instskip(NEXT) | instid1(VALU_DEP_1)
	v_and_b32_e32 v59, 15, v59
	v_cmp_eq_u32_e32 vcc_lo, 0, v59
	v_and_b32_e32 v56, 7, v47
	s_delay_alu instid0(VALU_DEP_1) | instskip(NEXT) | instid1(VALU_DEP_1)
	v_clz_i32_u32_e32 v57, v56
	v_min_u32_e32 v57, 32, v57
	s_delay_alu instid0(VALU_DEP_1) | instskip(SKIP_1) | instid1(VALU_DEP_1)
	v_subrev_nc_u32_e32 v58, 28, v57
	v_sub_nc_u32_e32 v57, 29, v57
	v_dual_cndmask_b32 v57, v59, v57 :: v_dual_lshlrev_b32 v58, v58, v47
	s_delay_alu instid0(VALU_DEP_1) | instskip(NEXT) | instid1(VALU_DEP_2)
	v_and_b32_e32 v58, 7, v58
	v_lshl_add_u32 v57, v57, 23, 0x3b800000
	s_delay_alu instid0(VALU_DEP_2) | instskip(SKIP_1) | instid1(VALU_DEP_2)
	v_cndmask_b32_e32 v56, v56, v58, vcc_lo
	v_and_b32_e32 v58, 0x80000000, v60
	v_lshlrev_b32_e32 v56, 20, v56
	s_delay_alu instid0(VALU_DEP_1)
	v_or3_b32 v56, v58, v57, v56
.LBB6_3967:                             ;   in Loop: Header=BB6_3759 Depth=2
	s_or_b32 exec_lo, exec_lo, s27
	s_waitcnt vmcnt(24) lgkmcnt(24)
	v_and_b32_e32 v58, 0xff, v99
	s_mov_b32 s11, 0
	s_mov_b32 s28, exec_lo
                                        ; implicit-def: $sgpr27
	s_delay_alu instid0(VALU_DEP_1)
	v_cmpx_lt_i16_e32 0x7f, v58
	s_xor_b32 s28, exec_lo, s28
	s_cbranch_execnz .LBB6_4801
; %bb.3968:                             ;   in Loop: Header=BB6_3759 Depth=2
	s_or_saveexec_b32 s28, s28
	v_mov_b32_e32 v57, s27
	s_xor_b32 exec_lo, exec_lo, s28
	s_cbranch_execnz .LBB6_4804
.LBB6_3969:                             ;   in Loop: Header=BB6_3759 Depth=2
	s_or_b32 exec_lo, exec_lo, s28
	s_and_saveexec_b32 s27, s11
	s_cbranch_execz .LBB6_3971
.LBB6_3970:                             ;   in Loop: Header=BB6_3759 Depth=2
	v_lshrrev_b16 v60, 3, v99
	v_lshlrev_b32_e32 v61, 24, v99
	s_delay_alu instid0(VALU_DEP_2) | instskip(NEXT) | instid1(VALU_DEP_1)
	v_and_b32_e32 v60, 15, v60
	v_cmp_eq_u32_e32 vcc_lo, 0, v60
	v_and_b32_e32 v57, 7, v99
	s_delay_alu instid0(VALU_DEP_1) | instskip(NEXT) | instid1(VALU_DEP_1)
	v_clz_i32_u32_e32 v58, v57
	v_min_u32_e32 v58, 32, v58
	s_delay_alu instid0(VALU_DEP_1) | instskip(SKIP_1) | instid1(VALU_DEP_1)
	v_subrev_nc_u32_e32 v59, 28, v58
	v_sub_nc_u32_e32 v58, 29, v58
	v_dual_cndmask_b32 v58, v60, v58 :: v_dual_lshlrev_b32 v59, v59, v99
	s_delay_alu instid0(VALU_DEP_1) | instskip(NEXT) | instid1(VALU_DEP_2)
	v_and_b32_e32 v59, 7, v59
	v_lshl_add_u32 v58, v58, 23, 0x3b800000
	s_delay_alu instid0(VALU_DEP_2) | instskip(SKIP_1) | instid1(VALU_DEP_2)
	v_cndmask_b32_e32 v57, v57, v59, vcc_lo
	v_and_b32_e32 v59, 0x80000000, v61
	v_lshlrev_b32_e32 v57, 20, v57
	s_delay_alu instid0(VALU_DEP_1)
	v_or3_b32 v57, v59, v58, v57
.LBB6_3971:                             ;   in Loop: Header=BB6_3759 Depth=2
	s_or_b32 exec_lo, exec_lo, s27
	s_delay_alu instid0(VALU_DEP_1) | instskip(SKIP_1) | instid1(VALU_DEP_1)
	v_dual_max_f32 v57, v57, v57 :: v_dual_max_f32 v56, v56, v56
	s_mov_b32 s11, 0
	v_max_f32_e32 v56, v56, v57
	s_branch .LBB6_3973
.LBB6_3972:                             ;   in Loop: Header=BB6_3759 Depth=2
	s_mov_b32 s11, -1
                                        ; implicit-def: $vgpr56
.LBB6_3973:                             ;   in Loop: Header=BB6_3759 Depth=2
	s_delay_alu instid0(SALU_CYCLE_1)
	s_and_b32 vcc_lo, exec_lo, s11
	s_cbranch_vccz .LBB6_3983
; %bb.3974:                             ;   in Loop: Header=BB6_3759 Depth=2
	v_and_b32_e32 v57, 0xff, v47
	s_mov_b32 s11, 0
	s_mov_b32 s28, exec_lo
                                        ; implicit-def: $sgpr27
	s_delay_alu instid0(VALU_DEP_1)
	v_cmpx_lt_i16_e32 0x7f, v57
	s_xor_b32 s28, exec_lo, s28
	s_cbranch_execnz .LBB6_4805
; %bb.3975:                             ;   in Loop: Header=BB6_3759 Depth=2
	s_or_saveexec_b32 s28, s28
	v_mov_b32_e32 v56, s27
	s_xor_b32 exec_lo, exec_lo, s28
	s_cbranch_execnz .LBB6_4808
.LBB6_3976:                             ;   in Loop: Header=BB6_3759 Depth=2
	s_or_b32 exec_lo, exec_lo, s28
	s_and_saveexec_b32 s27, s11
	s_cbranch_execz .LBB6_3978
.LBB6_3977:                             ;   in Loop: Header=BB6_3759 Depth=2
	v_lshrrev_b16 v59, 3, v47
	s_delay_alu instid0(VALU_DEP_1) | instskip(NEXT) | instid1(VALU_DEP_1)
	v_and_b32_e32 v59, 15, v59
	v_cmp_eq_u32_e32 vcc_lo, 0, v59
	v_and_b32_e32 v56, 7, v47
	s_delay_alu instid0(VALU_DEP_1) | instskip(NEXT) | instid1(VALU_DEP_1)
	v_clz_i32_u32_e32 v57, v56
	v_min_u32_e32 v57, 32, v57
	s_delay_alu instid0(VALU_DEP_1) | instskip(SKIP_1) | instid1(VALU_DEP_1)
	v_subrev_nc_u32_e32 v58, 28, v57
	v_sub_nc_u32_e32 v57, 29, v57
	v_dual_cndmask_b32 v57, v59, v57 :: v_dual_lshlrev_b32 v58, v58, v47
	v_lshlrev_b32_e32 v47, 24, v47
	s_delay_alu instid0(VALU_DEP_2) | instskip(NEXT) | instid1(VALU_DEP_3)
	v_and_b32_e32 v58, 7, v58
	v_lshl_add_u32 v57, v57, 23, 0x3b800000
	s_delay_alu instid0(VALU_DEP_2) | instskip(NEXT) | instid1(VALU_DEP_1)
	v_dual_cndmask_b32 v56, v56, v58 :: v_dual_and_b32 v47, 0x80000000, v47
	v_lshlrev_b32_e32 v56, 20, v56
	s_delay_alu instid0(VALU_DEP_1)
	v_or3_b32 v56, v47, v57, v56
.LBB6_3978:                             ;   in Loop: Header=BB6_3759 Depth=2
	s_or_b32 exec_lo, exec_lo, s27
	s_waitcnt vmcnt(24) lgkmcnt(24)
	v_and_b32_e32 v57, 0xff, v99
	s_mov_b32 s11, 0
	s_mov_b32 s28, exec_lo
                                        ; implicit-def: $sgpr27
	s_delay_alu instid0(VALU_DEP_1)
	v_cmpx_lt_i16_e32 0x7f, v57
	s_xor_b32 s28, exec_lo, s28
	s_cbranch_execnz .LBB6_4809
; %bb.3979:                             ;   in Loop: Header=BB6_3759 Depth=2
	s_or_saveexec_b32 s28, s28
	v_mov_b32_e32 v47, s27
	s_xor_b32 exec_lo, exec_lo, s28
	s_cbranch_execnz .LBB6_4812
.LBB6_3980:                             ;   in Loop: Header=BB6_3759 Depth=2
	s_or_b32 exec_lo, exec_lo, s28
	s_and_saveexec_b32 s27, s11
	s_cbranch_execz .LBB6_3982
.LBB6_3981:                             ;   in Loop: Header=BB6_3759 Depth=2
	v_and_b32_e32 v47, 7, v99
	v_lshrrev_b16 v59, 3, v99
	s_delay_alu instid0(VALU_DEP_2) | instskip(NEXT) | instid1(VALU_DEP_2)
	v_clz_i32_u32_e32 v57, v47
	v_and_b32_e32 v59, 15, v59
	s_delay_alu instid0(VALU_DEP_2) | instskip(NEXT) | instid1(VALU_DEP_2)
	v_min_u32_e32 v57, 32, v57
	v_cmp_eq_u32_e32 vcc_lo, 0, v59
	s_delay_alu instid0(VALU_DEP_2) | instskip(SKIP_1) | instid1(VALU_DEP_1)
	v_subrev_nc_u32_e32 v58, 28, v57
	v_sub_nc_u32_e32 v57, 29, v57
	v_dual_cndmask_b32 v57, v59, v57 :: v_dual_lshlrev_b32 v58, v58, v99
	v_lshlrev_b32_e32 v99, 24, v99
	s_delay_alu instid0(VALU_DEP_2) | instskip(NEXT) | instid1(VALU_DEP_3)
	v_and_b32_e32 v58, 7, v58
	v_lshl_add_u32 v57, v57, 23, 0x3b800000
	s_delay_alu instid0(VALU_DEP_3) | instskip(NEXT) | instid1(VALU_DEP_3)
	v_and_b32_e32 v99, 0x80000000, v99
	v_cndmask_b32_e32 v47, v47, v58, vcc_lo
	s_delay_alu instid0(VALU_DEP_1) | instskip(NEXT) | instid1(VALU_DEP_1)
	v_lshlrev_b32_e32 v47, 20, v47
	v_or3_b32 v47, v99, v57, v47
.LBB6_3982:                             ;   in Loop: Header=BB6_3759 Depth=2
	s_or_b32 exec_lo, exec_lo, s27
	s_delay_alu instid0(VALU_DEP_1) | instskip(SKIP_1) | instid1(VALU_DEP_1)
	v_max_f32_e32 v99, v47, v47
	v_max_f32_e32 v47, v56, v56
	v_min_f32_e32 v56, v47, v99
.LBB6_3983:                             ;   in Loop: Header=BB6_3759 Depth=2
	s_waitcnt vmcnt(24) lgkmcnt(24)
	s_delay_alu instid0(VALU_DEP_1) | instskip(NEXT) | instid1(VALU_DEP_1)
	v_and_b32_e32 v99, 0x7f800000, v56
	v_cmp_ne_u32_e32 vcc_lo, 0x7f800000, v99
	v_mov_b32_e32 v99, 0x80
	s_and_saveexec_b32 s27, vcc_lo
	s_cbranch_execz .LBB6_3991
; %bb.3984:                             ;   in Loop: Header=BB6_3759 Depth=2
	v_mov_b32_e32 v99, 0
	s_mov_b32 s28, exec_lo
	v_cmpx_ne_u32_e32 0, v56
	s_cbranch_execz .LBB6_3990
; %bb.3985:                             ;   in Loop: Header=BB6_3759 Depth=2
	v_bfe_u32 v99, v56, 23, 8
	v_and_b32_e32 v47, 0x7fffff, v56
	s_delay_alu instid0(VALU_DEP_2) | instskip(SKIP_1) | instid1(VALU_DEP_3)
	v_sub_nc_u32_e32 v57, 0x78, v99
	v_cmp_gt_u32_e32 vcc_lo, 0x79, v99
	v_or_b32_e32 v58, 0x800000, v47
	s_delay_alu instid0(VALU_DEP_3) | instskip(SKIP_2) | instid1(VALU_DEP_3)
	v_cndmask_b32_e32 v57, 0, v57, vcc_lo
	v_cmp_eq_u32_e32 vcc_lo, 0, v99
	v_add_nc_u32_e32 v99, 0xffffff89, v99
	v_cndmask_b32_e64 v57, v57, 0x77, vcc_lo
	v_cndmask_b32_e32 v47, v58, v47, vcc_lo
	s_delay_alu instid0(VALU_DEP_3) | instskip(NEXT) | instid1(VALU_DEP_3)
	v_cndmask_b32_e64 v99, v99, 0xffffff8a, vcc_lo
	v_lshl_add_u32 v58, 0x100000, v57, -1
	s_delay_alu instid0(VALU_DEP_3) | instskip(SKIP_1) | instid1(VALU_DEP_4)
	v_lshrrev_b32_e32 v59, v57, v47
	v_lshlrev_b32_e64 v61, v57, 0x80000
	v_add_nc_u32_e32 v57, v57, v99
	s_delay_alu instid0(VALU_DEP_4) | instskip(NEXT) | instid1(VALU_DEP_4)
	v_and_b32_e32 v47, v58, v47
	v_bfe_u32 v60, v59, 20, 1
	s_delay_alu instid0(VALU_DEP_2) | instskip(NEXT) | instid1(VALU_DEP_2)
	v_cmp_eq_u32_e64 s11, v47, v61
	v_add_nc_u32_e32 v58, -1, v60
	s_delay_alu instid0(VALU_DEP_1) | instskip(SKIP_2) | instid1(VALU_DEP_2)
	v_cndmask_b32_e64 v47, 0, v58, s11
	v_lshrrev_b32_e32 v58, 23, v59
	s_mov_b32 s11, exec_lo
	v_add_nc_u32_e32 v47, v47, v59
	s_delay_alu instid0(VALU_DEP_2) | instskip(NEXT) | instid1(VALU_DEP_2)
	v_xor_b32_e32 v58, 1, v58
	v_and_b32_e32 v99, 0xfffff, v47
	s_delay_alu instid0(VALU_DEP_1) | instskip(NEXT) | instid1(VALU_DEP_3)
	v_add_nc_u32_e32 v47, v99, v59
                                        ; implicit-def: $vgpr99
	v_cmpx_ne_u32_e64 v57, v58
	s_xor_b32 s11, exec_lo, s11
; %bb.3986:                             ;   in Loop: Header=BB6_3759 Depth=2
	s_delay_alu instid0(VALU_DEP_2) | instskip(SKIP_2) | instid1(VALU_DEP_2)
	v_cmp_lt_u32_e32 vcc_lo, 0xffffff, v47
	v_sub_nc_u32_e32 v99, v57, v58
	v_cndmask_b32_e64 v57, 0, 1, vcc_lo
	v_add_co_ci_u32_e32 v99, vcc_lo, 0, v99, vcc_lo
	s_delay_alu instid0(VALU_DEP_2)
	v_lshrrev_b32_e32 v47, v57, v47
; %bb.3987:                             ;   in Loop: Header=BB6_3759 Depth=2
	s_and_not1_saveexec_b32 s11, s11
; %bb.3988:                             ;   in Loop: Header=BB6_3759 Depth=2
	s_delay_alu instid0(VALU_DEP_1)
	v_bfe_u32 v99, v47, 23, 1
; %bb.3989:                             ;   in Loop: Header=BB6_3759 Depth=2
	s_or_b32 exec_lo, exec_lo, s11
	v_lshrrev_b32_e32 v47, 20, v47
	s_delay_alu instid0(VALU_DEP_2) | instskip(SKIP_2) | instid1(VALU_DEP_2)
	v_cmp_gt_i32_e32 vcc_lo, 16, v99
	v_lshrrev_b32_e32 v56, 24, v56
	v_min_i32_e32 v57, 15, v99
	v_dual_cndmask_b32 v47, 7, v47 :: v_dual_and_b32 v56, 0x80, v56
	s_delay_alu instid0(VALU_DEP_2) | instskip(NEXT) | instid1(VALU_DEP_2)
	v_lshlrev_b32_e32 v57, 3, v57
	v_and_b32_e32 v58, 7, v47
	v_or_b32_e32 v99, v99, v47
	s_delay_alu instid0(VALU_DEP_2) | instskip(NEXT) | instid1(VALU_DEP_2)
	v_or3_b32 v47, v57, v56, v58
	v_cmp_ne_u32_e32 vcc_lo, 0, v99
	s_delay_alu instid0(VALU_DEP_2)
	v_cndmask_b32_e32 v99, 0, v47, vcc_lo
.LBB6_3990:                             ;   in Loop: Header=BB6_3759 Depth=2
	s_or_b32 exec_lo, exec_lo, s28
.LBB6_3991:                             ;   in Loop: Header=BB6_3759 Depth=2
	s_delay_alu instid0(SALU_CYCLE_1) | instskip(NEXT) | instid1(SALU_CYCLE_1)
	s_or_b32 exec_lo, exec_lo, s27
	s_and_not1_b32 vcc_lo, exec_lo, s25
	s_cbranch_vccnz .LBB6_4001
; %bb.3992:                             ;   in Loop: Header=BB6_3759 Depth=2
	v_and_b32_e32 v56, 0xff, v46
	s_mov_b32 s11, 0
	s_mov_b32 s28, exec_lo
                                        ; implicit-def: $sgpr27
	s_delay_alu instid0(VALU_DEP_1)
	v_cmpx_lt_i16_e32 0x7f, v56
	s_xor_b32 s28, exec_lo, s28
	s_cbranch_execnz .LBB6_4813
; %bb.3993:                             ;   in Loop: Header=BB6_3759 Depth=2
	s_or_saveexec_b32 s28, s28
	v_mov_b32_e32 v47, s27
	s_xor_b32 exec_lo, exec_lo, s28
	s_cbranch_execnz .LBB6_4816
.LBB6_3994:                             ;   in Loop: Header=BB6_3759 Depth=2
	s_or_b32 exec_lo, exec_lo, s28
	s_and_saveexec_b32 s27, s11
	s_cbranch_execz .LBB6_3996
.LBB6_3995:                             ;   in Loop: Header=BB6_3759 Depth=2
	v_lshrrev_b16 v58, 3, v46
	v_lshlrev_b32_e32 v59, 24, v46
	s_delay_alu instid0(VALU_DEP_2) | instskip(NEXT) | instid1(VALU_DEP_1)
	v_and_b32_e32 v58, 15, v58
	v_cmp_eq_u32_e32 vcc_lo, 0, v58
	v_and_b32_e32 v47, 7, v46
	s_delay_alu instid0(VALU_DEP_1) | instskip(NEXT) | instid1(VALU_DEP_1)
	v_clz_i32_u32_e32 v56, v47
	v_min_u32_e32 v56, 32, v56
	s_delay_alu instid0(VALU_DEP_1) | instskip(SKIP_1) | instid1(VALU_DEP_1)
	v_subrev_nc_u32_e32 v57, 28, v56
	v_sub_nc_u32_e32 v56, 29, v56
	v_dual_cndmask_b32 v56, v58, v56 :: v_dual_lshlrev_b32 v57, v57, v46
	s_delay_alu instid0(VALU_DEP_1) | instskip(NEXT) | instid1(VALU_DEP_2)
	v_and_b32_e32 v57, 7, v57
	v_lshl_add_u32 v56, v56, 23, 0x3b800000
	s_delay_alu instid0(VALU_DEP_2) | instskip(SKIP_1) | instid1(VALU_DEP_2)
	v_cndmask_b32_e32 v47, v47, v57, vcc_lo
	v_and_b32_e32 v57, 0x80000000, v59
	v_lshlrev_b32_e32 v47, 20, v47
	s_delay_alu instid0(VALU_DEP_1)
	v_or3_b32 v47, v57, v56, v47
.LBB6_3996:                             ;   in Loop: Header=BB6_3759 Depth=2
	s_or_b32 exec_lo, exec_lo, s27
	s_waitcnt vmcnt(23) lgkmcnt(23)
	v_and_b32_e32 v57, 0xff, v102
	s_mov_b32 s11, 0
	s_mov_b32 s28, exec_lo
                                        ; implicit-def: $sgpr27
	s_delay_alu instid0(VALU_DEP_1)
	v_cmpx_lt_i16_e32 0x7f, v57
	s_xor_b32 s28, exec_lo, s28
	s_cbranch_execnz .LBB6_4817
; %bb.3997:                             ;   in Loop: Header=BB6_3759 Depth=2
	s_or_saveexec_b32 s28, s28
	v_mov_b32_e32 v56, s27
	s_xor_b32 exec_lo, exec_lo, s28
	s_cbranch_execnz .LBB6_4820
.LBB6_3998:                             ;   in Loop: Header=BB6_3759 Depth=2
	s_or_b32 exec_lo, exec_lo, s28
	s_and_saveexec_b32 s27, s11
	s_cbranch_execz .LBB6_4000
.LBB6_3999:                             ;   in Loop: Header=BB6_3759 Depth=2
	v_lshrrev_b16 v59, 3, v102
	v_lshlrev_b32_e32 v60, 24, v102
	s_delay_alu instid0(VALU_DEP_2) | instskip(NEXT) | instid1(VALU_DEP_1)
	v_and_b32_e32 v59, 15, v59
	v_cmp_eq_u32_e32 vcc_lo, 0, v59
	v_and_b32_e32 v56, 7, v102
	s_delay_alu instid0(VALU_DEP_1) | instskip(NEXT) | instid1(VALU_DEP_1)
	v_clz_i32_u32_e32 v57, v56
	v_min_u32_e32 v57, 32, v57
	s_delay_alu instid0(VALU_DEP_1) | instskip(SKIP_1) | instid1(VALU_DEP_1)
	v_subrev_nc_u32_e32 v58, 28, v57
	v_sub_nc_u32_e32 v57, 29, v57
	v_dual_cndmask_b32 v57, v59, v57 :: v_dual_lshlrev_b32 v58, v58, v102
	s_delay_alu instid0(VALU_DEP_1) | instskip(NEXT) | instid1(VALU_DEP_2)
	v_and_b32_e32 v58, 7, v58
	v_lshl_add_u32 v57, v57, 23, 0x3b800000
	s_delay_alu instid0(VALU_DEP_2) | instskip(SKIP_1) | instid1(VALU_DEP_2)
	v_cndmask_b32_e32 v56, v56, v58, vcc_lo
	v_and_b32_e32 v58, 0x80000000, v60
	v_lshlrev_b32_e32 v56, 20, v56
	s_delay_alu instid0(VALU_DEP_1)
	v_or3_b32 v56, v58, v57, v56
.LBB6_4000:                             ;   in Loop: Header=BB6_3759 Depth=2
	s_or_b32 exec_lo, exec_lo, s27
	s_delay_alu instid0(VALU_DEP_1) | instskip(SKIP_1) | instid1(VALU_DEP_1)
	v_dual_max_f32 v56, v56, v56 :: v_dual_max_f32 v47, v47, v47
	s_mov_b32 s11, 0
	v_max_f32_e32 v47, v47, v56
	s_branch .LBB6_4002
.LBB6_4001:                             ;   in Loop: Header=BB6_3759 Depth=2
	s_mov_b32 s11, -1
                                        ; implicit-def: $vgpr47
.LBB6_4002:                             ;   in Loop: Header=BB6_3759 Depth=2
	s_delay_alu instid0(SALU_CYCLE_1)
	s_and_b32 vcc_lo, exec_lo, s11
	s_cbranch_vccz .LBB6_4012
; %bb.4003:                             ;   in Loop: Header=BB6_3759 Depth=2
	v_and_b32_e32 v56, 0xff, v46
	s_mov_b32 s11, 0
	s_mov_b32 s28, exec_lo
                                        ; implicit-def: $sgpr27
	s_delay_alu instid0(VALU_DEP_1)
	v_cmpx_lt_i16_e32 0x7f, v56
	s_xor_b32 s28, exec_lo, s28
	s_cbranch_execnz .LBB6_4821
; %bb.4004:                             ;   in Loop: Header=BB6_3759 Depth=2
	s_or_saveexec_b32 s28, s28
	v_mov_b32_e32 v47, s27
	s_xor_b32 exec_lo, exec_lo, s28
	s_cbranch_execnz .LBB6_4824
.LBB6_4005:                             ;   in Loop: Header=BB6_3759 Depth=2
	s_or_b32 exec_lo, exec_lo, s28
	s_and_saveexec_b32 s27, s11
	s_cbranch_execz .LBB6_4007
.LBB6_4006:                             ;   in Loop: Header=BB6_3759 Depth=2
	v_lshrrev_b16 v58, 3, v46
	s_delay_alu instid0(VALU_DEP_1) | instskip(NEXT) | instid1(VALU_DEP_1)
	v_and_b32_e32 v58, 15, v58
	v_cmp_eq_u32_e32 vcc_lo, 0, v58
	v_and_b32_e32 v47, 7, v46
	s_delay_alu instid0(VALU_DEP_1) | instskip(NEXT) | instid1(VALU_DEP_1)
	v_clz_i32_u32_e32 v56, v47
	v_min_u32_e32 v56, 32, v56
	s_delay_alu instid0(VALU_DEP_1) | instskip(SKIP_1) | instid1(VALU_DEP_1)
	v_subrev_nc_u32_e32 v57, 28, v56
	v_sub_nc_u32_e32 v56, 29, v56
	v_dual_cndmask_b32 v56, v58, v56 :: v_dual_lshlrev_b32 v57, v57, v46
	v_lshlrev_b32_e32 v46, 24, v46
	s_delay_alu instid0(VALU_DEP_2) | instskip(NEXT) | instid1(VALU_DEP_3)
	v_and_b32_e32 v57, 7, v57
	v_lshl_add_u32 v56, v56, 23, 0x3b800000
	s_delay_alu instid0(VALU_DEP_2) | instskip(NEXT) | instid1(VALU_DEP_1)
	v_dual_cndmask_b32 v47, v47, v57 :: v_dual_and_b32 v46, 0x80000000, v46
	v_lshlrev_b32_e32 v47, 20, v47
	s_delay_alu instid0(VALU_DEP_1)
	v_or3_b32 v47, v46, v56, v47
.LBB6_4007:                             ;   in Loop: Header=BB6_3759 Depth=2
	s_or_b32 exec_lo, exec_lo, s27
	s_waitcnt vmcnt(23) lgkmcnt(23)
	v_and_b32_e32 v56, 0xff, v102
	s_mov_b32 s11, 0
	s_mov_b32 s28, exec_lo
                                        ; implicit-def: $sgpr27
	s_delay_alu instid0(VALU_DEP_1)
	v_cmpx_lt_i16_e32 0x7f, v56
	s_xor_b32 s28, exec_lo, s28
	s_cbranch_execnz .LBB6_4825
; %bb.4008:                             ;   in Loop: Header=BB6_3759 Depth=2
	s_or_saveexec_b32 s28, s28
	v_mov_b32_e32 v46, s27
	s_xor_b32 exec_lo, exec_lo, s28
	s_cbranch_execnz .LBB6_4828
.LBB6_4009:                             ;   in Loop: Header=BB6_3759 Depth=2
	s_or_b32 exec_lo, exec_lo, s28
	s_and_saveexec_b32 s27, s11
	s_cbranch_execz .LBB6_4011
.LBB6_4010:                             ;   in Loop: Header=BB6_3759 Depth=2
	v_and_b32_e32 v46, 7, v102
	v_lshrrev_b16 v58, 3, v102
	s_delay_alu instid0(VALU_DEP_2) | instskip(NEXT) | instid1(VALU_DEP_2)
	v_clz_i32_u32_e32 v56, v46
	v_and_b32_e32 v58, 15, v58
	s_delay_alu instid0(VALU_DEP_2) | instskip(NEXT) | instid1(VALU_DEP_2)
	v_min_u32_e32 v56, 32, v56
	v_cmp_eq_u32_e32 vcc_lo, 0, v58
	s_delay_alu instid0(VALU_DEP_2) | instskip(SKIP_1) | instid1(VALU_DEP_1)
	v_subrev_nc_u32_e32 v57, 28, v56
	v_sub_nc_u32_e32 v56, 29, v56
	v_dual_cndmask_b32 v56, v58, v56 :: v_dual_lshlrev_b32 v57, v57, v102
	v_lshlrev_b32_e32 v102, 24, v102
	s_delay_alu instid0(VALU_DEP_2) | instskip(NEXT) | instid1(VALU_DEP_3)
	v_and_b32_e32 v57, 7, v57
	v_lshl_add_u32 v56, v56, 23, 0x3b800000
	s_delay_alu instid0(VALU_DEP_3) | instskip(NEXT) | instid1(VALU_DEP_3)
	v_and_b32_e32 v102, 0x80000000, v102
	v_cndmask_b32_e32 v46, v46, v57, vcc_lo
	s_delay_alu instid0(VALU_DEP_1) | instskip(NEXT) | instid1(VALU_DEP_1)
	v_lshlrev_b32_e32 v46, 20, v46
	v_or3_b32 v46, v102, v56, v46
.LBB6_4011:                             ;   in Loop: Header=BB6_3759 Depth=2
	s_or_b32 exec_lo, exec_lo, s27
	s_delay_alu instid0(VALU_DEP_1) | instskip(SKIP_1) | instid1(VALU_DEP_1)
	v_max_f32_e32 v102, v46, v46
	v_max_f32_e32 v46, v47, v47
	v_min_f32_e32 v47, v46, v102
.LBB6_4012:                             ;   in Loop: Header=BB6_3759 Depth=2
	s_waitcnt vmcnt(23) lgkmcnt(23)
	s_delay_alu instid0(VALU_DEP_1) | instskip(NEXT) | instid1(VALU_DEP_1)
	v_and_b32_e32 v102, 0x7f800000, v47
	v_cmp_ne_u32_e32 vcc_lo, 0x7f800000, v102
	v_mov_b32_e32 v102, 0x80
	s_and_saveexec_b32 s27, vcc_lo
	s_cbranch_execz .LBB6_4020
; %bb.4013:                             ;   in Loop: Header=BB6_3759 Depth=2
	v_mov_b32_e32 v102, 0
	s_mov_b32 s28, exec_lo
	v_cmpx_ne_u32_e32 0, v47
	s_cbranch_execz .LBB6_4019
; %bb.4014:                             ;   in Loop: Header=BB6_3759 Depth=2
	v_bfe_u32 v102, v47, 23, 8
	v_and_b32_e32 v46, 0x7fffff, v47
	s_delay_alu instid0(VALU_DEP_2) | instskip(SKIP_1) | instid1(VALU_DEP_3)
	v_sub_nc_u32_e32 v56, 0x78, v102
	v_cmp_gt_u32_e32 vcc_lo, 0x79, v102
	v_or_b32_e32 v57, 0x800000, v46
	s_delay_alu instid0(VALU_DEP_3) | instskip(SKIP_2) | instid1(VALU_DEP_3)
	v_cndmask_b32_e32 v56, 0, v56, vcc_lo
	v_cmp_eq_u32_e32 vcc_lo, 0, v102
	v_add_nc_u32_e32 v102, 0xffffff89, v102
	v_cndmask_b32_e64 v56, v56, 0x77, vcc_lo
	v_cndmask_b32_e32 v46, v57, v46, vcc_lo
	s_delay_alu instid0(VALU_DEP_3) | instskip(NEXT) | instid1(VALU_DEP_3)
	v_cndmask_b32_e64 v102, v102, 0xffffff8a, vcc_lo
	v_lshl_add_u32 v57, 0x100000, v56, -1
	s_delay_alu instid0(VALU_DEP_3) | instskip(SKIP_1) | instid1(VALU_DEP_4)
	v_lshrrev_b32_e32 v58, v56, v46
	v_lshlrev_b32_e64 v60, v56, 0x80000
	v_add_nc_u32_e32 v56, v56, v102
	s_delay_alu instid0(VALU_DEP_4) | instskip(NEXT) | instid1(VALU_DEP_4)
	v_and_b32_e32 v46, v57, v46
	v_bfe_u32 v59, v58, 20, 1
	s_delay_alu instid0(VALU_DEP_2) | instskip(NEXT) | instid1(VALU_DEP_2)
	v_cmp_eq_u32_e64 s11, v46, v60
	v_add_nc_u32_e32 v57, -1, v59
	s_delay_alu instid0(VALU_DEP_1) | instskip(SKIP_2) | instid1(VALU_DEP_2)
	v_cndmask_b32_e64 v46, 0, v57, s11
	v_lshrrev_b32_e32 v57, 23, v58
	s_mov_b32 s11, exec_lo
	v_add_nc_u32_e32 v46, v46, v58
	s_delay_alu instid0(VALU_DEP_2) | instskip(NEXT) | instid1(VALU_DEP_2)
	v_xor_b32_e32 v57, 1, v57
	v_and_b32_e32 v102, 0xfffff, v46
	s_delay_alu instid0(VALU_DEP_1) | instskip(NEXT) | instid1(VALU_DEP_3)
	v_add_nc_u32_e32 v46, v102, v58
                                        ; implicit-def: $vgpr102
	v_cmpx_ne_u32_e64 v56, v57
	s_xor_b32 s11, exec_lo, s11
; %bb.4015:                             ;   in Loop: Header=BB6_3759 Depth=2
	s_delay_alu instid0(VALU_DEP_2) | instskip(SKIP_2) | instid1(VALU_DEP_2)
	v_cmp_lt_u32_e32 vcc_lo, 0xffffff, v46
	v_sub_nc_u32_e32 v102, v56, v57
	v_cndmask_b32_e64 v56, 0, 1, vcc_lo
	v_add_co_ci_u32_e32 v102, vcc_lo, 0, v102, vcc_lo
	s_delay_alu instid0(VALU_DEP_2)
	v_lshrrev_b32_e32 v46, v56, v46
; %bb.4016:                             ;   in Loop: Header=BB6_3759 Depth=2
	s_and_not1_saveexec_b32 s11, s11
; %bb.4017:                             ;   in Loop: Header=BB6_3759 Depth=2
	s_delay_alu instid0(VALU_DEP_1)
	v_bfe_u32 v102, v46, 23, 1
; %bb.4018:                             ;   in Loop: Header=BB6_3759 Depth=2
	s_or_b32 exec_lo, exec_lo, s11
	v_lshrrev_b32_e32 v46, 20, v46
	s_delay_alu instid0(VALU_DEP_2) | instskip(SKIP_2) | instid1(VALU_DEP_2)
	v_cmp_gt_i32_e32 vcc_lo, 16, v102
	v_lshrrev_b32_e32 v47, 24, v47
	v_min_i32_e32 v56, 15, v102
	v_dual_cndmask_b32 v46, 7, v46 :: v_dual_and_b32 v47, 0x80, v47
	s_delay_alu instid0(VALU_DEP_2) | instskip(NEXT) | instid1(VALU_DEP_2)
	v_lshlrev_b32_e32 v56, 3, v56
	v_and_b32_e32 v57, 7, v46
	v_or_b32_e32 v102, v102, v46
	s_delay_alu instid0(VALU_DEP_2) | instskip(NEXT) | instid1(VALU_DEP_2)
	v_or3_b32 v46, v56, v47, v57
	v_cmp_ne_u32_e32 vcc_lo, 0, v102
	s_delay_alu instid0(VALU_DEP_2)
	v_cndmask_b32_e32 v102, 0, v46, vcc_lo
.LBB6_4019:                             ;   in Loop: Header=BB6_3759 Depth=2
	s_or_b32 exec_lo, exec_lo, s28
.LBB6_4020:                             ;   in Loop: Header=BB6_3759 Depth=2
	s_delay_alu instid0(SALU_CYCLE_1) | instskip(NEXT) | instid1(SALU_CYCLE_1)
	s_or_b32 exec_lo, exec_lo, s27
	s_and_not1_b32 vcc_lo, exec_lo, s25
	s_cbranch_vccnz .LBB6_4030
; %bb.4021:                             ;   in Loop: Header=BB6_3759 Depth=2
	v_and_b32_e32 v47, 0xff, v45
	s_mov_b32 s11, 0
	s_mov_b32 s28, exec_lo
                                        ; implicit-def: $sgpr27
	s_delay_alu instid0(VALU_DEP_1)
	v_cmpx_lt_i16_e32 0x7f, v47
	s_xor_b32 s28, exec_lo, s28
	s_cbranch_execnz .LBB6_4829
; %bb.4022:                             ;   in Loop: Header=BB6_3759 Depth=2
	s_or_saveexec_b32 s28, s28
	v_mov_b32_e32 v46, s27
	s_xor_b32 exec_lo, exec_lo, s28
	s_cbranch_execnz .LBB6_4832
.LBB6_4023:                             ;   in Loop: Header=BB6_3759 Depth=2
	s_or_b32 exec_lo, exec_lo, s28
	s_and_saveexec_b32 s27, s11
	s_cbranch_execz .LBB6_4025
.LBB6_4024:                             ;   in Loop: Header=BB6_3759 Depth=2
	v_lshrrev_b16 v57, 3, v45
	v_lshlrev_b32_e32 v58, 24, v45
	s_delay_alu instid0(VALU_DEP_2) | instskip(NEXT) | instid1(VALU_DEP_1)
	v_and_b32_e32 v57, 15, v57
	v_cmp_eq_u32_e32 vcc_lo, 0, v57
	v_and_b32_e32 v46, 7, v45
	s_delay_alu instid0(VALU_DEP_1) | instskip(NEXT) | instid1(VALU_DEP_1)
	v_clz_i32_u32_e32 v47, v46
	v_min_u32_e32 v47, 32, v47
	s_delay_alu instid0(VALU_DEP_1) | instskip(SKIP_1) | instid1(VALU_DEP_1)
	v_subrev_nc_u32_e32 v56, 28, v47
	v_sub_nc_u32_e32 v47, 29, v47
	v_dual_cndmask_b32 v47, v57, v47 :: v_dual_lshlrev_b32 v56, v56, v45
	s_delay_alu instid0(VALU_DEP_1) | instskip(NEXT) | instid1(VALU_DEP_2)
	v_and_b32_e32 v56, 7, v56
	v_lshl_add_u32 v47, v47, 23, 0x3b800000
	s_delay_alu instid0(VALU_DEP_2) | instskip(SKIP_1) | instid1(VALU_DEP_2)
	v_cndmask_b32_e32 v46, v46, v56, vcc_lo
	v_and_b32_e32 v56, 0x80000000, v58
	v_lshlrev_b32_e32 v46, 20, v46
	s_delay_alu instid0(VALU_DEP_1)
	v_or3_b32 v46, v56, v47, v46
.LBB6_4025:                             ;   in Loop: Header=BB6_3759 Depth=2
	s_or_b32 exec_lo, exec_lo, s27
	s_waitcnt vmcnt(22) lgkmcnt(22)
	v_and_b32_e32 v56, 0xff, v148
	s_mov_b32 s11, 0
	s_mov_b32 s28, exec_lo
                                        ; implicit-def: $sgpr27
	s_delay_alu instid0(VALU_DEP_1)
	v_cmpx_lt_i16_e32 0x7f, v56
	s_xor_b32 s28, exec_lo, s28
	s_cbranch_execnz .LBB6_4833
; %bb.4026:                             ;   in Loop: Header=BB6_3759 Depth=2
	s_or_saveexec_b32 s28, s28
	v_mov_b32_e32 v47, s27
	s_xor_b32 exec_lo, exec_lo, s28
	s_cbranch_execnz .LBB6_4836
.LBB6_4027:                             ;   in Loop: Header=BB6_3759 Depth=2
	s_or_b32 exec_lo, exec_lo, s28
	s_and_saveexec_b32 s27, s11
	s_cbranch_execz .LBB6_4029
.LBB6_4028:                             ;   in Loop: Header=BB6_3759 Depth=2
	v_and_b32_e32 v47, 7, v148
	v_lshrrev_b16 v58, 3, v148
	v_lshlrev_b32_e32 v59, 24, v148
	s_delay_alu instid0(VALU_DEP_3) | instskip(NEXT) | instid1(VALU_DEP_1)
	v_clz_i32_u32_e32 v56, v47
	v_min_u32_e32 v56, 32, v56
	s_delay_alu instid0(VALU_DEP_1) | instskip(SKIP_1) | instid1(VALU_DEP_2)
	v_subrev_nc_u32_e32 v57, 28, v56
	v_sub_nc_u32_e32 v56, 29, v56
	v_lshlrev_b32_e32 v57, v57, v148
	s_delay_alu instid0(VALU_DEP_1) | instskip(SKIP_1) | instid1(VALU_DEP_1)
	v_and_b32_e32 v57, 7, v57
	v_and_b32_e32 v58, 15, v58
	v_cmp_eq_u32_e32 vcc_lo, 0, v58
	s_delay_alu instid0(VALU_DEP_3) | instskip(SKIP_1) | instid1(VALU_DEP_2)
	v_dual_cndmask_b32 v47, v47, v57 :: v_dual_cndmask_b32 v56, v58, v56
	v_and_b32_e32 v57, 0x80000000, v59
	v_lshlrev_b32_e32 v47, 20, v47
	s_delay_alu instid0(VALU_DEP_3) | instskip(NEXT) | instid1(VALU_DEP_1)
	v_lshl_add_u32 v56, v56, 23, 0x3b800000
	v_or3_b32 v47, v57, v56, v47
.LBB6_4029:                             ;   in Loop: Header=BB6_3759 Depth=2
	s_or_b32 exec_lo, exec_lo, s27
	s_delay_alu instid0(VALU_DEP_1) | instskip(SKIP_1) | instid1(VALU_DEP_1)
	v_dual_max_f32 v47, v47, v47 :: v_dual_max_f32 v46, v46, v46
	s_mov_b32 s11, 0
	v_max_f32_e32 v46, v46, v47
	s_branch .LBB6_4031
.LBB6_4030:                             ;   in Loop: Header=BB6_3759 Depth=2
	s_mov_b32 s11, -1
                                        ; implicit-def: $vgpr46
.LBB6_4031:                             ;   in Loop: Header=BB6_3759 Depth=2
	s_delay_alu instid0(SALU_CYCLE_1)
	s_and_b32 vcc_lo, exec_lo, s11
	s_cbranch_vccz .LBB6_4041
; %bb.4032:                             ;   in Loop: Header=BB6_3759 Depth=2
	v_and_b32_e32 v47, 0xff, v45
	s_mov_b32 s11, 0
	s_mov_b32 s28, exec_lo
                                        ; implicit-def: $sgpr27
	s_delay_alu instid0(VALU_DEP_1)
	v_cmpx_lt_i16_e32 0x7f, v47
	s_xor_b32 s28, exec_lo, s28
	s_cbranch_execnz .LBB6_4837
; %bb.4033:                             ;   in Loop: Header=BB6_3759 Depth=2
	s_or_saveexec_b32 s28, s28
	v_mov_b32_e32 v46, s27
	s_xor_b32 exec_lo, exec_lo, s28
	s_cbranch_execnz .LBB6_4840
.LBB6_4034:                             ;   in Loop: Header=BB6_3759 Depth=2
	s_or_b32 exec_lo, exec_lo, s28
	s_and_saveexec_b32 s27, s11
	s_cbranch_execz .LBB6_4036
.LBB6_4035:                             ;   in Loop: Header=BB6_3759 Depth=2
	v_lshrrev_b16 v57, 3, v45
	s_delay_alu instid0(VALU_DEP_1) | instskip(NEXT) | instid1(VALU_DEP_1)
	v_and_b32_e32 v57, 15, v57
	v_cmp_eq_u32_e32 vcc_lo, 0, v57
	v_and_b32_e32 v46, 7, v45
	s_delay_alu instid0(VALU_DEP_1) | instskip(NEXT) | instid1(VALU_DEP_1)
	v_clz_i32_u32_e32 v47, v46
	v_min_u32_e32 v47, 32, v47
	s_delay_alu instid0(VALU_DEP_1) | instskip(SKIP_1) | instid1(VALU_DEP_1)
	v_subrev_nc_u32_e32 v56, 28, v47
	v_sub_nc_u32_e32 v47, 29, v47
	v_dual_cndmask_b32 v47, v57, v47 :: v_dual_lshlrev_b32 v56, v56, v45
	v_lshlrev_b32_e32 v45, 24, v45
	s_delay_alu instid0(VALU_DEP_2) | instskip(NEXT) | instid1(VALU_DEP_3)
	v_and_b32_e32 v56, 7, v56
	v_lshl_add_u32 v47, v47, 23, 0x3b800000
	s_delay_alu instid0(VALU_DEP_2) | instskip(NEXT) | instid1(VALU_DEP_1)
	v_dual_cndmask_b32 v46, v46, v56 :: v_dual_and_b32 v45, 0x80000000, v45
	v_lshlrev_b32_e32 v46, 20, v46
	s_delay_alu instid0(VALU_DEP_1)
	v_or3_b32 v46, v45, v47, v46
.LBB6_4036:                             ;   in Loop: Header=BB6_3759 Depth=2
	s_or_b32 exec_lo, exec_lo, s27
	s_waitcnt vmcnt(22) lgkmcnt(22)
	v_and_b32_e32 v47, 0xff, v148
	s_mov_b32 s11, 0
	s_mov_b32 s28, exec_lo
                                        ; implicit-def: $sgpr27
	s_delay_alu instid0(VALU_DEP_1)
	v_cmpx_lt_i16_e32 0x7f, v47
	s_xor_b32 s28, exec_lo, s28
	s_cbranch_execnz .LBB6_4841
; %bb.4037:                             ;   in Loop: Header=BB6_3759 Depth=2
	s_or_saveexec_b32 s28, s28
	v_mov_b32_e32 v45, s27
	s_xor_b32 exec_lo, exec_lo, s28
	s_cbranch_execnz .LBB6_4844
.LBB6_4038:                             ;   in Loop: Header=BB6_3759 Depth=2
	s_or_b32 exec_lo, exec_lo, s28
	s_and_saveexec_b32 s27, s11
	s_cbranch_execz .LBB6_4040
.LBB6_4039:                             ;   in Loop: Header=BB6_3759 Depth=2
	v_and_b32_e32 v45, 7, v148
	v_lshrrev_b16 v57, 3, v148
	s_delay_alu instid0(VALU_DEP_2) | instskip(NEXT) | instid1(VALU_DEP_2)
	v_clz_i32_u32_e32 v47, v45
	v_and_b32_e32 v57, 15, v57
	s_delay_alu instid0(VALU_DEP_2) | instskip(NEXT) | instid1(VALU_DEP_2)
	v_min_u32_e32 v47, 32, v47
	v_cmp_eq_u32_e32 vcc_lo, 0, v57
	s_delay_alu instid0(VALU_DEP_2) | instskip(SKIP_1) | instid1(VALU_DEP_1)
	v_subrev_nc_u32_e32 v56, 28, v47
	v_sub_nc_u32_e32 v47, 29, v47
	v_dual_cndmask_b32 v47, v57, v47 :: v_dual_lshlrev_b32 v56, v56, v148
	v_lshlrev_b32_e32 v148, 24, v148
	s_delay_alu instid0(VALU_DEP_2) | instskip(NEXT) | instid1(VALU_DEP_3)
	v_and_b32_e32 v56, 7, v56
	v_lshl_add_u32 v47, v47, 23, 0x3b800000
	s_delay_alu instid0(VALU_DEP_3) | instskip(NEXT) | instid1(VALU_DEP_3)
	v_and_b32_e32 v148, 0x80000000, v148
	v_cndmask_b32_e32 v45, v45, v56, vcc_lo
	s_delay_alu instid0(VALU_DEP_1) | instskip(NEXT) | instid1(VALU_DEP_1)
	v_lshlrev_b32_e32 v45, 20, v45
	v_or3_b32 v45, v148, v47, v45
.LBB6_4040:                             ;   in Loop: Header=BB6_3759 Depth=2
	s_or_b32 exec_lo, exec_lo, s27
	s_delay_alu instid0(VALU_DEP_1) | instskip(NEXT) | instid1(VALU_DEP_1)
	v_dual_max_f32 v148, v45, v45 :: v_dual_max_f32 v45, v46, v46
	v_min_f32_e32 v46, v45, v148
.LBB6_4041:                             ;   in Loop: Header=BB6_3759 Depth=2
	s_waitcnt vmcnt(22) lgkmcnt(22)
	s_delay_alu instid0(VALU_DEP_1) | instskip(NEXT) | instid1(VALU_DEP_1)
	v_and_b32_e32 v148, 0x7f800000, v46
	v_cmp_ne_u32_e32 vcc_lo, 0x7f800000, v148
	v_mov_b32_e32 v148, 0x80
	s_and_saveexec_b32 s27, vcc_lo
	s_cbranch_execz .LBB6_4049
; %bb.4042:                             ;   in Loop: Header=BB6_3759 Depth=2
	v_mov_b32_e32 v148, 0
	s_mov_b32 s28, exec_lo
	v_cmpx_ne_u32_e32 0, v46
	s_cbranch_execz .LBB6_4048
; %bb.4043:                             ;   in Loop: Header=BB6_3759 Depth=2
	v_bfe_u32 v148, v46, 23, 8
	v_and_b32_e32 v45, 0x7fffff, v46
	s_delay_alu instid0(VALU_DEP_2) | instskip(SKIP_1) | instid1(VALU_DEP_3)
	v_sub_nc_u32_e32 v47, 0x78, v148
	v_cmp_gt_u32_e32 vcc_lo, 0x79, v148
	v_or_b32_e32 v56, 0x800000, v45
	s_delay_alu instid0(VALU_DEP_3) | instskip(SKIP_2) | instid1(VALU_DEP_3)
	v_cndmask_b32_e32 v47, 0, v47, vcc_lo
	v_cmp_eq_u32_e32 vcc_lo, 0, v148
	v_add_nc_u32_e32 v148, 0xffffff89, v148
	v_cndmask_b32_e64 v47, v47, 0x77, vcc_lo
	v_cndmask_b32_e32 v45, v56, v45, vcc_lo
	s_delay_alu instid0(VALU_DEP_3) | instskip(NEXT) | instid1(VALU_DEP_3)
	v_cndmask_b32_e64 v148, v148, 0xffffff8a, vcc_lo
	v_lshl_add_u32 v56, 0x100000, v47, -1
	s_delay_alu instid0(VALU_DEP_3) | instskip(SKIP_1) | instid1(VALU_DEP_4)
	v_lshrrev_b32_e32 v57, v47, v45
	v_lshlrev_b32_e64 v59, v47, 0x80000
	v_add_nc_u32_e32 v47, v47, v148
	s_delay_alu instid0(VALU_DEP_4) | instskip(NEXT) | instid1(VALU_DEP_4)
	v_and_b32_e32 v45, v56, v45
	v_bfe_u32 v58, v57, 20, 1
	s_delay_alu instid0(VALU_DEP_2) | instskip(NEXT) | instid1(VALU_DEP_2)
	v_cmp_eq_u32_e64 s11, v45, v59
	v_add_nc_u32_e32 v56, -1, v58
	s_delay_alu instid0(VALU_DEP_1) | instskip(SKIP_2) | instid1(VALU_DEP_2)
	v_cndmask_b32_e64 v45, 0, v56, s11
	v_lshrrev_b32_e32 v56, 23, v57
	s_mov_b32 s11, exec_lo
	v_add_nc_u32_e32 v45, v45, v57
	s_delay_alu instid0(VALU_DEP_2) | instskip(NEXT) | instid1(VALU_DEP_2)
	v_xor_b32_e32 v56, 1, v56
	v_and_b32_e32 v148, 0xfffff, v45
	s_delay_alu instid0(VALU_DEP_1) | instskip(NEXT) | instid1(VALU_DEP_3)
	v_add_nc_u32_e32 v45, v148, v57
                                        ; implicit-def: $vgpr148
	v_cmpx_ne_u32_e64 v47, v56
	s_xor_b32 s11, exec_lo, s11
; %bb.4044:                             ;   in Loop: Header=BB6_3759 Depth=2
	s_delay_alu instid0(VALU_DEP_2) | instskip(SKIP_2) | instid1(VALU_DEP_2)
	v_cmp_lt_u32_e32 vcc_lo, 0xffffff, v45
	v_sub_nc_u32_e32 v148, v47, v56
	v_cndmask_b32_e64 v47, 0, 1, vcc_lo
	v_add_co_ci_u32_e32 v148, vcc_lo, 0, v148, vcc_lo
	s_delay_alu instid0(VALU_DEP_2)
	v_lshrrev_b32_e32 v45, v47, v45
; %bb.4045:                             ;   in Loop: Header=BB6_3759 Depth=2
	s_and_not1_saveexec_b32 s11, s11
; %bb.4046:                             ;   in Loop: Header=BB6_3759 Depth=2
	s_delay_alu instid0(VALU_DEP_1)
	v_bfe_u32 v148, v45, 23, 1
; %bb.4047:                             ;   in Loop: Header=BB6_3759 Depth=2
	s_or_b32 exec_lo, exec_lo, s11
	v_lshrrev_b32_e32 v45, 20, v45
	s_delay_alu instid0(VALU_DEP_2) | instskip(SKIP_2) | instid1(VALU_DEP_2)
	v_cmp_gt_i32_e32 vcc_lo, 16, v148
	v_lshrrev_b32_e32 v46, 24, v46
	v_min_i32_e32 v47, 15, v148
	v_dual_cndmask_b32 v45, 7, v45 :: v_dual_and_b32 v46, 0x80, v46
	s_delay_alu instid0(VALU_DEP_1) | instskip(SKIP_1) | instid1(VALU_DEP_2)
	v_or_b32_e32 v148, v148, v45
	v_and_b32_e32 v56, 7, v45
	v_cmp_ne_u32_e32 vcc_lo, 0, v148
	v_lshlrev_b32_e32 v47, 3, v47
	s_delay_alu instid0(VALU_DEP_1) | instskip(NEXT) | instid1(VALU_DEP_1)
	v_or3_b32 v45, v47, v46, v56
	v_cndmask_b32_e32 v148, 0, v45, vcc_lo
.LBB6_4048:                             ;   in Loop: Header=BB6_3759 Depth=2
	s_or_b32 exec_lo, exec_lo, s28
.LBB6_4049:                             ;   in Loop: Header=BB6_3759 Depth=2
	s_delay_alu instid0(SALU_CYCLE_1) | instskip(NEXT) | instid1(SALU_CYCLE_1)
	s_or_b32 exec_lo, exec_lo, s27
	s_and_not1_b32 vcc_lo, exec_lo, s25
	s_cbranch_vccnz .LBB6_4059
; %bb.4050:                             ;   in Loop: Header=BB6_3759 Depth=2
	v_and_b32_e32 v46, 0xff, v44
	s_mov_b32 s11, 0
	s_mov_b32 s28, exec_lo
                                        ; implicit-def: $sgpr27
	s_delay_alu instid0(VALU_DEP_1)
	v_cmpx_lt_i16_e32 0x7f, v46
	s_xor_b32 s28, exec_lo, s28
	s_cbranch_execnz .LBB6_4845
; %bb.4051:                             ;   in Loop: Header=BB6_3759 Depth=2
	s_or_saveexec_b32 s28, s28
	v_mov_b32_e32 v45, s27
	s_xor_b32 exec_lo, exec_lo, s28
	s_cbranch_execnz .LBB6_4848
.LBB6_4052:                             ;   in Loop: Header=BB6_3759 Depth=2
	s_or_b32 exec_lo, exec_lo, s28
	s_and_saveexec_b32 s27, s11
	s_cbranch_execz .LBB6_4054
.LBB6_4053:                             ;   in Loop: Header=BB6_3759 Depth=2
	v_lshrrev_b16 v56, 3, v44
	v_lshlrev_b32_e32 v57, 24, v44
	s_delay_alu instid0(VALU_DEP_2) | instskip(NEXT) | instid1(VALU_DEP_1)
	v_and_b32_e32 v56, 15, v56
	v_cmp_eq_u32_e32 vcc_lo, 0, v56
	v_and_b32_e32 v45, 7, v44
	s_delay_alu instid0(VALU_DEP_1) | instskip(NEXT) | instid1(VALU_DEP_1)
	v_clz_i32_u32_e32 v46, v45
	v_min_u32_e32 v46, 32, v46
	s_delay_alu instid0(VALU_DEP_1) | instskip(SKIP_1) | instid1(VALU_DEP_1)
	v_subrev_nc_u32_e32 v47, 28, v46
	v_sub_nc_u32_e32 v46, 29, v46
	v_dual_cndmask_b32 v46, v56, v46 :: v_dual_lshlrev_b32 v47, v47, v44
	s_delay_alu instid0(VALU_DEP_1) | instskip(NEXT) | instid1(VALU_DEP_2)
	v_and_b32_e32 v47, 7, v47
	v_lshl_add_u32 v46, v46, 23, 0x3b800000
	s_delay_alu instid0(VALU_DEP_2) | instskip(SKIP_1) | instid1(VALU_DEP_2)
	v_cndmask_b32_e32 v45, v45, v47, vcc_lo
	v_and_b32_e32 v47, 0x80000000, v57
	v_lshlrev_b32_e32 v45, 20, v45
	s_delay_alu instid0(VALU_DEP_1)
	v_or3_b32 v45, v47, v46, v45
.LBB6_4054:                             ;   in Loop: Header=BB6_3759 Depth=2
	s_or_b32 exec_lo, exec_lo, s27
	s_waitcnt vmcnt(21) lgkmcnt(21)
	v_and_b32_e32 v47, 0xff, v151
	s_mov_b32 s11, 0
	s_mov_b32 s28, exec_lo
                                        ; implicit-def: $sgpr27
	s_delay_alu instid0(VALU_DEP_1)
	v_cmpx_lt_i16_e32 0x7f, v47
	s_xor_b32 s28, exec_lo, s28
	s_cbranch_execnz .LBB6_4849
; %bb.4055:                             ;   in Loop: Header=BB6_3759 Depth=2
	s_or_saveexec_b32 s28, s28
	v_mov_b32_e32 v46, s27
	s_xor_b32 exec_lo, exec_lo, s28
	s_cbranch_execnz .LBB6_4852
.LBB6_4056:                             ;   in Loop: Header=BB6_3759 Depth=2
	s_or_b32 exec_lo, exec_lo, s28
	s_and_saveexec_b32 s27, s11
	s_cbranch_execz .LBB6_4058
.LBB6_4057:                             ;   in Loop: Header=BB6_3759 Depth=2
	v_and_b32_e32 v46, 7, v151
	v_lshrrev_b16 v57, 3, v151
	v_lshlrev_b32_e32 v58, 24, v151
	s_delay_alu instid0(VALU_DEP_3) | instskip(NEXT) | instid1(VALU_DEP_1)
	v_clz_i32_u32_e32 v47, v46
	v_min_u32_e32 v47, 32, v47
	s_delay_alu instid0(VALU_DEP_1) | instskip(SKIP_1) | instid1(VALU_DEP_2)
	v_subrev_nc_u32_e32 v56, 28, v47
	v_sub_nc_u32_e32 v47, 29, v47
	v_lshlrev_b32_e32 v56, v56, v151
	s_delay_alu instid0(VALU_DEP_1) | instskip(SKIP_1) | instid1(VALU_DEP_1)
	v_and_b32_e32 v56, 7, v56
	v_and_b32_e32 v57, 15, v57
	v_cmp_eq_u32_e32 vcc_lo, 0, v57
	s_delay_alu instid0(VALU_DEP_3) | instskip(SKIP_1) | instid1(VALU_DEP_2)
	v_dual_cndmask_b32 v46, v46, v56 :: v_dual_cndmask_b32 v47, v57, v47
	v_and_b32_e32 v56, 0x80000000, v58
	v_lshlrev_b32_e32 v46, 20, v46
	s_delay_alu instid0(VALU_DEP_3) | instskip(NEXT) | instid1(VALU_DEP_1)
	v_lshl_add_u32 v47, v47, 23, 0x3b800000
	v_or3_b32 v46, v56, v47, v46
.LBB6_4058:                             ;   in Loop: Header=BB6_3759 Depth=2
	s_or_b32 exec_lo, exec_lo, s27
	s_delay_alu instid0(VALU_DEP_1) | instskip(SKIP_1) | instid1(VALU_DEP_1)
	v_dual_max_f32 v46, v46, v46 :: v_dual_max_f32 v45, v45, v45
	s_mov_b32 s11, 0
	v_max_f32_e32 v45, v45, v46
	s_branch .LBB6_4060
.LBB6_4059:                             ;   in Loop: Header=BB6_3759 Depth=2
	s_mov_b32 s11, -1
                                        ; implicit-def: $vgpr45
.LBB6_4060:                             ;   in Loop: Header=BB6_3759 Depth=2
	s_delay_alu instid0(SALU_CYCLE_1)
	s_and_b32 vcc_lo, exec_lo, s11
	s_cbranch_vccz .LBB6_4070
; %bb.4061:                             ;   in Loop: Header=BB6_3759 Depth=2
	v_and_b32_e32 v46, 0xff, v44
	s_mov_b32 s11, 0
	s_mov_b32 s28, exec_lo
                                        ; implicit-def: $sgpr27
	s_delay_alu instid0(VALU_DEP_1)
	v_cmpx_lt_i16_e32 0x7f, v46
	s_xor_b32 s28, exec_lo, s28
	s_cbranch_execnz .LBB6_4853
; %bb.4062:                             ;   in Loop: Header=BB6_3759 Depth=2
	s_or_saveexec_b32 s28, s28
	v_mov_b32_e32 v45, s27
	s_xor_b32 exec_lo, exec_lo, s28
	s_cbranch_execnz .LBB6_4856
.LBB6_4063:                             ;   in Loop: Header=BB6_3759 Depth=2
	s_or_b32 exec_lo, exec_lo, s28
	s_and_saveexec_b32 s27, s11
	s_cbranch_execz .LBB6_4065
.LBB6_4064:                             ;   in Loop: Header=BB6_3759 Depth=2
	v_lshrrev_b16 v56, 3, v44
	s_delay_alu instid0(VALU_DEP_1) | instskip(NEXT) | instid1(VALU_DEP_1)
	v_and_b32_e32 v56, 15, v56
	v_cmp_eq_u32_e32 vcc_lo, 0, v56
	v_and_b32_e32 v45, 7, v44
	s_delay_alu instid0(VALU_DEP_1) | instskip(NEXT) | instid1(VALU_DEP_1)
	v_clz_i32_u32_e32 v46, v45
	v_min_u32_e32 v46, 32, v46
	s_delay_alu instid0(VALU_DEP_1) | instskip(SKIP_1) | instid1(VALU_DEP_1)
	v_subrev_nc_u32_e32 v47, 28, v46
	v_sub_nc_u32_e32 v46, 29, v46
	v_dual_cndmask_b32 v46, v56, v46 :: v_dual_lshlrev_b32 v47, v47, v44
	v_lshlrev_b32_e32 v44, 24, v44
	s_delay_alu instid0(VALU_DEP_2) | instskip(NEXT) | instid1(VALU_DEP_3)
	v_and_b32_e32 v47, 7, v47
	v_lshl_add_u32 v46, v46, 23, 0x3b800000
	s_delay_alu instid0(VALU_DEP_2) | instskip(NEXT) | instid1(VALU_DEP_1)
	v_dual_cndmask_b32 v45, v45, v47 :: v_dual_and_b32 v44, 0x80000000, v44
	v_lshlrev_b32_e32 v45, 20, v45
	s_delay_alu instid0(VALU_DEP_1)
	v_or3_b32 v45, v44, v46, v45
.LBB6_4065:                             ;   in Loop: Header=BB6_3759 Depth=2
	s_or_b32 exec_lo, exec_lo, s27
	s_waitcnt vmcnt(21) lgkmcnt(21)
	v_and_b32_e32 v46, 0xff, v151
	s_mov_b32 s11, 0
	s_mov_b32 s28, exec_lo
                                        ; implicit-def: $sgpr27
	s_delay_alu instid0(VALU_DEP_1)
	v_cmpx_lt_i16_e32 0x7f, v46
	s_xor_b32 s28, exec_lo, s28
	s_cbranch_execnz .LBB6_4857
; %bb.4066:                             ;   in Loop: Header=BB6_3759 Depth=2
	s_or_saveexec_b32 s28, s28
	v_mov_b32_e32 v44, s27
	s_xor_b32 exec_lo, exec_lo, s28
	s_cbranch_execnz .LBB6_4860
.LBB6_4067:                             ;   in Loop: Header=BB6_3759 Depth=2
	s_or_b32 exec_lo, exec_lo, s28
	s_and_saveexec_b32 s27, s11
	s_cbranch_execz .LBB6_4069
.LBB6_4068:                             ;   in Loop: Header=BB6_3759 Depth=2
	v_and_b32_e32 v44, 7, v151
	v_lshrrev_b16 v56, 3, v151
	s_delay_alu instid0(VALU_DEP_2) | instskip(NEXT) | instid1(VALU_DEP_2)
	v_clz_i32_u32_e32 v46, v44
	v_and_b32_e32 v56, 15, v56
	s_delay_alu instid0(VALU_DEP_2) | instskip(NEXT) | instid1(VALU_DEP_2)
	v_min_u32_e32 v46, 32, v46
	v_cmp_eq_u32_e32 vcc_lo, 0, v56
	s_delay_alu instid0(VALU_DEP_2) | instskip(SKIP_1) | instid1(VALU_DEP_1)
	v_subrev_nc_u32_e32 v47, 28, v46
	v_sub_nc_u32_e32 v46, 29, v46
	v_dual_cndmask_b32 v46, v56, v46 :: v_dual_lshlrev_b32 v47, v47, v151
	v_lshlrev_b32_e32 v151, 24, v151
	s_delay_alu instid0(VALU_DEP_2) | instskip(NEXT) | instid1(VALU_DEP_3)
	v_and_b32_e32 v47, 7, v47
	v_lshl_add_u32 v46, v46, 23, 0x3b800000
	s_delay_alu instid0(VALU_DEP_3) | instskip(NEXT) | instid1(VALU_DEP_3)
	v_and_b32_e32 v151, 0x80000000, v151
	v_cndmask_b32_e32 v44, v44, v47, vcc_lo
	s_delay_alu instid0(VALU_DEP_1) | instskip(NEXT) | instid1(VALU_DEP_1)
	v_lshlrev_b32_e32 v44, 20, v44
	v_or3_b32 v44, v151, v46, v44
.LBB6_4069:                             ;   in Loop: Header=BB6_3759 Depth=2
	s_or_b32 exec_lo, exec_lo, s27
	s_delay_alu instid0(VALU_DEP_1) | instskip(NEXT) | instid1(VALU_DEP_1)
	v_dual_max_f32 v151, v44, v44 :: v_dual_max_f32 v44, v45, v45
	v_min_f32_e32 v45, v44, v151
.LBB6_4070:                             ;   in Loop: Header=BB6_3759 Depth=2
	s_waitcnt vmcnt(21) lgkmcnt(21)
	s_delay_alu instid0(VALU_DEP_1) | instskip(NEXT) | instid1(VALU_DEP_1)
	v_and_b32_e32 v151, 0x7f800000, v45
	v_cmp_ne_u32_e32 vcc_lo, 0x7f800000, v151
	v_mov_b32_e32 v151, 0x80
	s_and_saveexec_b32 s27, vcc_lo
	s_cbranch_execz .LBB6_4078
; %bb.4071:                             ;   in Loop: Header=BB6_3759 Depth=2
	v_mov_b32_e32 v151, 0
	s_mov_b32 s28, exec_lo
	v_cmpx_ne_u32_e32 0, v45
	s_cbranch_execz .LBB6_4077
; %bb.4072:                             ;   in Loop: Header=BB6_3759 Depth=2
	v_bfe_u32 v151, v45, 23, 8
	v_and_b32_e32 v44, 0x7fffff, v45
	s_delay_alu instid0(VALU_DEP_2) | instskip(SKIP_1) | instid1(VALU_DEP_3)
	v_sub_nc_u32_e32 v46, 0x78, v151
	v_cmp_gt_u32_e32 vcc_lo, 0x79, v151
	v_or_b32_e32 v47, 0x800000, v44
	s_delay_alu instid0(VALU_DEP_3) | instskip(SKIP_2) | instid1(VALU_DEP_3)
	v_cndmask_b32_e32 v46, 0, v46, vcc_lo
	v_cmp_eq_u32_e32 vcc_lo, 0, v151
	v_add_nc_u32_e32 v151, 0xffffff89, v151
	v_cndmask_b32_e64 v46, v46, 0x77, vcc_lo
	v_cndmask_b32_e32 v44, v47, v44, vcc_lo
	s_delay_alu instid0(VALU_DEP_3) | instskip(NEXT) | instid1(VALU_DEP_3)
	v_cndmask_b32_e64 v151, v151, 0xffffff8a, vcc_lo
	v_lshl_add_u32 v47, 0x100000, v46, -1
	s_delay_alu instid0(VALU_DEP_3) | instskip(SKIP_1) | instid1(VALU_DEP_4)
	v_lshrrev_b32_e32 v56, v46, v44
	v_lshlrev_b32_e64 v58, v46, 0x80000
	v_add_nc_u32_e32 v46, v46, v151
	s_delay_alu instid0(VALU_DEP_4) | instskip(NEXT) | instid1(VALU_DEP_4)
	v_and_b32_e32 v44, v47, v44
	v_bfe_u32 v57, v56, 20, 1
	s_delay_alu instid0(VALU_DEP_2) | instskip(NEXT) | instid1(VALU_DEP_2)
	v_cmp_eq_u32_e64 s11, v44, v58
	v_add_nc_u32_e32 v47, -1, v57
	s_delay_alu instid0(VALU_DEP_1) | instskip(SKIP_2) | instid1(VALU_DEP_2)
	v_cndmask_b32_e64 v44, 0, v47, s11
	v_lshrrev_b32_e32 v47, 23, v56
	s_mov_b32 s11, exec_lo
	v_add_nc_u32_e32 v44, v44, v56
	s_delay_alu instid0(VALU_DEP_2) | instskip(NEXT) | instid1(VALU_DEP_2)
	v_xor_b32_e32 v47, 1, v47
	v_and_b32_e32 v151, 0xfffff, v44
	s_delay_alu instid0(VALU_DEP_1) | instskip(NEXT) | instid1(VALU_DEP_3)
	v_add_nc_u32_e32 v44, v151, v56
                                        ; implicit-def: $vgpr151
	v_cmpx_ne_u32_e64 v46, v47
	s_xor_b32 s11, exec_lo, s11
; %bb.4073:                             ;   in Loop: Header=BB6_3759 Depth=2
	s_delay_alu instid0(VALU_DEP_2) | instskip(SKIP_2) | instid1(VALU_DEP_2)
	v_cmp_lt_u32_e32 vcc_lo, 0xffffff, v44
	v_sub_nc_u32_e32 v151, v46, v47
	v_cndmask_b32_e64 v46, 0, 1, vcc_lo
	v_add_co_ci_u32_e32 v151, vcc_lo, 0, v151, vcc_lo
	s_delay_alu instid0(VALU_DEP_2)
	v_lshrrev_b32_e32 v44, v46, v44
; %bb.4074:                             ;   in Loop: Header=BB6_3759 Depth=2
	s_and_not1_saveexec_b32 s11, s11
; %bb.4075:                             ;   in Loop: Header=BB6_3759 Depth=2
	s_delay_alu instid0(VALU_DEP_1)
	v_bfe_u32 v151, v44, 23, 1
; %bb.4076:                             ;   in Loop: Header=BB6_3759 Depth=2
	s_or_b32 exec_lo, exec_lo, s11
	v_lshrrev_b32_e32 v44, 20, v44
	s_delay_alu instid0(VALU_DEP_2) | instskip(SKIP_2) | instid1(VALU_DEP_2)
	v_cmp_gt_i32_e32 vcc_lo, 16, v151
	v_lshrrev_b32_e32 v45, 24, v45
	v_min_i32_e32 v46, 15, v151
	v_dual_cndmask_b32 v44, 7, v44 :: v_dual_and_b32 v45, 0x80, v45
	s_delay_alu instid0(VALU_DEP_1) | instskip(SKIP_1) | instid1(VALU_DEP_2)
	v_or_b32_e32 v151, v151, v44
	v_and_b32_e32 v47, 7, v44
	v_cmp_ne_u32_e32 vcc_lo, 0, v151
	v_lshlrev_b32_e32 v46, 3, v46
	s_delay_alu instid0(VALU_DEP_1) | instskip(NEXT) | instid1(VALU_DEP_1)
	v_or3_b32 v44, v46, v45, v47
	v_cndmask_b32_e32 v151, 0, v44, vcc_lo
.LBB6_4077:                             ;   in Loop: Header=BB6_3759 Depth=2
	s_or_b32 exec_lo, exec_lo, s28
.LBB6_4078:                             ;   in Loop: Header=BB6_3759 Depth=2
	s_delay_alu instid0(SALU_CYCLE_1) | instskip(NEXT) | instid1(SALU_CYCLE_1)
	s_or_b32 exec_lo, exec_lo, s27
	s_and_not1_b32 vcc_lo, exec_lo, s25
	s_cbranch_vccnz .LBB6_4088
; %bb.4079:                             ;   in Loop: Header=BB6_3759 Depth=2
	v_and_b32_e32 v45, 0xff, v43
	s_mov_b32 s11, 0
	s_mov_b32 s28, exec_lo
                                        ; implicit-def: $sgpr27
	s_delay_alu instid0(VALU_DEP_1)
	v_cmpx_lt_i16_e32 0x7f, v45
	s_xor_b32 s28, exec_lo, s28
	s_cbranch_execnz .LBB6_4861
; %bb.4080:                             ;   in Loop: Header=BB6_3759 Depth=2
	s_or_saveexec_b32 s28, s28
	v_mov_b32_e32 v44, s27
	s_xor_b32 exec_lo, exec_lo, s28
	s_cbranch_execnz .LBB6_4864
.LBB6_4081:                             ;   in Loop: Header=BB6_3759 Depth=2
	s_or_b32 exec_lo, exec_lo, s28
	s_and_saveexec_b32 s27, s11
	s_cbranch_execz .LBB6_4083
.LBB6_4082:                             ;   in Loop: Header=BB6_3759 Depth=2
	v_lshrrev_b16 v47, 3, v43
	v_lshlrev_b32_e32 v56, 24, v43
	s_delay_alu instid0(VALU_DEP_2) | instskip(NEXT) | instid1(VALU_DEP_1)
	v_and_b32_e32 v47, 15, v47
	v_cmp_eq_u32_e32 vcc_lo, 0, v47
	v_and_b32_e32 v44, 7, v43
	s_delay_alu instid0(VALU_DEP_1) | instskip(NEXT) | instid1(VALU_DEP_1)
	v_clz_i32_u32_e32 v45, v44
	v_min_u32_e32 v45, 32, v45
	s_delay_alu instid0(VALU_DEP_1) | instskip(SKIP_1) | instid1(VALU_DEP_1)
	v_subrev_nc_u32_e32 v46, 28, v45
	v_sub_nc_u32_e32 v45, 29, v45
	v_dual_cndmask_b32 v45, v47, v45 :: v_dual_lshlrev_b32 v46, v46, v43
	s_delay_alu instid0(VALU_DEP_1) | instskip(NEXT) | instid1(VALU_DEP_2)
	v_and_b32_e32 v46, 7, v46
	v_lshl_add_u32 v45, v45, 23, 0x3b800000
	s_delay_alu instid0(VALU_DEP_2) | instskip(SKIP_1) | instid1(VALU_DEP_2)
	v_cndmask_b32_e32 v44, v44, v46, vcc_lo
	v_and_b32_e32 v46, 0x80000000, v56
	v_lshlrev_b32_e32 v44, 20, v44
	s_delay_alu instid0(VALU_DEP_1)
	v_or3_b32 v44, v46, v45, v44
.LBB6_4083:                             ;   in Loop: Header=BB6_3759 Depth=2
	s_or_b32 exec_lo, exec_lo, s27
	s_waitcnt vmcnt(20) lgkmcnt(20)
	v_and_b32_e32 v46, 0xff, v162
	s_mov_b32 s11, 0
	s_mov_b32 s28, exec_lo
                                        ; implicit-def: $sgpr27
	s_delay_alu instid0(VALU_DEP_1)
	v_cmpx_lt_i16_e32 0x7f, v46
	s_xor_b32 s28, exec_lo, s28
	s_cbranch_execnz .LBB6_4865
; %bb.4084:                             ;   in Loop: Header=BB6_3759 Depth=2
	s_or_saveexec_b32 s28, s28
	v_mov_b32_e32 v45, s27
	s_xor_b32 exec_lo, exec_lo, s28
	s_cbranch_execnz .LBB6_4868
.LBB6_4085:                             ;   in Loop: Header=BB6_3759 Depth=2
	s_or_b32 exec_lo, exec_lo, s28
	s_and_saveexec_b32 s27, s11
	s_cbranch_execz .LBB6_4087
.LBB6_4086:                             ;   in Loop: Header=BB6_3759 Depth=2
	v_and_b32_e32 v45, 7, v162
	v_lshrrev_b16 v56, 3, v162
	v_lshlrev_b32_e32 v57, 24, v162
	s_delay_alu instid0(VALU_DEP_3) | instskip(NEXT) | instid1(VALU_DEP_1)
	v_clz_i32_u32_e32 v46, v45
	v_min_u32_e32 v46, 32, v46
	s_delay_alu instid0(VALU_DEP_1) | instskip(SKIP_1) | instid1(VALU_DEP_2)
	v_subrev_nc_u32_e32 v47, 28, v46
	v_sub_nc_u32_e32 v46, 29, v46
	v_lshlrev_b32_e32 v47, v47, v162
	s_delay_alu instid0(VALU_DEP_1) | instskip(SKIP_1) | instid1(VALU_DEP_1)
	v_and_b32_e32 v47, 7, v47
	v_and_b32_e32 v56, 15, v56
	v_cmp_eq_u32_e32 vcc_lo, 0, v56
	s_delay_alu instid0(VALU_DEP_3) | instskip(SKIP_1) | instid1(VALU_DEP_2)
	v_dual_cndmask_b32 v45, v45, v47 :: v_dual_cndmask_b32 v46, v56, v46
	v_and_b32_e32 v47, 0x80000000, v57
	v_lshlrev_b32_e32 v45, 20, v45
	s_delay_alu instid0(VALU_DEP_3) | instskip(NEXT) | instid1(VALU_DEP_1)
	v_lshl_add_u32 v46, v46, 23, 0x3b800000
	v_or3_b32 v45, v47, v46, v45
.LBB6_4087:                             ;   in Loop: Header=BB6_3759 Depth=2
	s_or_b32 exec_lo, exec_lo, s27
	s_delay_alu instid0(VALU_DEP_1) | instskip(SKIP_1) | instid1(VALU_DEP_1)
	v_dual_max_f32 v45, v45, v45 :: v_dual_max_f32 v44, v44, v44
	s_mov_b32 s11, 0
	v_max_f32_e32 v44, v44, v45
	s_branch .LBB6_4089
.LBB6_4088:                             ;   in Loop: Header=BB6_3759 Depth=2
	s_mov_b32 s11, -1
                                        ; implicit-def: $vgpr44
.LBB6_4089:                             ;   in Loop: Header=BB6_3759 Depth=2
	s_delay_alu instid0(SALU_CYCLE_1)
	s_and_b32 vcc_lo, exec_lo, s11
	s_cbranch_vccz .LBB6_4099
; %bb.4090:                             ;   in Loop: Header=BB6_3759 Depth=2
	v_and_b32_e32 v45, 0xff, v43
	s_mov_b32 s11, 0
	s_mov_b32 s28, exec_lo
                                        ; implicit-def: $sgpr27
	s_delay_alu instid0(VALU_DEP_1)
	v_cmpx_lt_i16_e32 0x7f, v45
	s_xor_b32 s28, exec_lo, s28
	s_cbranch_execnz .LBB6_4869
; %bb.4091:                             ;   in Loop: Header=BB6_3759 Depth=2
	s_or_saveexec_b32 s28, s28
	v_mov_b32_e32 v44, s27
	s_xor_b32 exec_lo, exec_lo, s28
	s_cbranch_execnz .LBB6_4872
.LBB6_4092:                             ;   in Loop: Header=BB6_3759 Depth=2
	s_or_b32 exec_lo, exec_lo, s28
	s_and_saveexec_b32 s27, s11
	s_cbranch_execz .LBB6_4094
.LBB6_4093:                             ;   in Loop: Header=BB6_3759 Depth=2
	v_lshrrev_b16 v47, 3, v43
	s_delay_alu instid0(VALU_DEP_1) | instskip(NEXT) | instid1(VALU_DEP_1)
	v_and_b32_e32 v47, 15, v47
	v_cmp_eq_u32_e32 vcc_lo, 0, v47
	v_and_b32_e32 v44, 7, v43
	s_delay_alu instid0(VALU_DEP_1) | instskip(NEXT) | instid1(VALU_DEP_1)
	v_clz_i32_u32_e32 v45, v44
	v_min_u32_e32 v45, 32, v45
	s_delay_alu instid0(VALU_DEP_1) | instskip(SKIP_1) | instid1(VALU_DEP_1)
	v_subrev_nc_u32_e32 v46, 28, v45
	v_sub_nc_u32_e32 v45, 29, v45
	v_dual_cndmask_b32 v45, v47, v45 :: v_dual_lshlrev_b32 v46, v46, v43
	v_lshlrev_b32_e32 v43, 24, v43
	s_delay_alu instid0(VALU_DEP_2) | instskip(NEXT) | instid1(VALU_DEP_3)
	v_and_b32_e32 v46, 7, v46
	v_lshl_add_u32 v45, v45, 23, 0x3b800000
	s_delay_alu instid0(VALU_DEP_2) | instskip(NEXT) | instid1(VALU_DEP_1)
	v_dual_cndmask_b32 v44, v44, v46 :: v_dual_and_b32 v43, 0x80000000, v43
	v_lshlrev_b32_e32 v44, 20, v44
	s_delay_alu instid0(VALU_DEP_1)
	v_or3_b32 v44, v43, v45, v44
.LBB6_4094:                             ;   in Loop: Header=BB6_3759 Depth=2
	s_or_b32 exec_lo, exec_lo, s27
	s_waitcnt vmcnt(20) lgkmcnt(20)
	v_and_b32_e32 v45, 0xff, v162
	s_mov_b32 s11, 0
	s_mov_b32 s28, exec_lo
                                        ; implicit-def: $sgpr27
	s_delay_alu instid0(VALU_DEP_1)
	v_cmpx_lt_i16_e32 0x7f, v45
	s_xor_b32 s28, exec_lo, s28
	s_cbranch_execnz .LBB6_4873
; %bb.4095:                             ;   in Loop: Header=BB6_3759 Depth=2
	s_or_saveexec_b32 s28, s28
	v_mov_b32_e32 v43, s27
	s_xor_b32 exec_lo, exec_lo, s28
	s_cbranch_execnz .LBB6_4876
.LBB6_4096:                             ;   in Loop: Header=BB6_3759 Depth=2
	s_or_b32 exec_lo, exec_lo, s28
	s_and_saveexec_b32 s27, s11
	s_cbranch_execz .LBB6_4098
.LBB6_4097:                             ;   in Loop: Header=BB6_3759 Depth=2
	v_and_b32_e32 v43, 7, v162
	v_lshrrev_b16 v47, 3, v162
	s_delay_alu instid0(VALU_DEP_2) | instskip(NEXT) | instid1(VALU_DEP_2)
	v_clz_i32_u32_e32 v45, v43
	v_and_b32_e32 v47, 15, v47
	s_delay_alu instid0(VALU_DEP_2) | instskip(NEXT) | instid1(VALU_DEP_2)
	v_min_u32_e32 v45, 32, v45
	v_cmp_eq_u32_e32 vcc_lo, 0, v47
	s_delay_alu instid0(VALU_DEP_2) | instskip(SKIP_1) | instid1(VALU_DEP_1)
	v_subrev_nc_u32_e32 v46, 28, v45
	v_sub_nc_u32_e32 v45, 29, v45
	v_dual_cndmask_b32 v45, v47, v45 :: v_dual_lshlrev_b32 v46, v46, v162
	v_lshlrev_b32_e32 v162, 24, v162
	s_delay_alu instid0(VALU_DEP_2) | instskip(NEXT) | instid1(VALU_DEP_3)
	v_and_b32_e32 v46, 7, v46
	v_lshl_add_u32 v45, v45, 23, 0x3b800000
	s_delay_alu instid0(VALU_DEP_3) | instskip(NEXT) | instid1(VALU_DEP_3)
	v_and_b32_e32 v162, 0x80000000, v162
	v_cndmask_b32_e32 v43, v43, v46, vcc_lo
	s_delay_alu instid0(VALU_DEP_1) | instskip(NEXT) | instid1(VALU_DEP_1)
	v_lshlrev_b32_e32 v43, 20, v43
	v_or3_b32 v43, v162, v45, v43
.LBB6_4098:                             ;   in Loop: Header=BB6_3759 Depth=2
	s_or_b32 exec_lo, exec_lo, s27
	s_delay_alu instid0(VALU_DEP_1) | instskip(NEXT) | instid1(VALU_DEP_1)
	v_dual_max_f32 v162, v43, v43 :: v_dual_max_f32 v43, v44, v44
	v_min_f32_e32 v44, v43, v162
.LBB6_4099:                             ;   in Loop: Header=BB6_3759 Depth=2
	s_waitcnt vmcnt(20) lgkmcnt(20)
	s_delay_alu instid0(VALU_DEP_1) | instskip(NEXT) | instid1(VALU_DEP_1)
	v_and_b32_e32 v162, 0x7f800000, v44
	v_cmp_ne_u32_e32 vcc_lo, 0x7f800000, v162
	v_mov_b32_e32 v162, 0x80
	s_and_saveexec_b32 s27, vcc_lo
	s_cbranch_execz .LBB6_4107
; %bb.4100:                             ;   in Loop: Header=BB6_3759 Depth=2
	v_mov_b32_e32 v162, 0
	s_mov_b32 s28, exec_lo
	v_cmpx_ne_u32_e32 0, v44
	s_cbranch_execz .LBB6_4106
; %bb.4101:                             ;   in Loop: Header=BB6_3759 Depth=2
	v_bfe_u32 v162, v44, 23, 8
	v_and_b32_e32 v43, 0x7fffff, v44
	s_delay_alu instid0(VALU_DEP_2) | instskip(SKIP_1) | instid1(VALU_DEP_3)
	v_sub_nc_u32_e32 v45, 0x78, v162
	v_cmp_gt_u32_e32 vcc_lo, 0x79, v162
	v_or_b32_e32 v46, 0x800000, v43
	s_delay_alu instid0(VALU_DEP_3) | instskip(SKIP_2) | instid1(VALU_DEP_3)
	v_cndmask_b32_e32 v45, 0, v45, vcc_lo
	v_cmp_eq_u32_e32 vcc_lo, 0, v162
	v_add_nc_u32_e32 v162, 0xffffff89, v162
	v_cndmask_b32_e64 v45, v45, 0x77, vcc_lo
	v_cndmask_b32_e32 v43, v46, v43, vcc_lo
	s_delay_alu instid0(VALU_DEP_3) | instskip(NEXT) | instid1(VALU_DEP_3)
	v_cndmask_b32_e64 v162, v162, 0xffffff8a, vcc_lo
	v_lshl_add_u32 v46, 0x100000, v45, -1
	s_delay_alu instid0(VALU_DEP_3) | instskip(SKIP_1) | instid1(VALU_DEP_4)
	v_lshrrev_b32_e32 v47, v45, v43
	v_lshlrev_b32_e64 v57, v45, 0x80000
	v_add_nc_u32_e32 v45, v45, v162
	s_delay_alu instid0(VALU_DEP_4) | instskip(NEXT) | instid1(VALU_DEP_4)
	v_and_b32_e32 v43, v46, v43
	v_bfe_u32 v56, v47, 20, 1
	s_delay_alu instid0(VALU_DEP_2) | instskip(NEXT) | instid1(VALU_DEP_2)
	v_cmp_eq_u32_e64 s11, v43, v57
	v_add_nc_u32_e32 v46, -1, v56
	s_delay_alu instid0(VALU_DEP_1) | instskip(SKIP_2) | instid1(VALU_DEP_2)
	v_cndmask_b32_e64 v43, 0, v46, s11
	v_lshrrev_b32_e32 v46, 23, v47
	s_mov_b32 s11, exec_lo
	v_add_nc_u32_e32 v43, v43, v47
	s_delay_alu instid0(VALU_DEP_2) | instskip(NEXT) | instid1(VALU_DEP_2)
	v_xor_b32_e32 v46, 1, v46
	v_and_b32_e32 v162, 0xfffff, v43
	s_delay_alu instid0(VALU_DEP_1) | instskip(NEXT) | instid1(VALU_DEP_3)
	v_add_nc_u32_e32 v43, v162, v47
                                        ; implicit-def: $vgpr162
	v_cmpx_ne_u32_e64 v45, v46
	s_xor_b32 s11, exec_lo, s11
; %bb.4102:                             ;   in Loop: Header=BB6_3759 Depth=2
	s_delay_alu instid0(VALU_DEP_2) | instskip(SKIP_2) | instid1(VALU_DEP_2)
	v_cmp_lt_u32_e32 vcc_lo, 0xffffff, v43
	v_sub_nc_u32_e32 v162, v45, v46
	v_cndmask_b32_e64 v45, 0, 1, vcc_lo
	v_add_co_ci_u32_e32 v162, vcc_lo, 0, v162, vcc_lo
	s_delay_alu instid0(VALU_DEP_2)
	v_lshrrev_b32_e32 v43, v45, v43
; %bb.4103:                             ;   in Loop: Header=BB6_3759 Depth=2
	s_and_not1_saveexec_b32 s11, s11
; %bb.4104:                             ;   in Loop: Header=BB6_3759 Depth=2
	s_delay_alu instid0(VALU_DEP_1)
	v_bfe_u32 v162, v43, 23, 1
; %bb.4105:                             ;   in Loop: Header=BB6_3759 Depth=2
	s_or_b32 exec_lo, exec_lo, s11
	v_lshrrev_b32_e32 v43, 20, v43
	s_delay_alu instid0(VALU_DEP_2) | instskip(SKIP_2) | instid1(VALU_DEP_2)
	v_cmp_gt_i32_e32 vcc_lo, 16, v162
	v_lshrrev_b32_e32 v44, 24, v44
	v_min_i32_e32 v45, 15, v162
	v_dual_cndmask_b32 v43, 7, v43 :: v_dual_and_b32 v44, 0x80, v44
	s_delay_alu instid0(VALU_DEP_1) | instskip(SKIP_1) | instid1(VALU_DEP_2)
	v_or_b32_e32 v162, v162, v43
	v_and_b32_e32 v46, 7, v43
	v_cmp_ne_u32_e32 vcc_lo, 0, v162
	v_lshlrev_b32_e32 v45, 3, v45
	s_delay_alu instid0(VALU_DEP_1) | instskip(NEXT) | instid1(VALU_DEP_1)
	v_or3_b32 v43, v45, v44, v46
	v_cndmask_b32_e32 v162, 0, v43, vcc_lo
.LBB6_4106:                             ;   in Loop: Header=BB6_3759 Depth=2
	s_or_b32 exec_lo, exec_lo, s28
.LBB6_4107:                             ;   in Loop: Header=BB6_3759 Depth=2
	s_delay_alu instid0(SALU_CYCLE_1) | instskip(NEXT) | instid1(SALU_CYCLE_1)
	s_or_b32 exec_lo, exec_lo, s27
	s_and_not1_b32 vcc_lo, exec_lo, s25
	s_cbranch_vccnz .LBB6_4117
; %bb.4108:                             ;   in Loop: Header=BB6_3759 Depth=2
	v_and_b32_e32 v44, 0xff, v42
	s_mov_b32 s11, 0
	s_mov_b32 s28, exec_lo
                                        ; implicit-def: $sgpr27
	s_delay_alu instid0(VALU_DEP_1)
	v_cmpx_lt_i16_e32 0x7f, v44
	s_xor_b32 s28, exec_lo, s28
	s_cbranch_execnz .LBB6_4877
; %bb.4109:                             ;   in Loop: Header=BB6_3759 Depth=2
	s_or_saveexec_b32 s28, s28
	v_mov_b32_e32 v43, s27
	s_xor_b32 exec_lo, exec_lo, s28
	s_cbranch_execnz .LBB6_4880
.LBB6_4110:                             ;   in Loop: Header=BB6_3759 Depth=2
	s_or_b32 exec_lo, exec_lo, s28
	s_and_saveexec_b32 s27, s11
	s_cbranch_execz .LBB6_4112
.LBB6_4111:                             ;   in Loop: Header=BB6_3759 Depth=2
	v_lshrrev_b16 v46, 3, v42
	v_lshlrev_b32_e32 v47, 24, v42
	s_delay_alu instid0(VALU_DEP_2) | instskip(NEXT) | instid1(VALU_DEP_1)
	v_and_b32_e32 v46, 15, v46
	v_cmp_eq_u32_e32 vcc_lo, 0, v46
	v_and_b32_e32 v43, 7, v42
	s_delay_alu instid0(VALU_DEP_1) | instskip(NEXT) | instid1(VALU_DEP_1)
	v_clz_i32_u32_e32 v44, v43
	v_min_u32_e32 v44, 32, v44
	s_delay_alu instid0(VALU_DEP_1) | instskip(SKIP_1) | instid1(VALU_DEP_1)
	v_subrev_nc_u32_e32 v45, 28, v44
	v_sub_nc_u32_e32 v44, 29, v44
	v_dual_cndmask_b32 v44, v46, v44 :: v_dual_lshlrev_b32 v45, v45, v42
	s_delay_alu instid0(VALU_DEP_1) | instskip(NEXT) | instid1(VALU_DEP_2)
	v_and_b32_e32 v45, 7, v45
	v_lshl_add_u32 v44, v44, 23, 0x3b800000
	s_delay_alu instid0(VALU_DEP_2) | instskip(SKIP_1) | instid1(VALU_DEP_2)
	v_cndmask_b32_e32 v43, v43, v45, vcc_lo
	v_and_b32_e32 v45, 0x80000000, v47
	v_lshlrev_b32_e32 v43, 20, v43
	s_delay_alu instid0(VALU_DEP_1)
	v_or3_b32 v43, v45, v44, v43
.LBB6_4112:                             ;   in Loop: Header=BB6_3759 Depth=2
	s_or_b32 exec_lo, exec_lo, s27
	s_waitcnt vmcnt(19) lgkmcnt(19)
	v_and_b32_e32 v45, 0xff, v165
	s_mov_b32 s11, 0
	s_mov_b32 s28, exec_lo
                                        ; implicit-def: $sgpr27
	s_delay_alu instid0(VALU_DEP_1)
	v_cmpx_lt_i16_e32 0x7f, v45
	s_xor_b32 s28, exec_lo, s28
	s_cbranch_execnz .LBB6_4881
; %bb.4113:                             ;   in Loop: Header=BB6_3759 Depth=2
	s_or_saveexec_b32 s28, s28
	v_mov_b32_e32 v44, s27
	s_xor_b32 exec_lo, exec_lo, s28
	s_cbranch_execnz .LBB6_4884
.LBB6_4114:                             ;   in Loop: Header=BB6_3759 Depth=2
	s_or_b32 exec_lo, exec_lo, s28
	s_and_saveexec_b32 s27, s11
	s_cbranch_execz .LBB6_4116
.LBB6_4115:                             ;   in Loop: Header=BB6_3759 Depth=2
	v_and_b32_e32 v44, 7, v165
	v_lshrrev_b16 v47, 3, v165
	v_lshlrev_b32_e32 v56, 24, v165
	s_delay_alu instid0(VALU_DEP_3) | instskip(NEXT) | instid1(VALU_DEP_1)
	v_clz_i32_u32_e32 v45, v44
	v_min_u32_e32 v45, 32, v45
	s_delay_alu instid0(VALU_DEP_1) | instskip(SKIP_1) | instid1(VALU_DEP_2)
	v_subrev_nc_u32_e32 v46, 28, v45
	v_sub_nc_u32_e32 v45, 29, v45
	v_lshlrev_b32_e32 v46, v46, v165
	s_delay_alu instid0(VALU_DEP_1) | instskip(SKIP_1) | instid1(VALU_DEP_1)
	v_and_b32_e32 v46, 7, v46
	v_and_b32_e32 v47, 15, v47
	v_cmp_eq_u32_e32 vcc_lo, 0, v47
	s_delay_alu instid0(VALU_DEP_3) | instskip(SKIP_1) | instid1(VALU_DEP_2)
	v_dual_cndmask_b32 v44, v44, v46 :: v_dual_cndmask_b32 v45, v47, v45
	v_and_b32_e32 v46, 0x80000000, v56
	v_lshlrev_b32_e32 v44, 20, v44
	s_delay_alu instid0(VALU_DEP_3) | instskip(NEXT) | instid1(VALU_DEP_1)
	v_lshl_add_u32 v45, v45, 23, 0x3b800000
	v_or3_b32 v44, v46, v45, v44
.LBB6_4116:                             ;   in Loop: Header=BB6_3759 Depth=2
	s_or_b32 exec_lo, exec_lo, s27
	s_delay_alu instid0(VALU_DEP_1) | instskip(SKIP_1) | instid1(VALU_DEP_1)
	v_dual_max_f32 v44, v44, v44 :: v_dual_max_f32 v43, v43, v43
	s_mov_b32 s11, 0
	v_max_f32_e32 v43, v43, v44
	s_branch .LBB6_4118
.LBB6_4117:                             ;   in Loop: Header=BB6_3759 Depth=2
	s_mov_b32 s11, -1
                                        ; implicit-def: $vgpr43
.LBB6_4118:                             ;   in Loop: Header=BB6_3759 Depth=2
	s_delay_alu instid0(SALU_CYCLE_1)
	s_and_b32 vcc_lo, exec_lo, s11
	s_cbranch_vccz .LBB6_4128
; %bb.4119:                             ;   in Loop: Header=BB6_3759 Depth=2
	v_and_b32_e32 v44, 0xff, v42
	s_mov_b32 s11, 0
	s_mov_b32 s28, exec_lo
                                        ; implicit-def: $sgpr27
	s_delay_alu instid0(VALU_DEP_1)
	v_cmpx_lt_i16_e32 0x7f, v44
	s_xor_b32 s28, exec_lo, s28
	s_cbranch_execnz .LBB6_4885
; %bb.4120:                             ;   in Loop: Header=BB6_3759 Depth=2
	s_or_saveexec_b32 s28, s28
	v_mov_b32_e32 v43, s27
	s_xor_b32 exec_lo, exec_lo, s28
	s_cbranch_execnz .LBB6_4888
.LBB6_4121:                             ;   in Loop: Header=BB6_3759 Depth=2
	s_or_b32 exec_lo, exec_lo, s28
	s_and_saveexec_b32 s27, s11
	s_cbranch_execz .LBB6_4123
.LBB6_4122:                             ;   in Loop: Header=BB6_3759 Depth=2
	v_lshrrev_b16 v46, 3, v42
	s_delay_alu instid0(VALU_DEP_1) | instskip(NEXT) | instid1(VALU_DEP_1)
	v_and_b32_e32 v46, 15, v46
	v_cmp_eq_u32_e32 vcc_lo, 0, v46
	v_and_b32_e32 v43, 7, v42
	s_delay_alu instid0(VALU_DEP_1) | instskip(NEXT) | instid1(VALU_DEP_1)
	v_clz_i32_u32_e32 v44, v43
	v_min_u32_e32 v44, 32, v44
	s_delay_alu instid0(VALU_DEP_1) | instskip(SKIP_1) | instid1(VALU_DEP_1)
	v_subrev_nc_u32_e32 v45, 28, v44
	v_sub_nc_u32_e32 v44, 29, v44
	v_dual_cndmask_b32 v44, v46, v44 :: v_dual_lshlrev_b32 v45, v45, v42
	v_lshlrev_b32_e32 v42, 24, v42
	s_delay_alu instid0(VALU_DEP_2) | instskip(NEXT) | instid1(VALU_DEP_3)
	v_and_b32_e32 v45, 7, v45
	v_lshl_add_u32 v44, v44, 23, 0x3b800000
	s_delay_alu instid0(VALU_DEP_2) | instskip(NEXT) | instid1(VALU_DEP_1)
	v_dual_cndmask_b32 v43, v43, v45 :: v_dual_and_b32 v42, 0x80000000, v42
	v_lshlrev_b32_e32 v43, 20, v43
	s_delay_alu instid0(VALU_DEP_1)
	v_or3_b32 v43, v42, v44, v43
.LBB6_4123:                             ;   in Loop: Header=BB6_3759 Depth=2
	s_or_b32 exec_lo, exec_lo, s27
	s_waitcnt vmcnt(19) lgkmcnt(19)
	v_and_b32_e32 v44, 0xff, v165
	s_mov_b32 s11, 0
	s_mov_b32 s28, exec_lo
                                        ; implicit-def: $sgpr27
	s_delay_alu instid0(VALU_DEP_1)
	v_cmpx_lt_i16_e32 0x7f, v44
	s_xor_b32 s28, exec_lo, s28
	s_cbranch_execnz .LBB6_4889
; %bb.4124:                             ;   in Loop: Header=BB6_3759 Depth=2
	s_or_saveexec_b32 s28, s28
	v_mov_b32_e32 v42, s27
	s_xor_b32 exec_lo, exec_lo, s28
	s_cbranch_execnz .LBB6_4892
.LBB6_4125:                             ;   in Loop: Header=BB6_3759 Depth=2
	s_or_b32 exec_lo, exec_lo, s28
	s_and_saveexec_b32 s27, s11
	s_cbranch_execz .LBB6_4127
.LBB6_4126:                             ;   in Loop: Header=BB6_3759 Depth=2
	v_and_b32_e32 v42, 7, v165
	v_lshrrev_b16 v46, 3, v165
	s_delay_alu instid0(VALU_DEP_2) | instskip(NEXT) | instid1(VALU_DEP_2)
	v_clz_i32_u32_e32 v44, v42
	v_and_b32_e32 v46, 15, v46
	s_delay_alu instid0(VALU_DEP_2) | instskip(NEXT) | instid1(VALU_DEP_2)
	v_min_u32_e32 v44, 32, v44
	v_cmp_eq_u32_e32 vcc_lo, 0, v46
	s_delay_alu instid0(VALU_DEP_2) | instskip(SKIP_1) | instid1(VALU_DEP_1)
	v_subrev_nc_u32_e32 v45, 28, v44
	v_sub_nc_u32_e32 v44, 29, v44
	v_dual_cndmask_b32 v44, v46, v44 :: v_dual_lshlrev_b32 v45, v45, v165
	v_lshlrev_b32_e32 v165, 24, v165
	s_delay_alu instid0(VALU_DEP_2) | instskip(NEXT) | instid1(VALU_DEP_3)
	v_and_b32_e32 v45, 7, v45
	v_lshl_add_u32 v44, v44, 23, 0x3b800000
	s_delay_alu instid0(VALU_DEP_3) | instskip(NEXT) | instid1(VALU_DEP_3)
	v_and_b32_e32 v165, 0x80000000, v165
	v_cndmask_b32_e32 v42, v42, v45, vcc_lo
	s_delay_alu instid0(VALU_DEP_1) | instskip(NEXT) | instid1(VALU_DEP_1)
	v_lshlrev_b32_e32 v42, 20, v42
	v_or3_b32 v42, v165, v44, v42
.LBB6_4127:                             ;   in Loop: Header=BB6_3759 Depth=2
	s_or_b32 exec_lo, exec_lo, s27
	s_delay_alu instid0(VALU_DEP_1) | instskip(NEXT) | instid1(VALU_DEP_1)
	v_dual_max_f32 v165, v42, v42 :: v_dual_max_f32 v42, v43, v43
	v_min_f32_e32 v43, v42, v165
.LBB6_4128:                             ;   in Loop: Header=BB6_3759 Depth=2
	s_waitcnt vmcnt(19) lgkmcnt(19)
	s_delay_alu instid0(VALU_DEP_1) | instskip(NEXT) | instid1(VALU_DEP_1)
	v_and_b32_e32 v165, 0x7f800000, v43
	v_cmp_ne_u32_e32 vcc_lo, 0x7f800000, v165
	v_mov_b32_e32 v165, 0x80
	s_and_saveexec_b32 s27, vcc_lo
	s_cbranch_execz .LBB6_4136
; %bb.4129:                             ;   in Loop: Header=BB6_3759 Depth=2
	v_mov_b32_e32 v165, 0
	s_mov_b32 s28, exec_lo
	v_cmpx_ne_u32_e32 0, v43
	s_cbranch_execz .LBB6_4135
; %bb.4130:                             ;   in Loop: Header=BB6_3759 Depth=2
	v_bfe_u32 v165, v43, 23, 8
	v_and_b32_e32 v42, 0x7fffff, v43
	s_delay_alu instid0(VALU_DEP_2) | instskip(SKIP_1) | instid1(VALU_DEP_3)
	v_sub_nc_u32_e32 v44, 0x78, v165
	v_cmp_gt_u32_e32 vcc_lo, 0x79, v165
	v_or_b32_e32 v45, 0x800000, v42
	s_delay_alu instid0(VALU_DEP_3) | instskip(SKIP_2) | instid1(VALU_DEP_3)
	v_cndmask_b32_e32 v44, 0, v44, vcc_lo
	v_cmp_eq_u32_e32 vcc_lo, 0, v165
	v_add_nc_u32_e32 v165, 0xffffff89, v165
	v_cndmask_b32_e64 v44, v44, 0x77, vcc_lo
	v_cndmask_b32_e32 v42, v45, v42, vcc_lo
	s_delay_alu instid0(VALU_DEP_3) | instskip(NEXT) | instid1(VALU_DEP_3)
	v_cndmask_b32_e64 v165, v165, 0xffffff8a, vcc_lo
	v_lshl_add_u32 v45, 0x100000, v44, -1
	s_delay_alu instid0(VALU_DEP_3) | instskip(SKIP_1) | instid1(VALU_DEP_4)
	v_lshrrev_b32_e32 v46, v44, v42
	v_lshlrev_b32_e64 v56, v44, 0x80000
	v_add_nc_u32_e32 v44, v44, v165
	s_delay_alu instid0(VALU_DEP_4) | instskip(NEXT) | instid1(VALU_DEP_4)
	v_and_b32_e32 v42, v45, v42
	v_bfe_u32 v47, v46, 20, 1
	s_delay_alu instid0(VALU_DEP_2) | instskip(NEXT) | instid1(VALU_DEP_2)
	v_cmp_eq_u32_e64 s11, v42, v56
	v_add_nc_u32_e32 v45, -1, v47
	s_delay_alu instid0(VALU_DEP_1) | instskip(SKIP_2) | instid1(VALU_DEP_2)
	v_cndmask_b32_e64 v42, 0, v45, s11
	v_lshrrev_b32_e32 v45, 23, v46
	s_mov_b32 s11, exec_lo
	v_add_nc_u32_e32 v42, v42, v46
	s_delay_alu instid0(VALU_DEP_2) | instskip(NEXT) | instid1(VALU_DEP_2)
	v_xor_b32_e32 v45, 1, v45
	v_and_b32_e32 v165, 0xfffff, v42
	s_delay_alu instid0(VALU_DEP_1) | instskip(NEXT) | instid1(VALU_DEP_3)
	v_add_nc_u32_e32 v42, v165, v46
                                        ; implicit-def: $vgpr165
	v_cmpx_ne_u32_e64 v44, v45
	s_xor_b32 s11, exec_lo, s11
; %bb.4131:                             ;   in Loop: Header=BB6_3759 Depth=2
	s_delay_alu instid0(VALU_DEP_2) | instskip(SKIP_2) | instid1(VALU_DEP_2)
	v_cmp_lt_u32_e32 vcc_lo, 0xffffff, v42
	v_sub_nc_u32_e32 v165, v44, v45
	v_cndmask_b32_e64 v44, 0, 1, vcc_lo
	v_add_co_ci_u32_e32 v165, vcc_lo, 0, v165, vcc_lo
	s_delay_alu instid0(VALU_DEP_2)
	v_lshrrev_b32_e32 v42, v44, v42
; %bb.4132:                             ;   in Loop: Header=BB6_3759 Depth=2
	s_and_not1_saveexec_b32 s11, s11
; %bb.4133:                             ;   in Loop: Header=BB6_3759 Depth=2
	s_delay_alu instid0(VALU_DEP_1)
	v_bfe_u32 v165, v42, 23, 1
; %bb.4134:                             ;   in Loop: Header=BB6_3759 Depth=2
	s_or_b32 exec_lo, exec_lo, s11
	v_lshrrev_b32_e32 v42, 20, v42
	s_delay_alu instid0(VALU_DEP_2) | instskip(SKIP_2) | instid1(VALU_DEP_2)
	v_cmp_gt_i32_e32 vcc_lo, 16, v165
	v_lshrrev_b32_e32 v43, 24, v43
	v_min_i32_e32 v44, 15, v165
	v_dual_cndmask_b32 v42, 7, v42 :: v_dual_and_b32 v43, 0x80, v43
	s_delay_alu instid0(VALU_DEP_1) | instskip(SKIP_1) | instid1(VALU_DEP_2)
	v_or_b32_e32 v165, v165, v42
	v_and_b32_e32 v45, 7, v42
	v_cmp_ne_u32_e32 vcc_lo, 0, v165
	v_lshlrev_b32_e32 v44, 3, v44
	s_delay_alu instid0(VALU_DEP_1) | instskip(NEXT) | instid1(VALU_DEP_1)
	v_or3_b32 v42, v44, v43, v45
	v_cndmask_b32_e32 v165, 0, v42, vcc_lo
.LBB6_4135:                             ;   in Loop: Header=BB6_3759 Depth=2
	s_or_b32 exec_lo, exec_lo, s28
.LBB6_4136:                             ;   in Loop: Header=BB6_3759 Depth=2
	s_delay_alu instid0(SALU_CYCLE_1) | instskip(NEXT) | instid1(SALU_CYCLE_1)
	s_or_b32 exec_lo, exec_lo, s27
	s_and_not1_b32 vcc_lo, exec_lo, s25
	s_cbranch_vccnz .LBB6_4146
; %bb.4137:                             ;   in Loop: Header=BB6_3759 Depth=2
	v_and_b32_e32 v43, 0xff, v41
	s_mov_b32 s11, 0
	s_mov_b32 s28, exec_lo
                                        ; implicit-def: $sgpr27
	s_delay_alu instid0(VALU_DEP_1)
	v_cmpx_lt_i16_e32 0x7f, v43
	s_xor_b32 s28, exec_lo, s28
	s_cbranch_execnz .LBB6_4893
; %bb.4138:                             ;   in Loop: Header=BB6_3759 Depth=2
	s_or_saveexec_b32 s28, s28
	v_mov_b32_e32 v42, s27
	s_xor_b32 exec_lo, exec_lo, s28
	s_cbranch_execnz .LBB6_4896
.LBB6_4139:                             ;   in Loop: Header=BB6_3759 Depth=2
	s_or_b32 exec_lo, exec_lo, s28
	s_and_saveexec_b32 s27, s11
	s_cbranch_execz .LBB6_4141
.LBB6_4140:                             ;   in Loop: Header=BB6_3759 Depth=2
	v_lshrrev_b16 v45, 3, v41
	v_lshlrev_b32_e32 v46, 24, v41
	s_delay_alu instid0(VALU_DEP_2) | instskip(NEXT) | instid1(VALU_DEP_1)
	v_and_b32_e32 v45, 15, v45
	v_cmp_eq_u32_e32 vcc_lo, 0, v45
	v_and_b32_e32 v42, 7, v41
	s_delay_alu instid0(VALU_DEP_1) | instskip(NEXT) | instid1(VALU_DEP_1)
	v_clz_i32_u32_e32 v43, v42
	v_min_u32_e32 v43, 32, v43
	s_delay_alu instid0(VALU_DEP_1) | instskip(SKIP_1) | instid1(VALU_DEP_1)
	v_subrev_nc_u32_e32 v44, 28, v43
	v_sub_nc_u32_e32 v43, 29, v43
	v_dual_cndmask_b32 v43, v45, v43 :: v_dual_lshlrev_b32 v44, v44, v41
	s_delay_alu instid0(VALU_DEP_1) | instskip(NEXT) | instid1(VALU_DEP_2)
	v_and_b32_e32 v44, 7, v44
	v_lshl_add_u32 v43, v43, 23, 0x3b800000
	s_delay_alu instid0(VALU_DEP_2) | instskip(SKIP_1) | instid1(VALU_DEP_2)
	v_cndmask_b32_e32 v42, v42, v44, vcc_lo
	v_and_b32_e32 v44, 0x80000000, v46
	v_lshlrev_b32_e32 v42, 20, v42
	s_delay_alu instid0(VALU_DEP_1)
	v_or3_b32 v42, v44, v43, v42
.LBB6_4141:                             ;   in Loop: Header=BB6_3759 Depth=2
	s_or_b32 exec_lo, exec_lo, s27
	s_waitcnt vmcnt(18) lgkmcnt(18)
	v_and_b32_e32 v44, 0xff, v176
	s_mov_b32 s11, 0
	s_mov_b32 s28, exec_lo
                                        ; implicit-def: $sgpr27
	s_delay_alu instid0(VALU_DEP_1)
	v_cmpx_lt_i16_e32 0x7f, v44
	s_xor_b32 s28, exec_lo, s28
	s_cbranch_execnz .LBB6_4897
; %bb.4142:                             ;   in Loop: Header=BB6_3759 Depth=2
	s_or_saveexec_b32 s28, s28
	v_mov_b32_e32 v43, s27
	s_xor_b32 exec_lo, exec_lo, s28
	s_cbranch_execnz .LBB6_4900
.LBB6_4143:                             ;   in Loop: Header=BB6_3759 Depth=2
	s_or_b32 exec_lo, exec_lo, s28
	s_and_saveexec_b32 s27, s11
	s_cbranch_execz .LBB6_4145
.LBB6_4144:                             ;   in Loop: Header=BB6_3759 Depth=2
	v_and_b32_e32 v43, 7, v176
	v_lshrrev_b16 v46, 3, v176
	v_lshlrev_b32_e32 v47, 24, v176
	s_delay_alu instid0(VALU_DEP_3) | instskip(NEXT) | instid1(VALU_DEP_1)
	v_clz_i32_u32_e32 v44, v43
	v_min_u32_e32 v44, 32, v44
	s_delay_alu instid0(VALU_DEP_1) | instskip(SKIP_1) | instid1(VALU_DEP_2)
	v_subrev_nc_u32_e32 v45, 28, v44
	v_sub_nc_u32_e32 v44, 29, v44
	v_lshlrev_b32_e32 v45, v45, v176
	s_delay_alu instid0(VALU_DEP_1) | instskip(SKIP_1) | instid1(VALU_DEP_1)
	v_and_b32_e32 v45, 7, v45
	v_and_b32_e32 v46, 15, v46
	v_cmp_eq_u32_e32 vcc_lo, 0, v46
	s_delay_alu instid0(VALU_DEP_3) | instskip(SKIP_1) | instid1(VALU_DEP_2)
	v_dual_cndmask_b32 v43, v43, v45 :: v_dual_cndmask_b32 v44, v46, v44
	v_and_b32_e32 v45, 0x80000000, v47
	v_lshlrev_b32_e32 v43, 20, v43
	s_delay_alu instid0(VALU_DEP_3) | instskip(NEXT) | instid1(VALU_DEP_1)
	v_lshl_add_u32 v44, v44, 23, 0x3b800000
	v_or3_b32 v43, v45, v44, v43
.LBB6_4145:                             ;   in Loop: Header=BB6_3759 Depth=2
	s_or_b32 exec_lo, exec_lo, s27
	s_delay_alu instid0(VALU_DEP_1) | instskip(SKIP_1) | instid1(VALU_DEP_1)
	v_dual_max_f32 v43, v43, v43 :: v_dual_max_f32 v42, v42, v42
	s_mov_b32 s11, 0
	v_max_f32_e32 v42, v42, v43
	s_branch .LBB6_4147
.LBB6_4146:                             ;   in Loop: Header=BB6_3759 Depth=2
	s_mov_b32 s11, -1
                                        ; implicit-def: $vgpr42
.LBB6_4147:                             ;   in Loop: Header=BB6_3759 Depth=2
	s_delay_alu instid0(SALU_CYCLE_1)
	s_and_b32 vcc_lo, exec_lo, s11
	s_cbranch_vccz .LBB6_4157
; %bb.4148:                             ;   in Loop: Header=BB6_3759 Depth=2
	v_and_b32_e32 v43, 0xff, v41
	s_mov_b32 s11, 0
	s_mov_b32 s28, exec_lo
                                        ; implicit-def: $sgpr27
	s_delay_alu instid0(VALU_DEP_1)
	v_cmpx_lt_i16_e32 0x7f, v43
	s_xor_b32 s28, exec_lo, s28
	s_cbranch_execnz .LBB6_4901
; %bb.4149:                             ;   in Loop: Header=BB6_3759 Depth=2
	s_or_saveexec_b32 s28, s28
	v_mov_b32_e32 v42, s27
	s_xor_b32 exec_lo, exec_lo, s28
	s_cbranch_execnz .LBB6_4904
.LBB6_4150:                             ;   in Loop: Header=BB6_3759 Depth=2
	s_or_b32 exec_lo, exec_lo, s28
	s_and_saveexec_b32 s27, s11
	s_cbranch_execz .LBB6_4152
.LBB6_4151:                             ;   in Loop: Header=BB6_3759 Depth=2
	v_lshrrev_b16 v45, 3, v41
	s_delay_alu instid0(VALU_DEP_1) | instskip(NEXT) | instid1(VALU_DEP_1)
	v_and_b32_e32 v45, 15, v45
	v_cmp_eq_u32_e32 vcc_lo, 0, v45
	v_and_b32_e32 v42, 7, v41
	s_delay_alu instid0(VALU_DEP_1) | instskip(NEXT) | instid1(VALU_DEP_1)
	v_clz_i32_u32_e32 v43, v42
	v_min_u32_e32 v43, 32, v43
	s_delay_alu instid0(VALU_DEP_1) | instskip(SKIP_1) | instid1(VALU_DEP_1)
	v_subrev_nc_u32_e32 v44, 28, v43
	v_sub_nc_u32_e32 v43, 29, v43
	v_dual_cndmask_b32 v43, v45, v43 :: v_dual_lshlrev_b32 v44, v44, v41
	v_lshlrev_b32_e32 v41, 24, v41
	s_delay_alu instid0(VALU_DEP_2) | instskip(NEXT) | instid1(VALU_DEP_3)
	v_and_b32_e32 v44, 7, v44
	v_lshl_add_u32 v43, v43, 23, 0x3b800000
	s_delay_alu instid0(VALU_DEP_2) | instskip(NEXT) | instid1(VALU_DEP_1)
	v_dual_cndmask_b32 v42, v42, v44 :: v_dual_and_b32 v41, 0x80000000, v41
	v_lshlrev_b32_e32 v42, 20, v42
	s_delay_alu instid0(VALU_DEP_1)
	v_or3_b32 v42, v41, v43, v42
.LBB6_4152:                             ;   in Loop: Header=BB6_3759 Depth=2
	s_or_b32 exec_lo, exec_lo, s27
	s_waitcnt vmcnt(18) lgkmcnt(18)
	v_and_b32_e32 v43, 0xff, v176
	s_mov_b32 s11, 0
	s_mov_b32 s28, exec_lo
                                        ; implicit-def: $sgpr27
	s_delay_alu instid0(VALU_DEP_1)
	v_cmpx_lt_i16_e32 0x7f, v43
	s_xor_b32 s28, exec_lo, s28
	s_cbranch_execnz .LBB6_4905
; %bb.4153:                             ;   in Loop: Header=BB6_3759 Depth=2
	s_or_saveexec_b32 s28, s28
	v_mov_b32_e32 v41, s27
	s_xor_b32 exec_lo, exec_lo, s28
	s_cbranch_execnz .LBB6_4908
.LBB6_4154:                             ;   in Loop: Header=BB6_3759 Depth=2
	s_or_b32 exec_lo, exec_lo, s28
	s_and_saveexec_b32 s27, s11
	s_cbranch_execz .LBB6_4156
.LBB6_4155:                             ;   in Loop: Header=BB6_3759 Depth=2
	v_and_b32_e32 v41, 7, v176
	v_lshrrev_b16 v45, 3, v176
	s_delay_alu instid0(VALU_DEP_2) | instskip(NEXT) | instid1(VALU_DEP_2)
	v_clz_i32_u32_e32 v43, v41
	v_and_b32_e32 v45, 15, v45
	s_delay_alu instid0(VALU_DEP_2) | instskip(NEXT) | instid1(VALU_DEP_2)
	v_min_u32_e32 v43, 32, v43
	v_cmp_eq_u32_e32 vcc_lo, 0, v45
	s_delay_alu instid0(VALU_DEP_2) | instskip(SKIP_1) | instid1(VALU_DEP_1)
	v_subrev_nc_u32_e32 v44, 28, v43
	v_sub_nc_u32_e32 v43, 29, v43
	v_dual_cndmask_b32 v43, v45, v43 :: v_dual_lshlrev_b32 v44, v44, v176
	v_lshlrev_b32_e32 v176, 24, v176
	s_delay_alu instid0(VALU_DEP_2) | instskip(NEXT) | instid1(VALU_DEP_3)
	v_and_b32_e32 v44, 7, v44
	v_lshl_add_u32 v43, v43, 23, 0x3b800000
	s_delay_alu instid0(VALU_DEP_3) | instskip(NEXT) | instid1(VALU_DEP_3)
	v_and_b32_e32 v176, 0x80000000, v176
	v_cndmask_b32_e32 v41, v41, v44, vcc_lo
	s_delay_alu instid0(VALU_DEP_1) | instskip(NEXT) | instid1(VALU_DEP_1)
	v_lshlrev_b32_e32 v41, 20, v41
	v_or3_b32 v41, v176, v43, v41
.LBB6_4156:                             ;   in Loop: Header=BB6_3759 Depth=2
	s_or_b32 exec_lo, exec_lo, s27
	s_delay_alu instid0(VALU_DEP_1) | instskip(NEXT) | instid1(VALU_DEP_1)
	v_dual_max_f32 v176, v41, v41 :: v_dual_max_f32 v41, v42, v42
	v_min_f32_e32 v42, v41, v176
.LBB6_4157:                             ;   in Loop: Header=BB6_3759 Depth=2
	s_waitcnt vmcnt(18) lgkmcnt(18)
	s_delay_alu instid0(VALU_DEP_1) | instskip(NEXT) | instid1(VALU_DEP_1)
	v_and_b32_e32 v176, 0x7f800000, v42
	v_cmp_ne_u32_e32 vcc_lo, 0x7f800000, v176
	v_mov_b32_e32 v176, 0x80
	s_and_saveexec_b32 s27, vcc_lo
	s_cbranch_execz .LBB6_4165
; %bb.4158:                             ;   in Loop: Header=BB6_3759 Depth=2
	v_mov_b32_e32 v176, 0
	s_mov_b32 s28, exec_lo
	v_cmpx_ne_u32_e32 0, v42
	s_cbranch_execz .LBB6_4164
; %bb.4159:                             ;   in Loop: Header=BB6_3759 Depth=2
	v_bfe_u32 v176, v42, 23, 8
	v_and_b32_e32 v41, 0x7fffff, v42
	s_delay_alu instid0(VALU_DEP_2) | instskip(SKIP_1) | instid1(VALU_DEP_3)
	v_sub_nc_u32_e32 v43, 0x78, v176
	v_cmp_gt_u32_e32 vcc_lo, 0x79, v176
	v_or_b32_e32 v44, 0x800000, v41
	s_delay_alu instid0(VALU_DEP_3) | instskip(SKIP_2) | instid1(VALU_DEP_3)
	v_cndmask_b32_e32 v43, 0, v43, vcc_lo
	v_cmp_eq_u32_e32 vcc_lo, 0, v176
	v_add_nc_u32_e32 v176, 0xffffff89, v176
	v_cndmask_b32_e64 v43, v43, 0x77, vcc_lo
	v_cndmask_b32_e32 v41, v44, v41, vcc_lo
	s_delay_alu instid0(VALU_DEP_3) | instskip(NEXT) | instid1(VALU_DEP_3)
	v_cndmask_b32_e64 v176, v176, 0xffffff8a, vcc_lo
	v_lshl_add_u32 v44, 0x100000, v43, -1
	s_delay_alu instid0(VALU_DEP_3) | instskip(SKIP_1) | instid1(VALU_DEP_4)
	v_lshrrev_b32_e32 v45, v43, v41
	v_lshlrev_b32_e64 v47, v43, 0x80000
	v_add_nc_u32_e32 v43, v43, v176
	s_delay_alu instid0(VALU_DEP_4) | instskip(NEXT) | instid1(VALU_DEP_4)
	v_and_b32_e32 v41, v44, v41
	v_bfe_u32 v46, v45, 20, 1
	s_delay_alu instid0(VALU_DEP_2) | instskip(NEXT) | instid1(VALU_DEP_2)
	v_cmp_eq_u32_e64 s11, v41, v47
	v_add_nc_u32_e32 v44, -1, v46
	s_delay_alu instid0(VALU_DEP_1) | instskip(SKIP_2) | instid1(VALU_DEP_2)
	v_cndmask_b32_e64 v41, 0, v44, s11
	v_lshrrev_b32_e32 v44, 23, v45
	s_mov_b32 s11, exec_lo
	v_add_nc_u32_e32 v41, v41, v45
	s_delay_alu instid0(VALU_DEP_2) | instskip(NEXT) | instid1(VALU_DEP_2)
	v_xor_b32_e32 v44, 1, v44
	v_and_b32_e32 v176, 0xfffff, v41
	s_delay_alu instid0(VALU_DEP_1) | instskip(NEXT) | instid1(VALU_DEP_3)
	v_add_nc_u32_e32 v41, v176, v45
                                        ; implicit-def: $vgpr176
	v_cmpx_ne_u32_e64 v43, v44
	s_xor_b32 s11, exec_lo, s11
; %bb.4160:                             ;   in Loop: Header=BB6_3759 Depth=2
	s_delay_alu instid0(VALU_DEP_2) | instskip(SKIP_2) | instid1(VALU_DEP_2)
	v_cmp_lt_u32_e32 vcc_lo, 0xffffff, v41
	v_sub_nc_u32_e32 v176, v43, v44
	v_cndmask_b32_e64 v43, 0, 1, vcc_lo
	v_add_co_ci_u32_e32 v176, vcc_lo, 0, v176, vcc_lo
	s_delay_alu instid0(VALU_DEP_2)
	v_lshrrev_b32_e32 v41, v43, v41
; %bb.4161:                             ;   in Loop: Header=BB6_3759 Depth=2
	s_and_not1_saveexec_b32 s11, s11
; %bb.4162:                             ;   in Loop: Header=BB6_3759 Depth=2
	s_delay_alu instid0(VALU_DEP_1)
	v_bfe_u32 v176, v41, 23, 1
; %bb.4163:                             ;   in Loop: Header=BB6_3759 Depth=2
	s_or_b32 exec_lo, exec_lo, s11
	v_lshrrev_b32_e32 v41, 20, v41
	s_delay_alu instid0(VALU_DEP_2) | instskip(SKIP_2) | instid1(VALU_DEP_2)
	v_cmp_gt_i32_e32 vcc_lo, 16, v176
	v_lshrrev_b32_e32 v42, 24, v42
	v_min_i32_e32 v43, 15, v176
	v_dual_cndmask_b32 v41, 7, v41 :: v_dual_and_b32 v42, 0x80, v42
	s_delay_alu instid0(VALU_DEP_1) | instskip(SKIP_1) | instid1(VALU_DEP_2)
	v_or_b32_e32 v176, v176, v41
	v_and_b32_e32 v44, 7, v41
	v_cmp_ne_u32_e32 vcc_lo, 0, v176
	v_lshlrev_b32_e32 v43, 3, v43
	s_delay_alu instid0(VALU_DEP_1) | instskip(NEXT) | instid1(VALU_DEP_1)
	v_or3_b32 v41, v43, v42, v44
	v_cndmask_b32_e32 v176, 0, v41, vcc_lo
.LBB6_4164:                             ;   in Loop: Header=BB6_3759 Depth=2
	s_or_b32 exec_lo, exec_lo, s28
.LBB6_4165:                             ;   in Loop: Header=BB6_3759 Depth=2
	s_delay_alu instid0(SALU_CYCLE_1) | instskip(NEXT) | instid1(SALU_CYCLE_1)
	s_or_b32 exec_lo, exec_lo, s27
	s_and_not1_b32 vcc_lo, exec_lo, s25
	s_cbranch_vccnz .LBB6_4175
; %bb.4166:                             ;   in Loop: Header=BB6_3759 Depth=2
	v_and_b32_e32 v42, 0xff, v40
	s_mov_b32 s11, 0
	s_mov_b32 s28, exec_lo
                                        ; implicit-def: $sgpr27
	s_delay_alu instid0(VALU_DEP_1)
	v_cmpx_lt_i16_e32 0x7f, v42
	s_xor_b32 s28, exec_lo, s28
	s_cbranch_execnz .LBB6_4909
; %bb.4167:                             ;   in Loop: Header=BB6_3759 Depth=2
	s_or_saveexec_b32 s28, s28
	v_mov_b32_e32 v41, s27
	s_xor_b32 exec_lo, exec_lo, s28
	s_cbranch_execnz .LBB6_4912
.LBB6_4168:                             ;   in Loop: Header=BB6_3759 Depth=2
	s_or_b32 exec_lo, exec_lo, s28
	s_and_saveexec_b32 s27, s11
	s_cbranch_execz .LBB6_4170
.LBB6_4169:                             ;   in Loop: Header=BB6_3759 Depth=2
	v_lshrrev_b16 v44, 3, v40
	v_lshlrev_b32_e32 v45, 24, v40
	s_delay_alu instid0(VALU_DEP_2) | instskip(NEXT) | instid1(VALU_DEP_1)
	v_and_b32_e32 v44, 15, v44
	v_cmp_eq_u32_e32 vcc_lo, 0, v44
	v_and_b32_e32 v41, 7, v40
	s_delay_alu instid0(VALU_DEP_1) | instskip(NEXT) | instid1(VALU_DEP_1)
	v_clz_i32_u32_e32 v42, v41
	v_min_u32_e32 v42, 32, v42
	s_delay_alu instid0(VALU_DEP_1) | instskip(SKIP_1) | instid1(VALU_DEP_1)
	v_subrev_nc_u32_e32 v43, 28, v42
	v_sub_nc_u32_e32 v42, 29, v42
	v_dual_cndmask_b32 v42, v44, v42 :: v_dual_lshlrev_b32 v43, v43, v40
	s_delay_alu instid0(VALU_DEP_1) | instskip(NEXT) | instid1(VALU_DEP_2)
	v_and_b32_e32 v43, 7, v43
	v_lshl_add_u32 v42, v42, 23, 0x3b800000
	s_delay_alu instid0(VALU_DEP_2) | instskip(SKIP_1) | instid1(VALU_DEP_2)
	v_cndmask_b32_e32 v41, v41, v43, vcc_lo
	v_and_b32_e32 v43, 0x80000000, v45
	v_lshlrev_b32_e32 v41, 20, v41
	s_delay_alu instid0(VALU_DEP_1)
	v_or3_b32 v41, v43, v42, v41
.LBB6_4170:                             ;   in Loop: Header=BB6_3759 Depth=2
	s_or_b32 exec_lo, exec_lo, s27
	s_waitcnt vmcnt(17) lgkmcnt(17)
	v_and_b32_e32 v43, 0xff, v179
	s_mov_b32 s11, 0
	s_mov_b32 s28, exec_lo
                                        ; implicit-def: $sgpr27
	s_delay_alu instid0(VALU_DEP_1)
	v_cmpx_lt_i16_e32 0x7f, v43
	s_xor_b32 s28, exec_lo, s28
	s_cbranch_execnz .LBB6_4913
; %bb.4171:                             ;   in Loop: Header=BB6_3759 Depth=2
	s_or_saveexec_b32 s28, s28
	v_mov_b32_e32 v42, s27
	s_xor_b32 exec_lo, exec_lo, s28
	s_cbranch_execnz .LBB6_4916
.LBB6_4172:                             ;   in Loop: Header=BB6_3759 Depth=2
	s_or_b32 exec_lo, exec_lo, s28
	s_and_saveexec_b32 s27, s11
	s_cbranch_execz .LBB6_4174
.LBB6_4173:                             ;   in Loop: Header=BB6_3759 Depth=2
	v_and_b32_e32 v42, 7, v179
	v_lshrrev_b16 v45, 3, v179
	v_lshlrev_b32_e32 v46, 24, v179
	s_delay_alu instid0(VALU_DEP_3) | instskip(NEXT) | instid1(VALU_DEP_1)
	v_clz_i32_u32_e32 v43, v42
	v_min_u32_e32 v43, 32, v43
	s_delay_alu instid0(VALU_DEP_1) | instskip(SKIP_1) | instid1(VALU_DEP_2)
	v_subrev_nc_u32_e32 v44, 28, v43
	v_sub_nc_u32_e32 v43, 29, v43
	v_lshlrev_b32_e32 v44, v44, v179
	s_delay_alu instid0(VALU_DEP_1) | instskip(SKIP_1) | instid1(VALU_DEP_1)
	v_and_b32_e32 v44, 7, v44
	v_and_b32_e32 v45, 15, v45
	v_cmp_eq_u32_e32 vcc_lo, 0, v45
	s_delay_alu instid0(VALU_DEP_3) | instskip(SKIP_1) | instid1(VALU_DEP_2)
	v_dual_cndmask_b32 v42, v42, v44 :: v_dual_cndmask_b32 v43, v45, v43
	v_and_b32_e32 v44, 0x80000000, v46
	v_lshlrev_b32_e32 v42, 20, v42
	s_delay_alu instid0(VALU_DEP_3) | instskip(NEXT) | instid1(VALU_DEP_1)
	v_lshl_add_u32 v43, v43, 23, 0x3b800000
	v_or3_b32 v42, v44, v43, v42
.LBB6_4174:                             ;   in Loop: Header=BB6_3759 Depth=2
	s_or_b32 exec_lo, exec_lo, s27
	s_delay_alu instid0(VALU_DEP_1) | instskip(SKIP_1) | instid1(VALU_DEP_1)
	v_dual_max_f32 v42, v42, v42 :: v_dual_max_f32 v41, v41, v41
	s_mov_b32 s11, 0
	v_max_f32_e32 v41, v41, v42
	s_branch .LBB6_4176
.LBB6_4175:                             ;   in Loop: Header=BB6_3759 Depth=2
	s_mov_b32 s11, -1
                                        ; implicit-def: $vgpr41
.LBB6_4176:                             ;   in Loop: Header=BB6_3759 Depth=2
	s_delay_alu instid0(SALU_CYCLE_1)
	s_and_b32 vcc_lo, exec_lo, s11
	s_cbranch_vccz .LBB6_4186
; %bb.4177:                             ;   in Loop: Header=BB6_3759 Depth=2
	v_and_b32_e32 v42, 0xff, v40
	s_mov_b32 s11, 0
	s_mov_b32 s28, exec_lo
                                        ; implicit-def: $sgpr27
	s_delay_alu instid0(VALU_DEP_1)
	v_cmpx_lt_i16_e32 0x7f, v42
	s_xor_b32 s28, exec_lo, s28
	s_cbranch_execnz .LBB6_4917
; %bb.4178:                             ;   in Loop: Header=BB6_3759 Depth=2
	s_or_saveexec_b32 s28, s28
	v_mov_b32_e32 v41, s27
	s_xor_b32 exec_lo, exec_lo, s28
	s_cbranch_execnz .LBB6_4920
.LBB6_4179:                             ;   in Loop: Header=BB6_3759 Depth=2
	s_or_b32 exec_lo, exec_lo, s28
	s_and_saveexec_b32 s27, s11
	s_cbranch_execz .LBB6_4181
.LBB6_4180:                             ;   in Loop: Header=BB6_3759 Depth=2
	v_lshrrev_b16 v44, 3, v40
	s_delay_alu instid0(VALU_DEP_1) | instskip(NEXT) | instid1(VALU_DEP_1)
	v_and_b32_e32 v44, 15, v44
	v_cmp_eq_u32_e32 vcc_lo, 0, v44
	v_and_b32_e32 v41, 7, v40
	s_delay_alu instid0(VALU_DEP_1) | instskip(NEXT) | instid1(VALU_DEP_1)
	v_clz_i32_u32_e32 v42, v41
	v_min_u32_e32 v42, 32, v42
	s_delay_alu instid0(VALU_DEP_1) | instskip(SKIP_1) | instid1(VALU_DEP_1)
	v_subrev_nc_u32_e32 v43, 28, v42
	v_sub_nc_u32_e32 v42, 29, v42
	v_dual_cndmask_b32 v42, v44, v42 :: v_dual_lshlrev_b32 v43, v43, v40
	v_lshlrev_b32_e32 v40, 24, v40
	s_delay_alu instid0(VALU_DEP_2) | instskip(NEXT) | instid1(VALU_DEP_3)
	v_and_b32_e32 v43, 7, v43
	v_lshl_add_u32 v42, v42, 23, 0x3b800000
	s_delay_alu instid0(VALU_DEP_2) | instskip(NEXT) | instid1(VALU_DEP_1)
	v_dual_cndmask_b32 v41, v41, v43 :: v_dual_and_b32 v40, 0x80000000, v40
	v_lshlrev_b32_e32 v41, 20, v41
	s_delay_alu instid0(VALU_DEP_1)
	v_or3_b32 v41, v40, v42, v41
.LBB6_4181:                             ;   in Loop: Header=BB6_3759 Depth=2
	s_or_b32 exec_lo, exec_lo, s27
	s_waitcnt vmcnt(17) lgkmcnt(17)
	v_and_b32_e32 v42, 0xff, v179
	s_mov_b32 s11, 0
	s_mov_b32 s28, exec_lo
                                        ; implicit-def: $sgpr27
	s_delay_alu instid0(VALU_DEP_1)
	v_cmpx_lt_i16_e32 0x7f, v42
	s_xor_b32 s28, exec_lo, s28
	s_cbranch_execnz .LBB6_4921
; %bb.4182:                             ;   in Loop: Header=BB6_3759 Depth=2
	s_or_saveexec_b32 s28, s28
	v_mov_b32_e32 v40, s27
	s_xor_b32 exec_lo, exec_lo, s28
	s_cbranch_execnz .LBB6_4924
.LBB6_4183:                             ;   in Loop: Header=BB6_3759 Depth=2
	s_or_b32 exec_lo, exec_lo, s28
	s_and_saveexec_b32 s27, s11
	s_cbranch_execz .LBB6_4185
.LBB6_4184:                             ;   in Loop: Header=BB6_3759 Depth=2
	v_and_b32_e32 v40, 7, v179
	v_lshrrev_b16 v44, 3, v179
	s_delay_alu instid0(VALU_DEP_2) | instskip(NEXT) | instid1(VALU_DEP_2)
	v_clz_i32_u32_e32 v42, v40
	v_and_b32_e32 v44, 15, v44
	s_delay_alu instid0(VALU_DEP_2) | instskip(NEXT) | instid1(VALU_DEP_2)
	v_min_u32_e32 v42, 32, v42
	v_cmp_eq_u32_e32 vcc_lo, 0, v44
	s_delay_alu instid0(VALU_DEP_2) | instskip(SKIP_1) | instid1(VALU_DEP_1)
	v_subrev_nc_u32_e32 v43, 28, v42
	v_sub_nc_u32_e32 v42, 29, v42
	v_dual_cndmask_b32 v42, v44, v42 :: v_dual_lshlrev_b32 v43, v43, v179
	v_lshlrev_b32_e32 v179, 24, v179
	s_delay_alu instid0(VALU_DEP_2) | instskip(NEXT) | instid1(VALU_DEP_3)
	v_and_b32_e32 v43, 7, v43
	v_lshl_add_u32 v42, v42, 23, 0x3b800000
	s_delay_alu instid0(VALU_DEP_3) | instskip(NEXT) | instid1(VALU_DEP_3)
	v_and_b32_e32 v179, 0x80000000, v179
	v_cndmask_b32_e32 v40, v40, v43, vcc_lo
	s_delay_alu instid0(VALU_DEP_1) | instskip(NEXT) | instid1(VALU_DEP_1)
	v_lshlrev_b32_e32 v40, 20, v40
	v_or3_b32 v40, v179, v42, v40
.LBB6_4185:                             ;   in Loop: Header=BB6_3759 Depth=2
	s_or_b32 exec_lo, exec_lo, s27
	s_delay_alu instid0(VALU_DEP_1) | instskip(NEXT) | instid1(VALU_DEP_1)
	v_dual_max_f32 v179, v40, v40 :: v_dual_max_f32 v40, v41, v41
	v_min_f32_e32 v41, v40, v179
.LBB6_4186:                             ;   in Loop: Header=BB6_3759 Depth=2
	s_waitcnt vmcnt(17) lgkmcnt(17)
	s_delay_alu instid0(VALU_DEP_1) | instskip(NEXT) | instid1(VALU_DEP_1)
	v_and_b32_e32 v179, 0x7f800000, v41
	v_cmp_ne_u32_e32 vcc_lo, 0x7f800000, v179
	v_mov_b32_e32 v179, 0x80
	s_and_saveexec_b32 s27, vcc_lo
	s_cbranch_execz .LBB6_4194
; %bb.4187:                             ;   in Loop: Header=BB6_3759 Depth=2
	v_mov_b32_e32 v179, 0
	s_mov_b32 s28, exec_lo
	v_cmpx_ne_u32_e32 0, v41
	s_cbranch_execz .LBB6_4193
; %bb.4188:                             ;   in Loop: Header=BB6_3759 Depth=2
	v_bfe_u32 v179, v41, 23, 8
	v_and_b32_e32 v40, 0x7fffff, v41
	s_delay_alu instid0(VALU_DEP_2) | instskip(SKIP_1) | instid1(VALU_DEP_3)
	v_sub_nc_u32_e32 v42, 0x78, v179
	v_cmp_gt_u32_e32 vcc_lo, 0x79, v179
	v_or_b32_e32 v43, 0x800000, v40
	s_delay_alu instid0(VALU_DEP_3) | instskip(SKIP_2) | instid1(VALU_DEP_3)
	v_cndmask_b32_e32 v42, 0, v42, vcc_lo
	v_cmp_eq_u32_e32 vcc_lo, 0, v179
	v_add_nc_u32_e32 v179, 0xffffff89, v179
	v_cndmask_b32_e64 v42, v42, 0x77, vcc_lo
	v_cndmask_b32_e32 v40, v43, v40, vcc_lo
	s_delay_alu instid0(VALU_DEP_3) | instskip(NEXT) | instid1(VALU_DEP_3)
	v_cndmask_b32_e64 v179, v179, 0xffffff8a, vcc_lo
	v_lshl_add_u32 v43, 0x100000, v42, -1
	s_delay_alu instid0(VALU_DEP_3) | instskip(SKIP_1) | instid1(VALU_DEP_4)
	v_lshrrev_b32_e32 v44, v42, v40
	v_lshlrev_b32_e64 v46, v42, 0x80000
	v_add_nc_u32_e32 v42, v42, v179
	s_delay_alu instid0(VALU_DEP_4) | instskip(NEXT) | instid1(VALU_DEP_4)
	v_and_b32_e32 v40, v43, v40
	v_bfe_u32 v45, v44, 20, 1
	s_delay_alu instid0(VALU_DEP_2) | instskip(NEXT) | instid1(VALU_DEP_2)
	v_cmp_eq_u32_e64 s11, v40, v46
	v_add_nc_u32_e32 v43, -1, v45
	s_delay_alu instid0(VALU_DEP_1) | instskip(SKIP_2) | instid1(VALU_DEP_2)
	v_cndmask_b32_e64 v40, 0, v43, s11
	v_lshrrev_b32_e32 v43, 23, v44
	s_mov_b32 s11, exec_lo
	v_add_nc_u32_e32 v40, v40, v44
	s_delay_alu instid0(VALU_DEP_2) | instskip(NEXT) | instid1(VALU_DEP_2)
	v_xor_b32_e32 v43, 1, v43
	v_and_b32_e32 v179, 0xfffff, v40
	s_delay_alu instid0(VALU_DEP_1) | instskip(NEXT) | instid1(VALU_DEP_3)
	v_add_nc_u32_e32 v40, v179, v44
                                        ; implicit-def: $vgpr179
	v_cmpx_ne_u32_e64 v42, v43
	s_xor_b32 s11, exec_lo, s11
; %bb.4189:                             ;   in Loop: Header=BB6_3759 Depth=2
	s_delay_alu instid0(VALU_DEP_2) | instskip(SKIP_2) | instid1(VALU_DEP_2)
	v_cmp_lt_u32_e32 vcc_lo, 0xffffff, v40
	v_sub_nc_u32_e32 v179, v42, v43
	v_cndmask_b32_e64 v42, 0, 1, vcc_lo
	v_add_co_ci_u32_e32 v179, vcc_lo, 0, v179, vcc_lo
	s_delay_alu instid0(VALU_DEP_2)
	v_lshrrev_b32_e32 v40, v42, v40
; %bb.4190:                             ;   in Loop: Header=BB6_3759 Depth=2
	s_and_not1_saveexec_b32 s11, s11
; %bb.4191:                             ;   in Loop: Header=BB6_3759 Depth=2
	s_delay_alu instid0(VALU_DEP_1)
	v_bfe_u32 v179, v40, 23, 1
; %bb.4192:                             ;   in Loop: Header=BB6_3759 Depth=2
	s_or_b32 exec_lo, exec_lo, s11
	v_lshrrev_b32_e32 v40, 20, v40
	s_delay_alu instid0(VALU_DEP_2) | instskip(SKIP_2) | instid1(VALU_DEP_2)
	v_cmp_gt_i32_e32 vcc_lo, 16, v179
	v_lshrrev_b32_e32 v41, 24, v41
	v_min_i32_e32 v42, 15, v179
	v_dual_cndmask_b32 v40, 7, v40 :: v_dual_and_b32 v41, 0x80, v41
	s_delay_alu instid0(VALU_DEP_1) | instskip(SKIP_1) | instid1(VALU_DEP_2)
	v_or_b32_e32 v179, v179, v40
	v_and_b32_e32 v43, 7, v40
	v_cmp_ne_u32_e32 vcc_lo, 0, v179
	v_lshlrev_b32_e32 v42, 3, v42
	s_delay_alu instid0(VALU_DEP_1) | instskip(NEXT) | instid1(VALU_DEP_1)
	v_or3_b32 v40, v42, v41, v43
	v_cndmask_b32_e32 v179, 0, v40, vcc_lo
.LBB6_4193:                             ;   in Loop: Header=BB6_3759 Depth=2
	s_or_b32 exec_lo, exec_lo, s28
.LBB6_4194:                             ;   in Loop: Header=BB6_3759 Depth=2
	s_delay_alu instid0(SALU_CYCLE_1) | instskip(NEXT) | instid1(SALU_CYCLE_1)
	s_or_b32 exec_lo, exec_lo, s27
	s_and_not1_b32 vcc_lo, exec_lo, s25
	s_cbranch_vccnz .LBB6_4204
; %bb.4195:                             ;   in Loop: Header=BB6_3759 Depth=2
	v_and_b32_e32 v41, 0xff, v183
	s_mov_b32 s11, 0
	s_mov_b32 s28, exec_lo
                                        ; implicit-def: $sgpr27
	s_delay_alu instid0(VALU_DEP_1)
	v_cmpx_lt_i16_e32 0x7f, v41
	s_xor_b32 s28, exec_lo, s28
	s_cbranch_execnz .LBB6_4925
; %bb.4196:                             ;   in Loop: Header=BB6_3759 Depth=2
	s_or_saveexec_b32 s28, s28
	v_mov_b32_e32 v40, s27
	s_xor_b32 exec_lo, exec_lo, s28
	s_cbranch_execnz .LBB6_4928
.LBB6_4197:                             ;   in Loop: Header=BB6_3759 Depth=2
	s_or_b32 exec_lo, exec_lo, s28
	s_and_saveexec_b32 s27, s11
	s_cbranch_execz .LBB6_4199
.LBB6_4198:                             ;   in Loop: Header=BB6_3759 Depth=2
	v_lshrrev_b16 v43, 3, v183
	v_lshlrev_b32_e32 v44, 24, v183
	s_delay_alu instid0(VALU_DEP_2) | instskip(NEXT) | instid1(VALU_DEP_1)
	v_and_b32_e32 v43, 15, v43
	v_cmp_eq_u32_e32 vcc_lo, 0, v43
	v_and_b32_e32 v40, 7, v183
	s_delay_alu instid0(VALU_DEP_1) | instskip(NEXT) | instid1(VALU_DEP_1)
	v_clz_i32_u32_e32 v41, v40
	v_min_u32_e32 v41, 32, v41
	s_delay_alu instid0(VALU_DEP_1) | instskip(SKIP_1) | instid1(VALU_DEP_1)
	v_subrev_nc_u32_e32 v42, 28, v41
	v_sub_nc_u32_e32 v41, 29, v41
	v_dual_cndmask_b32 v41, v43, v41 :: v_dual_lshlrev_b32 v42, v42, v183
	s_delay_alu instid0(VALU_DEP_1) | instskip(NEXT) | instid1(VALU_DEP_2)
	v_and_b32_e32 v42, 7, v42
	v_lshl_add_u32 v41, v41, 23, 0x3b800000
	s_delay_alu instid0(VALU_DEP_2) | instskip(SKIP_1) | instid1(VALU_DEP_2)
	v_cndmask_b32_e32 v40, v40, v42, vcc_lo
	v_and_b32_e32 v42, 0x80000000, v44
	v_lshlrev_b32_e32 v40, 20, v40
	s_delay_alu instid0(VALU_DEP_1)
	v_or3_b32 v40, v42, v41, v40
.LBB6_4199:                             ;   in Loop: Header=BB6_3759 Depth=2
	s_or_b32 exec_lo, exec_lo, s27
	s_waitcnt vmcnt(16) lgkmcnt(16)
	v_and_b32_e32 v42, 0xff, v182
	s_mov_b32 s11, 0
	s_mov_b32 s28, exec_lo
                                        ; implicit-def: $sgpr27
	s_delay_alu instid0(VALU_DEP_1)
	v_cmpx_lt_i16_e32 0x7f, v42
	s_xor_b32 s28, exec_lo, s28
	s_cbranch_execnz .LBB6_4929
; %bb.4200:                             ;   in Loop: Header=BB6_3759 Depth=2
	s_or_saveexec_b32 s28, s28
	v_mov_b32_e32 v41, s27
	s_xor_b32 exec_lo, exec_lo, s28
	s_cbranch_execnz .LBB6_4932
.LBB6_4201:                             ;   in Loop: Header=BB6_3759 Depth=2
	s_or_b32 exec_lo, exec_lo, s28
	s_and_saveexec_b32 s27, s11
	s_cbranch_execz .LBB6_4203
.LBB6_4202:                             ;   in Loop: Header=BB6_3759 Depth=2
	v_and_b32_e32 v41, 7, v182
	v_lshrrev_b16 v44, 3, v182
	v_lshlrev_b32_e32 v45, 24, v182
	s_delay_alu instid0(VALU_DEP_3) | instskip(NEXT) | instid1(VALU_DEP_1)
	v_clz_i32_u32_e32 v42, v41
	v_min_u32_e32 v42, 32, v42
	s_delay_alu instid0(VALU_DEP_1) | instskip(SKIP_1) | instid1(VALU_DEP_2)
	v_subrev_nc_u32_e32 v43, 28, v42
	v_sub_nc_u32_e32 v42, 29, v42
	v_lshlrev_b32_e32 v43, v43, v182
	s_delay_alu instid0(VALU_DEP_1) | instskip(SKIP_1) | instid1(VALU_DEP_1)
	v_and_b32_e32 v43, 7, v43
	v_and_b32_e32 v44, 15, v44
	v_cmp_eq_u32_e32 vcc_lo, 0, v44
	s_delay_alu instid0(VALU_DEP_3) | instskip(SKIP_1) | instid1(VALU_DEP_2)
	v_dual_cndmask_b32 v41, v41, v43 :: v_dual_cndmask_b32 v42, v44, v42
	v_and_b32_e32 v43, 0x80000000, v45
	v_lshlrev_b32_e32 v41, 20, v41
	s_delay_alu instid0(VALU_DEP_3) | instskip(NEXT) | instid1(VALU_DEP_1)
	v_lshl_add_u32 v42, v42, 23, 0x3b800000
	v_or3_b32 v41, v43, v42, v41
.LBB6_4203:                             ;   in Loop: Header=BB6_3759 Depth=2
	s_or_b32 exec_lo, exec_lo, s27
	s_delay_alu instid0(VALU_DEP_1) | instskip(SKIP_1) | instid1(VALU_DEP_1)
	v_dual_max_f32 v41, v41, v41 :: v_dual_max_f32 v40, v40, v40
	s_mov_b32 s11, 0
	v_max_f32_e32 v40, v40, v41
	s_branch .LBB6_4205
.LBB6_4204:                             ;   in Loop: Header=BB6_3759 Depth=2
	s_mov_b32 s11, -1
                                        ; implicit-def: $vgpr40
.LBB6_4205:                             ;   in Loop: Header=BB6_3759 Depth=2
	s_delay_alu instid0(SALU_CYCLE_1)
	s_and_b32 vcc_lo, exec_lo, s11
	s_cbranch_vccz .LBB6_4215
; %bb.4206:                             ;   in Loop: Header=BB6_3759 Depth=2
	v_and_b32_e32 v41, 0xff, v183
	s_mov_b32 s11, 0
	s_mov_b32 s28, exec_lo
                                        ; implicit-def: $sgpr27
	s_delay_alu instid0(VALU_DEP_1)
	v_cmpx_lt_i16_e32 0x7f, v41
	s_xor_b32 s28, exec_lo, s28
	s_cbranch_execnz .LBB6_4933
; %bb.4207:                             ;   in Loop: Header=BB6_3759 Depth=2
	s_or_saveexec_b32 s28, s28
	v_mov_b32_e32 v40, s27
	s_xor_b32 exec_lo, exec_lo, s28
	s_cbranch_execnz .LBB6_4936
.LBB6_4208:                             ;   in Loop: Header=BB6_3759 Depth=2
	s_or_b32 exec_lo, exec_lo, s28
	s_and_saveexec_b32 s27, s11
	s_cbranch_execz .LBB6_4210
.LBB6_4209:                             ;   in Loop: Header=BB6_3759 Depth=2
	v_lshrrev_b16 v43, 3, v183
	s_delay_alu instid0(VALU_DEP_1) | instskip(NEXT) | instid1(VALU_DEP_1)
	v_and_b32_e32 v43, 15, v43
	v_cmp_eq_u32_e32 vcc_lo, 0, v43
	v_and_b32_e32 v40, 7, v183
	s_delay_alu instid0(VALU_DEP_1) | instskip(NEXT) | instid1(VALU_DEP_1)
	v_clz_i32_u32_e32 v41, v40
	v_min_u32_e32 v41, 32, v41
	s_delay_alu instid0(VALU_DEP_1) | instskip(SKIP_1) | instid1(VALU_DEP_1)
	v_subrev_nc_u32_e32 v42, 28, v41
	v_sub_nc_u32_e32 v41, 29, v41
	v_dual_cndmask_b32 v41, v43, v41 :: v_dual_lshlrev_b32 v42, v42, v183
	v_lshlrev_b32_e32 v183, 24, v183
	s_delay_alu instid0(VALU_DEP_2) | instskip(NEXT) | instid1(VALU_DEP_3)
	v_and_b32_e32 v42, 7, v42
	v_lshl_add_u32 v41, v41, 23, 0x3b800000
	s_delay_alu instid0(VALU_DEP_2) | instskip(NEXT) | instid1(VALU_DEP_1)
	v_dual_cndmask_b32 v40, v40, v42 :: v_dual_and_b32 v183, 0x80000000, v183
	v_lshlrev_b32_e32 v40, 20, v40
	s_delay_alu instid0(VALU_DEP_1)
	v_or3_b32 v40, v183, v41, v40
.LBB6_4210:                             ;   in Loop: Header=BB6_3759 Depth=2
	s_or_b32 exec_lo, exec_lo, s27
	s_waitcnt vmcnt(16) lgkmcnt(16)
	v_and_b32_e32 v41, 0xff, v182
	s_mov_b32 s11, 0
	s_mov_b32 s28, exec_lo
                                        ; implicit-def: $sgpr27
	s_delay_alu instid0(VALU_DEP_1)
	v_cmpx_lt_i16_e32 0x7f, v41
	s_xor_b32 s28, exec_lo, s28
	s_cbranch_execnz .LBB6_4937
; %bb.4211:                             ;   in Loop: Header=BB6_3759 Depth=2
	s_or_saveexec_b32 s28, s28
	v_mov_b32_e32 v183, s27
	s_xor_b32 exec_lo, exec_lo, s28
	s_cbranch_execnz .LBB6_4940
.LBB6_4212:                             ;   in Loop: Header=BB6_3759 Depth=2
	s_or_b32 exec_lo, exec_lo, s28
	s_and_saveexec_b32 s27, s11
	s_cbranch_execz .LBB6_4214
.LBB6_4213:                             ;   in Loop: Header=BB6_3759 Depth=2
	v_and_b32_e32 v183, 7, v182
	v_lshrrev_b16 v43, 3, v182
	s_delay_alu instid0(VALU_DEP_2) | instskip(NEXT) | instid1(VALU_DEP_2)
	v_clz_i32_u32_e32 v41, v183
	v_and_b32_e32 v43, 15, v43
	s_delay_alu instid0(VALU_DEP_2) | instskip(NEXT) | instid1(VALU_DEP_2)
	v_min_u32_e32 v41, 32, v41
	v_cmp_eq_u32_e32 vcc_lo, 0, v43
	s_delay_alu instid0(VALU_DEP_2) | instskip(SKIP_1) | instid1(VALU_DEP_1)
	v_subrev_nc_u32_e32 v42, 28, v41
	v_sub_nc_u32_e32 v41, 29, v41
	v_dual_cndmask_b32 v41, v43, v41 :: v_dual_lshlrev_b32 v42, v42, v182
	v_lshlrev_b32_e32 v182, 24, v182
	s_delay_alu instid0(VALU_DEP_2) | instskip(NEXT) | instid1(VALU_DEP_3)
	v_and_b32_e32 v42, 7, v42
	v_lshl_add_u32 v41, v41, 23, 0x3b800000
	s_delay_alu instid0(VALU_DEP_3) | instskip(NEXT) | instid1(VALU_DEP_3)
	v_and_b32_e32 v182, 0x80000000, v182
	v_cndmask_b32_e32 v183, v183, v42, vcc_lo
	s_delay_alu instid0(VALU_DEP_1) | instskip(NEXT) | instid1(VALU_DEP_1)
	v_lshlrev_b32_e32 v183, 20, v183
	v_or3_b32 v183, v182, v41, v183
.LBB6_4214:                             ;   in Loop: Header=BB6_3759 Depth=2
	s_or_b32 exec_lo, exec_lo, s27
	s_delay_alu instid0(VALU_DEP_1) | instskip(NEXT) | instid1(VALU_DEP_1)
	v_dual_max_f32 v182, v183, v183 :: v_dual_max_f32 v183, v40, v40
	v_min_f32_e32 v40, v183, v182
.LBB6_4215:                             ;   in Loop: Header=BB6_3759 Depth=2
	s_waitcnt vmcnt(16) lgkmcnt(16)
	s_delay_alu instid0(VALU_DEP_1) | instskip(NEXT) | instid1(VALU_DEP_1)
	v_and_b32_e32 v182, 0x7f800000, v40
	v_cmp_ne_u32_e32 vcc_lo, 0x7f800000, v182
	v_mov_b32_e32 v182, 0x80
	s_and_saveexec_b32 s27, vcc_lo
	s_cbranch_execz .LBB6_4223
; %bb.4216:                             ;   in Loop: Header=BB6_3759 Depth=2
	v_mov_b32_e32 v182, 0
	s_mov_b32 s28, exec_lo
	v_cmpx_ne_u32_e32 0, v40
	s_cbranch_execz .LBB6_4222
; %bb.4217:                             ;   in Loop: Header=BB6_3759 Depth=2
	v_bfe_u32 v182, v40, 23, 8
	v_and_b32_e32 v183, 0x7fffff, v40
	s_delay_alu instid0(VALU_DEP_2) | instskip(SKIP_1) | instid1(VALU_DEP_3)
	v_sub_nc_u32_e32 v41, 0x78, v182
	v_cmp_gt_u32_e32 vcc_lo, 0x79, v182
	v_or_b32_e32 v42, 0x800000, v183
	s_delay_alu instid0(VALU_DEP_3) | instskip(SKIP_2) | instid1(VALU_DEP_3)
	v_cndmask_b32_e32 v41, 0, v41, vcc_lo
	v_cmp_eq_u32_e32 vcc_lo, 0, v182
	v_add_nc_u32_e32 v182, 0xffffff89, v182
	v_cndmask_b32_e64 v41, v41, 0x77, vcc_lo
	v_cndmask_b32_e32 v183, v42, v183, vcc_lo
	s_delay_alu instid0(VALU_DEP_3) | instskip(NEXT) | instid1(VALU_DEP_3)
	v_cndmask_b32_e64 v182, v182, 0xffffff8a, vcc_lo
	v_lshl_add_u32 v42, 0x100000, v41, -1
	s_delay_alu instid0(VALU_DEP_3) | instskip(SKIP_1) | instid1(VALU_DEP_4)
	v_lshrrev_b32_e32 v43, v41, v183
	v_lshlrev_b32_e64 v45, v41, 0x80000
	v_add_nc_u32_e32 v41, v41, v182
	s_delay_alu instid0(VALU_DEP_4) | instskip(NEXT) | instid1(VALU_DEP_4)
	v_and_b32_e32 v183, v42, v183
	v_bfe_u32 v44, v43, 20, 1
	s_delay_alu instid0(VALU_DEP_2) | instskip(NEXT) | instid1(VALU_DEP_2)
	v_cmp_eq_u32_e64 s11, v183, v45
	v_add_nc_u32_e32 v42, -1, v44
	s_delay_alu instid0(VALU_DEP_1) | instskip(SKIP_2) | instid1(VALU_DEP_2)
	v_cndmask_b32_e64 v183, 0, v42, s11
	v_lshrrev_b32_e32 v42, 23, v43
	s_mov_b32 s11, exec_lo
	v_add_nc_u32_e32 v183, v183, v43
	s_delay_alu instid0(VALU_DEP_2) | instskip(NEXT) | instid1(VALU_DEP_2)
	v_xor_b32_e32 v42, 1, v42
	v_and_b32_e32 v182, 0xfffff, v183
	s_delay_alu instid0(VALU_DEP_1) | instskip(NEXT) | instid1(VALU_DEP_3)
	v_add_nc_u32_e32 v183, v182, v43
                                        ; implicit-def: $vgpr182
	v_cmpx_ne_u32_e64 v41, v42
	s_xor_b32 s11, exec_lo, s11
; %bb.4218:                             ;   in Loop: Header=BB6_3759 Depth=2
	s_delay_alu instid0(VALU_DEP_2) | instskip(SKIP_2) | instid1(VALU_DEP_2)
	v_cmp_lt_u32_e32 vcc_lo, 0xffffff, v183
	v_sub_nc_u32_e32 v182, v41, v42
	v_cndmask_b32_e64 v41, 0, 1, vcc_lo
	v_add_co_ci_u32_e32 v182, vcc_lo, 0, v182, vcc_lo
	s_delay_alu instid0(VALU_DEP_2)
	v_lshrrev_b32_e32 v183, v41, v183
; %bb.4219:                             ;   in Loop: Header=BB6_3759 Depth=2
	s_and_not1_saveexec_b32 s11, s11
; %bb.4220:                             ;   in Loop: Header=BB6_3759 Depth=2
	s_delay_alu instid0(VALU_DEP_1)
	v_bfe_u32 v182, v183, 23, 1
; %bb.4221:                             ;   in Loop: Header=BB6_3759 Depth=2
	s_or_b32 exec_lo, exec_lo, s11
	v_lshrrev_b32_e32 v183, 20, v183
	s_delay_alu instid0(VALU_DEP_2) | instskip(SKIP_2) | instid1(VALU_DEP_2)
	v_cmp_gt_i32_e32 vcc_lo, 16, v182
	v_lshrrev_b32_e32 v40, 24, v40
	v_min_i32_e32 v41, 15, v182
	v_dual_cndmask_b32 v183, 7, v183 :: v_dual_and_b32 v40, 0x80, v40
	s_delay_alu instid0(VALU_DEP_1) | instskip(SKIP_1) | instid1(VALU_DEP_2)
	v_or_b32_e32 v182, v182, v183
	v_and_b32_e32 v42, 7, v183
	v_cmp_ne_u32_e32 vcc_lo, 0, v182
	v_lshlrev_b32_e32 v41, 3, v41
	s_delay_alu instid0(VALU_DEP_1) | instskip(NEXT) | instid1(VALU_DEP_1)
	v_or3_b32 v183, v41, v40, v42
	v_cndmask_b32_e32 v182, 0, v183, vcc_lo
.LBB6_4222:                             ;   in Loop: Header=BB6_3759 Depth=2
	s_or_b32 exec_lo, exec_lo, s28
.LBB6_4223:                             ;   in Loop: Header=BB6_3759 Depth=2
	s_delay_alu instid0(SALU_CYCLE_1) | instskip(NEXT) | instid1(SALU_CYCLE_1)
	s_or_b32 exec_lo, exec_lo, s27
	s_and_not1_b32 vcc_lo, exec_lo, s25
	s_cbranch_vccnz .LBB6_4233
; %bb.4224:                             ;   in Loop: Header=BB6_3759 Depth=2
	v_and_b32_e32 v40, 0xff, v181
	s_mov_b32 s11, 0
	s_mov_b32 s28, exec_lo
                                        ; implicit-def: $sgpr27
	s_delay_alu instid0(VALU_DEP_1)
	v_cmpx_lt_i16_e32 0x7f, v40
	s_xor_b32 s28, exec_lo, s28
	s_cbranch_execnz .LBB6_4941
; %bb.4225:                             ;   in Loop: Header=BB6_3759 Depth=2
	s_or_saveexec_b32 s28, s28
	v_mov_b32_e32 v183, s27
	s_xor_b32 exec_lo, exec_lo, s28
	s_cbranch_execnz .LBB6_4944
.LBB6_4226:                             ;   in Loop: Header=BB6_3759 Depth=2
	s_or_b32 exec_lo, exec_lo, s28
	s_and_saveexec_b32 s27, s11
	s_cbranch_execz .LBB6_4228
.LBB6_4227:                             ;   in Loop: Header=BB6_3759 Depth=2
	v_lshrrev_b16 v42, 3, v181
	v_lshlrev_b32_e32 v43, 24, v181
	s_delay_alu instid0(VALU_DEP_2) | instskip(NEXT) | instid1(VALU_DEP_1)
	v_and_b32_e32 v42, 15, v42
	v_cmp_eq_u32_e32 vcc_lo, 0, v42
	v_and_b32_e32 v183, 7, v181
	s_delay_alu instid0(VALU_DEP_1) | instskip(NEXT) | instid1(VALU_DEP_1)
	v_clz_i32_u32_e32 v40, v183
	v_min_u32_e32 v40, 32, v40
	s_delay_alu instid0(VALU_DEP_1) | instskip(SKIP_1) | instid1(VALU_DEP_1)
	v_subrev_nc_u32_e32 v41, 28, v40
	v_sub_nc_u32_e32 v40, 29, v40
	v_dual_cndmask_b32 v40, v42, v40 :: v_dual_lshlrev_b32 v41, v41, v181
	s_delay_alu instid0(VALU_DEP_1) | instskip(NEXT) | instid1(VALU_DEP_2)
	v_and_b32_e32 v41, 7, v41
	v_lshl_add_u32 v40, v40, 23, 0x3b800000
	s_delay_alu instid0(VALU_DEP_2) | instskip(SKIP_1) | instid1(VALU_DEP_2)
	v_cndmask_b32_e32 v183, v183, v41, vcc_lo
	v_and_b32_e32 v41, 0x80000000, v43
	v_lshlrev_b32_e32 v183, 20, v183
	s_delay_alu instid0(VALU_DEP_1)
	v_or3_b32 v183, v41, v40, v183
.LBB6_4228:                             ;   in Loop: Header=BB6_3759 Depth=2
	s_or_b32 exec_lo, exec_lo, s27
	s_waitcnt vmcnt(15) lgkmcnt(15)
	v_and_b32_e32 v41, 0xff, v180
	s_mov_b32 s11, 0
	s_mov_b32 s28, exec_lo
                                        ; implicit-def: $sgpr27
	s_delay_alu instid0(VALU_DEP_1)
	v_cmpx_lt_i16_e32 0x7f, v41
	s_xor_b32 s28, exec_lo, s28
	s_cbranch_execnz .LBB6_4945
; %bb.4229:                             ;   in Loop: Header=BB6_3759 Depth=2
	s_or_saveexec_b32 s28, s28
	v_mov_b32_e32 v40, s27
	s_xor_b32 exec_lo, exec_lo, s28
	s_cbranch_execnz .LBB6_4948
.LBB6_4230:                             ;   in Loop: Header=BB6_3759 Depth=2
	s_or_b32 exec_lo, exec_lo, s28
	s_and_saveexec_b32 s27, s11
	s_cbranch_execz .LBB6_4232
.LBB6_4231:                             ;   in Loop: Header=BB6_3759 Depth=2
	v_lshrrev_b16 v43, 3, v180
	v_lshlrev_b32_e32 v44, 24, v180
	s_delay_alu instid0(VALU_DEP_2) | instskip(NEXT) | instid1(VALU_DEP_1)
	v_and_b32_e32 v43, 15, v43
	v_cmp_eq_u32_e32 vcc_lo, 0, v43
	v_and_b32_e32 v40, 7, v180
	s_delay_alu instid0(VALU_DEP_1) | instskip(NEXT) | instid1(VALU_DEP_1)
	v_clz_i32_u32_e32 v41, v40
	v_min_u32_e32 v41, 32, v41
	s_delay_alu instid0(VALU_DEP_1) | instskip(SKIP_1) | instid1(VALU_DEP_1)
	v_subrev_nc_u32_e32 v42, 28, v41
	v_sub_nc_u32_e32 v41, 29, v41
	v_dual_cndmask_b32 v41, v43, v41 :: v_dual_lshlrev_b32 v42, v42, v180
	s_delay_alu instid0(VALU_DEP_1) | instskip(NEXT) | instid1(VALU_DEP_2)
	v_and_b32_e32 v42, 7, v42
	v_lshl_add_u32 v41, v41, 23, 0x3b800000
	s_delay_alu instid0(VALU_DEP_2) | instskip(SKIP_1) | instid1(VALU_DEP_2)
	v_cndmask_b32_e32 v40, v40, v42, vcc_lo
	v_and_b32_e32 v42, 0x80000000, v44
	v_lshlrev_b32_e32 v40, 20, v40
	s_delay_alu instid0(VALU_DEP_1)
	v_or3_b32 v40, v42, v41, v40
.LBB6_4232:                             ;   in Loop: Header=BB6_3759 Depth=2
	s_or_b32 exec_lo, exec_lo, s27
	s_delay_alu instid0(VALU_DEP_1) | instskip(SKIP_1) | instid1(VALU_DEP_1)
	v_dual_max_f32 v40, v40, v40 :: v_dual_max_f32 v183, v183, v183
	s_mov_b32 s11, 0
	v_max_f32_e32 v183, v183, v40
	s_branch .LBB6_4234
.LBB6_4233:                             ;   in Loop: Header=BB6_3759 Depth=2
	s_mov_b32 s11, -1
                                        ; implicit-def: $vgpr183
.LBB6_4234:                             ;   in Loop: Header=BB6_3759 Depth=2
	s_delay_alu instid0(SALU_CYCLE_1)
	s_and_b32 vcc_lo, exec_lo, s11
	s_cbranch_vccz .LBB6_4244
; %bb.4235:                             ;   in Loop: Header=BB6_3759 Depth=2
	v_and_b32_e32 v40, 0xff, v181
	s_mov_b32 s11, 0
	s_mov_b32 s28, exec_lo
                                        ; implicit-def: $sgpr27
	s_delay_alu instid0(VALU_DEP_1)
	v_cmpx_lt_i16_e32 0x7f, v40
	s_xor_b32 s28, exec_lo, s28
	s_cbranch_execnz .LBB6_4949
; %bb.4236:                             ;   in Loop: Header=BB6_3759 Depth=2
	s_or_saveexec_b32 s28, s28
	v_mov_b32_e32 v183, s27
	s_xor_b32 exec_lo, exec_lo, s28
	s_cbranch_execnz .LBB6_4952
.LBB6_4237:                             ;   in Loop: Header=BB6_3759 Depth=2
	s_or_b32 exec_lo, exec_lo, s28
	s_and_saveexec_b32 s27, s11
	s_cbranch_execz .LBB6_4239
.LBB6_4238:                             ;   in Loop: Header=BB6_3759 Depth=2
	v_lshrrev_b16 v42, 3, v181
	s_delay_alu instid0(VALU_DEP_1) | instskip(NEXT) | instid1(VALU_DEP_1)
	v_and_b32_e32 v42, 15, v42
	v_cmp_eq_u32_e32 vcc_lo, 0, v42
	v_and_b32_e32 v183, 7, v181
	s_delay_alu instid0(VALU_DEP_1) | instskip(NEXT) | instid1(VALU_DEP_1)
	v_clz_i32_u32_e32 v40, v183
	v_min_u32_e32 v40, 32, v40
	s_delay_alu instid0(VALU_DEP_1) | instskip(SKIP_1) | instid1(VALU_DEP_1)
	v_subrev_nc_u32_e32 v41, 28, v40
	v_sub_nc_u32_e32 v40, 29, v40
	v_dual_cndmask_b32 v40, v42, v40 :: v_dual_lshlrev_b32 v41, v41, v181
	v_lshlrev_b32_e32 v181, 24, v181
	s_delay_alu instid0(VALU_DEP_2) | instskip(NEXT) | instid1(VALU_DEP_3)
	v_and_b32_e32 v41, 7, v41
	v_lshl_add_u32 v40, v40, 23, 0x3b800000
	s_delay_alu instid0(VALU_DEP_3) | instskip(NEXT) | instid1(VALU_DEP_3)
	v_and_b32_e32 v181, 0x80000000, v181
	v_cndmask_b32_e32 v183, v183, v41, vcc_lo
	s_delay_alu instid0(VALU_DEP_1) | instskip(NEXT) | instid1(VALU_DEP_1)
	v_lshlrev_b32_e32 v183, 20, v183
	v_or3_b32 v183, v181, v40, v183
.LBB6_4239:                             ;   in Loop: Header=BB6_3759 Depth=2
	s_or_b32 exec_lo, exec_lo, s27
	s_waitcnt vmcnt(15) lgkmcnt(15)
	v_and_b32_e32 v40, 0xff, v180
	s_mov_b32 s11, 0
	s_mov_b32 s28, exec_lo
                                        ; implicit-def: $sgpr27
	s_delay_alu instid0(VALU_DEP_1)
	v_cmpx_lt_i16_e32 0x7f, v40
	s_xor_b32 s28, exec_lo, s28
	s_cbranch_execnz .LBB6_4953
; %bb.4240:                             ;   in Loop: Header=BB6_3759 Depth=2
	s_or_saveexec_b32 s28, s28
	v_mov_b32_e32 v181, s27
	s_xor_b32 exec_lo, exec_lo, s28
	s_cbranch_execnz .LBB6_4956
.LBB6_4241:                             ;   in Loop: Header=BB6_3759 Depth=2
	s_or_b32 exec_lo, exec_lo, s28
	s_and_saveexec_b32 s27, s11
	s_cbranch_execz .LBB6_4243
.LBB6_4242:                             ;   in Loop: Header=BB6_3759 Depth=2
	v_and_b32_e32 v181, 7, v180
	v_lshrrev_b16 v42, 3, v180
	s_delay_alu instid0(VALU_DEP_2) | instskip(NEXT) | instid1(VALU_DEP_1)
	v_clz_i32_u32_e32 v40, v181
	v_min_u32_e32 v40, 32, v40
	s_delay_alu instid0(VALU_DEP_1) | instskip(SKIP_1) | instid1(VALU_DEP_2)
	v_subrev_nc_u32_e32 v41, 28, v40
	v_sub_nc_u32_e32 v40, 29, v40
	v_lshlrev_b32_e32 v41, v41, v180
	v_lshlrev_b32_e32 v180, 24, v180
	s_delay_alu instid0(VALU_DEP_2) | instskip(SKIP_1) | instid1(VALU_DEP_3)
	v_and_b32_e32 v41, 7, v41
	v_and_b32_e32 v42, 15, v42
	;; [unrolled: 1-line block ×3, first 2 shown]
	s_delay_alu instid0(VALU_DEP_2) | instskip(NEXT) | instid1(VALU_DEP_4)
	v_cmp_eq_u32_e32 vcc_lo, 0, v42
	v_dual_cndmask_b32 v181, v181, v41 :: v_dual_cndmask_b32 v40, v42, v40
	s_delay_alu instid0(VALU_DEP_1) | instskip(NEXT) | instid1(VALU_DEP_2)
	v_lshlrev_b32_e32 v181, 20, v181
	v_lshl_add_u32 v40, v40, 23, 0x3b800000
	s_delay_alu instid0(VALU_DEP_1)
	v_or3_b32 v181, v180, v40, v181
.LBB6_4243:                             ;   in Loop: Header=BB6_3759 Depth=2
	s_or_b32 exec_lo, exec_lo, s27
	s_delay_alu instid0(VALU_DEP_1) | instskip(NEXT) | instid1(VALU_DEP_1)
	v_dual_max_f32 v180, v181, v181 :: v_dual_max_f32 v181, v183, v183
	v_min_f32_e32 v183, v181, v180
.LBB6_4244:                             ;   in Loop: Header=BB6_3759 Depth=2
	s_waitcnt vmcnt(15) lgkmcnt(15)
	s_delay_alu instid0(VALU_DEP_1) | instskip(NEXT) | instid1(VALU_DEP_1)
	v_and_b32_e32 v180, 0x7f800000, v183
	v_cmp_ne_u32_e32 vcc_lo, 0x7f800000, v180
	v_mov_b32_e32 v180, 0x80
	s_and_saveexec_b32 s27, vcc_lo
	s_cbranch_execz .LBB6_4252
; %bb.4245:                             ;   in Loop: Header=BB6_3759 Depth=2
	v_mov_b32_e32 v180, 0
	s_mov_b32 s28, exec_lo
	v_cmpx_ne_u32_e32 0, v183
	s_cbranch_execz .LBB6_4251
; %bb.4246:                             ;   in Loop: Header=BB6_3759 Depth=2
	v_bfe_u32 v180, v183, 23, 8
	s_delay_alu instid0(VALU_DEP_1) | instskip(SKIP_1) | instid1(VALU_DEP_2)
	v_sub_nc_u32_e32 v40, 0x78, v180
	v_cmp_gt_u32_e32 vcc_lo, 0x79, v180
	v_dual_cndmask_b32 v40, 0, v40 :: v_dual_and_b32 v181, 0x7fffff, v183
	s_delay_alu instid0(VALU_DEP_1) | instskip(SKIP_2) | instid1(VALU_DEP_4)
	v_or_b32_e32 v41, 0x800000, v181
	v_cmp_eq_u32_e32 vcc_lo, 0, v180
	v_add_nc_u32_e32 v180, 0xffffff89, v180
	v_cndmask_b32_e64 v40, v40, 0x77, vcc_lo
	s_delay_alu instid0(VALU_DEP_4) | instskip(NEXT) | instid1(VALU_DEP_3)
	v_cndmask_b32_e32 v181, v41, v181, vcc_lo
	v_cndmask_b32_e64 v180, v180, 0xffffff8a, vcc_lo
	s_delay_alu instid0(VALU_DEP_3) | instskip(NEXT) | instid1(VALU_DEP_3)
	v_lshl_add_u32 v41, 0x100000, v40, -1
	v_lshrrev_b32_e32 v42, v40, v181
	v_lshlrev_b32_e64 v44, v40, 0x80000
	s_delay_alu instid0(VALU_DEP_4) | instskip(NEXT) | instid1(VALU_DEP_4)
	v_add_nc_u32_e32 v40, v40, v180
	v_and_b32_e32 v181, v41, v181
	s_delay_alu instid0(VALU_DEP_4) | instskip(NEXT) | instid1(VALU_DEP_2)
	v_bfe_u32 v43, v42, 20, 1
	v_cmp_eq_u32_e64 s11, v181, v44
	s_delay_alu instid0(VALU_DEP_2) | instskip(NEXT) | instid1(VALU_DEP_1)
	v_add_nc_u32_e32 v41, -1, v43
	v_cndmask_b32_e64 v181, 0, v41, s11
	v_lshrrev_b32_e32 v41, 23, v42
	s_mov_b32 s11, exec_lo
	s_delay_alu instid0(VALU_DEP_2) | instskip(NEXT) | instid1(VALU_DEP_2)
	v_add_nc_u32_e32 v181, v181, v42
	v_xor_b32_e32 v41, 1, v41
	s_delay_alu instid0(VALU_DEP_2) | instskip(NEXT) | instid1(VALU_DEP_1)
	v_and_b32_e32 v180, 0xfffff, v181
	v_add_nc_u32_e32 v181, v180, v42
                                        ; implicit-def: $vgpr180
	s_delay_alu instid0(VALU_DEP_3)
	v_cmpx_ne_u32_e64 v40, v41
	s_xor_b32 s11, exec_lo, s11
; %bb.4247:                             ;   in Loop: Header=BB6_3759 Depth=2
	s_delay_alu instid0(VALU_DEP_2) | instskip(SKIP_2) | instid1(VALU_DEP_2)
	v_cmp_lt_u32_e32 vcc_lo, 0xffffff, v181
	v_sub_nc_u32_e32 v180, v40, v41
	v_cndmask_b32_e64 v40, 0, 1, vcc_lo
	v_add_co_ci_u32_e32 v180, vcc_lo, 0, v180, vcc_lo
	s_delay_alu instid0(VALU_DEP_2)
	v_lshrrev_b32_e32 v181, v40, v181
; %bb.4248:                             ;   in Loop: Header=BB6_3759 Depth=2
	s_and_not1_saveexec_b32 s11, s11
; %bb.4249:                             ;   in Loop: Header=BB6_3759 Depth=2
	s_delay_alu instid0(VALU_DEP_1)
	v_bfe_u32 v180, v181, 23, 1
; %bb.4250:                             ;   in Loop: Header=BB6_3759 Depth=2
	s_or_b32 exec_lo, exec_lo, s11
	v_lshrrev_b32_e32 v181, 20, v181
	s_delay_alu instid0(VALU_DEP_2) | instskip(SKIP_2) | instid1(VALU_DEP_2)
	v_cmp_gt_i32_e32 vcc_lo, 16, v180
	v_min_i32_e32 v40, 15, v180
	v_lshrrev_b32_e32 v183, 24, v183
	v_dual_cndmask_b32 v181, 7, v181 :: v_dual_lshlrev_b32 v40, 3, v40
	s_delay_alu instid0(VALU_DEP_1) | instskip(SKIP_1) | instid1(VALU_DEP_2)
	v_or_b32_e32 v180, v180, v181
	v_and_b32_e32 v41, 7, v181
	v_cmp_ne_u32_e32 vcc_lo, 0, v180
	v_and_b32_e32 v183, 0x80, v183
	s_delay_alu instid0(VALU_DEP_1) | instskip(NEXT) | instid1(VALU_DEP_1)
	v_or3_b32 v181, v40, v183, v41
	v_cndmask_b32_e32 v180, 0, v181, vcc_lo
.LBB6_4251:                             ;   in Loop: Header=BB6_3759 Depth=2
	s_or_b32 exec_lo, exec_lo, s28
.LBB6_4252:                             ;   in Loop: Header=BB6_3759 Depth=2
	s_delay_alu instid0(SALU_CYCLE_1) | instskip(NEXT) | instid1(SALU_CYCLE_1)
	s_or_b32 exec_lo, exec_lo, s27
	s_and_not1_b32 vcc_lo, exec_lo, s25
	s_cbranch_vccnz .LBB6_4262
; %bb.4253:                             ;   in Loop: Header=BB6_3759 Depth=2
	v_and_b32_e32 v183, 0xff, v178
	s_mov_b32 s11, 0
	s_mov_b32 s28, exec_lo
                                        ; implicit-def: $sgpr27
	s_delay_alu instid0(VALU_DEP_1)
	v_cmpx_lt_i16_e64 0x7f, v183
	s_xor_b32 s28, exec_lo, s28
	s_cbranch_execnz .LBB6_4957
; %bb.4254:                             ;   in Loop: Header=BB6_3759 Depth=2
	s_or_saveexec_b32 s28, s28
	v_mov_b32_e32 v181, s27
	s_xor_b32 exec_lo, exec_lo, s28
	s_cbranch_execnz .LBB6_4960
.LBB6_4255:                             ;   in Loop: Header=BB6_3759 Depth=2
	s_or_b32 exec_lo, exec_lo, s28
	s_and_saveexec_b32 s27, s11
	s_cbranch_execz .LBB6_4257
.LBB6_4256:                             ;   in Loop: Header=BB6_3759 Depth=2
	v_and_b32_e32 v181, 7, v178
	v_lshrrev_b16 v41, 3, v178
	s_delay_alu instid0(VALU_DEP_2) | instskip(NEXT) | instid1(VALU_DEP_2)
	v_clz_i32_u32_e32 v183, v181
	v_and_b32_e32 v41, 15, v41
	s_delay_alu instid0(VALU_DEP_2) | instskip(NEXT) | instid1(VALU_DEP_2)
	v_min_u32_e32 v183, 32, v183
	v_cmp_eq_u32_e32 vcc_lo, 0, v41
	s_delay_alu instid0(VALU_DEP_2) | instskip(SKIP_1) | instid1(VALU_DEP_1)
	v_subrev_nc_u32_e32 v40, 28, v183
	v_sub_nc_u32_e32 v183, 29, v183
	v_dual_cndmask_b32 v183, v41, v183 :: v_dual_lshlrev_b32 v40, v40, v178
	s_delay_alu instid0(VALU_DEP_1) | instskip(SKIP_1) | instid1(VALU_DEP_3)
	v_and_b32_e32 v40, 7, v40
	v_lshlrev_b32_e32 v42, 24, v178
	v_lshl_add_u32 v183, v183, 23, 0x3b800000
	s_delay_alu instid0(VALU_DEP_2) | instskip(NEXT) | instid1(VALU_DEP_1)
	v_dual_cndmask_b32 v181, v181, v40 :: v_dual_and_b32 v40, 0x80000000, v42
	v_lshlrev_b32_e32 v181, 20, v181
	s_delay_alu instid0(VALU_DEP_1)
	v_or3_b32 v181, v40, v183, v181
.LBB6_4257:                             ;   in Loop: Header=BB6_3759 Depth=2
	s_or_b32 exec_lo, exec_lo, s27
	s_waitcnt vmcnt(14) lgkmcnt(14)
	v_and_b32_e32 v40, 0xff, v177
	s_mov_b32 s11, 0
	s_mov_b32 s28, exec_lo
                                        ; implicit-def: $sgpr27
	s_delay_alu instid0(VALU_DEP_1)
	v_cmpx_lt_i16_e32 0x7f, v40
	s_xor_b32 s28, exec_lo, s28
	s_cbranch_execnz .LBB6_4961
; %bb.4258:                             ;   in Loop: Header=BB6_3759 Depth=2
	s_or_saveexec_b32 s28, s28
	v_mov_b32_e32 v183, s27
	s_xor_b32 exec_lo, exec_lo, s28
	s_cbranch_execnz .LBB6_4964
.LBB6_4259:                             ;   in Loop: Header=BB6_3759 Depth=2
	s_or_b32 exec_lo, exec_lo, s28
	s_and_saveexec_b32 s27, s11
	s_cbranch_execz .LBB6_4261
.LBB6_4260:                             ;   in Loop: Header=BB6_3759 Depth=2
	v_lshrrev_b16 v42, 3, v177
	v_lshlrev_b32_e32 v43, 24, v177
	s_delay_alu instid0(VALU_DEP_2) | instskip(NEXT) | instid1(VALU_DEP_1)
	v_and_b32_e32 v42, 15, v42
	v_cmp_eq_u32_e32 vcc_lo, 0, v42
	v_and_b32_e32 v183, 7, v177
	s_delay_alu instid0(VALU_DEP_1) | instskip(NEXT) | instid1(VALU_DEP_1)
	v_clz_i32_u32_e32 v40, v183
	v_min_u32_e32 v40, 32, v40
	s_delay_alu instid0(VALU_DEP_1) | instskip(SKIP_1) | instid1(VALU_DEP_1)
	v_subrev_nc_u32_e32 v41, 28, v40
	v_sub_nc_u32_e32 v40, 29, v40
	v_dual_cndmask_b32 v40, v42, v40 :: v_dual_lshlrev_b32 v41, v41, v177
	s_delay_alu instid0(VALU_DEP_1) | instskip(NEXT) | instid1(VALU_DEP_2)
	v_and_b32_e32 v41, 7, v41
	v_lshl_add_u32 v40, v40, 23, 0x3b800000
	s_delay_alu instid0(VALU_DEP_2) | instskip(SKIP_1) | instid1(VALU_DEP_2)
	v_cndmask_b32_e32 v183, v183, v41, vcc_lo
	v_and_b32_e32 v41, 0x80000000, v43
	v_lshlrev_b32_e32 v183, 20, v183
	s_delay_alu instid0(VALU_DEP_1)
	v_or3_b32 v183, v41, v40, v183
.LBB6_4261:                             ;   in Loop: Header=BB6_3759 Depth=2
	s_or_b32 exec_lo, exec_lo, s27
	s_delay_alu instid0(VALU_DEP_1) | instskip(SKIP_2) | instid1(VALU_DEP_1)
	v_max_f32_e32 v183, v183, v183
	v_max_f32_e32 v181, v181, v181
	s_mov_b32 s11, 0
	v_max_f32_e32 v181, v181, v183
	s_branch .LBB6_4263
.LBB6_4262:                             ;   in Loop: Header=BB6_3759 Depth=2
	s_mov_b32 s11, -1
                                        ; implicit-def: $vgpr181
.LBB6_4263:                             ;   in Loop: Header=BB6_3759 Depth=2
	s_delay_alu instid0(SALU_CYCLE_1)
	s_and_b32 vcc_lo, exec_lo, s11
	s_cbranch_vccz .LBB6_4273
; %bb.4264:                             ;   in Loop: Header=BB6_3759 Depth=2
	v_and_b32_e32 v183, 0xff, v178
	s_mov_b32 s11, 0
	s_mov_b32 s28, exec_lo
                                        ; implicit-def: $sgpr27
	s_delay_alu instid0(VALU_DEP_1)
	v_cmpx_lt_i16_e64 0x7f, v183
	s_xor_b32 s28, exec_lo, s28
	s_cbranch_execnz .LBB6_4965
; %bb.4265:                             ;   in Loop: Header=BB6_3759 Depth=2
	s_or_saveexec_b32 s28, s28
	v_mov_b32_e32 v181, s27
	s_xor_b32 exec_lo, exec_lo, s28
	s_cbranch_execnz .LBB6_4968
.LBB6_4266:                             ;   in Loop: Header=BB6_3759 Depth=2
	s_or_b32 exec_lo, exec_lo, s28
	s_and_saveexec_b32 s27, s11
	s_cbranch_execz .LBB6_4268
.LBB6_4267:                             ;   in Loop: Header=BB6_3759 Depth=2
	v_and_b32_e32 v181, 7, v178
	v_lshrrev_b16 v41, 3, v178
	s_delay_alu instid0(VALU_DEP_2) | instskip(NEXT) | instid1(VALU_DEP_2)
	v_clz_i32_u32_e32 v183, v181
	v_and_b32_e32 v41, 15, v41
	s_delay_alu instid0(VALU_DEP_2) | instskip(NEXT) | instid1(VALU_DEP_2)
	v_min_u32_e32 v183, 32, v183
	v_cmp_eq_u32_e32 vcc_lo, 0, v41
	s_delay_alu instid0(VALU_DEP_2) | instskip(SKIP_1) | instid1(VALU_DEP_1)
	v_subrev_nc_u32_e32 v40, 28, v183
	v_sub_nc_u32_e32 v183, 29, v183
	v_dual_cndmask_b32 v183, v41, v183 :: v_dual_lshlrev_b32 v40, v40, v178
	s_delay_alu instid0(VALU_DEP_1) | instskip(SKIP_1) | instid1(VALU_DEP_3)
	v_and_b32_e32 v40, 7, v40
	v_lshlrev_b32_e32 v178, 24, v178
	v_lshl_add_u32 v183, v183, 23, 0x3b800000
	s_delay_alu instid0(VALU_DEP_2) | instskip(NEXT) | instid1(VALU_DEP_1)
	v_dual_cndmask_b32 v181, v181, v40 :: v_dual_and_b32 v178, 0x80000000, v178
	v_lshlrev_b32_e32 v181, 20, v181
	s_delay_alu instid0(VALU_DEP_1)
	v_or3_b32 v181, v178, v183, v181
.LBB6_4268:                             ;   in Loop: Header=BB6_3759 Depth=2
	s_or_b32 exec_lo, exec_lo, s27
	s_waitcnt vmcnt(14) lgkmcnt(14)
	v_and_b32_e32 v183, 0xff, v177
	s_mov_b32 s11, 0
	s_mov_b32 s28, exec_lo
                                        ; implicit-def: $sgpr27
	s_delay_alu instid0(VALU_DEP_1)
	v_cmpx_lt_i16_e64 0x7f, v183
	s_xor_b32 s28, exec_lo, s28
	s_cbranch_execnz .LBB6_4969
; %bb.4269:                             ;   in Loop: Header=BB6_3759 Depth=2
	s_or_saveexec_b32 s28, s28
	v_mov_b32_e32 v178, s27
	s_xor_b32 exec_lo, exec_lo, s28
	s_cbranch_execnz .LBB6_4972
.LBB6_4270:                             ;   in Loop: Header=BB6_3759 Depth=2
	s_or_b32 exec_lo, exec_lo, s28
	s_and_saveexec_b32 s27, s11
	s_cbranch_execz .LBB6_4272
.LBB6_4271:                             ;   in Loop: Header=BB6_3759 Depth=2
	v_lshrrev_b16 v41, 3, v177
	s_delay_alu instid0(VALU_DEP_1) | instskip(NEXT) | instid1(VALU_DEP_1)
	v_and_b32_e32 v41, 15, v41
	v_cmp_eq_u32_e32 vcc_lo, 0, v41
	v_and_b32_e32 v178, 7, v177
	s_delay_alu instid0(VALU_DEP_1) | instskip(NEXT) | instid1(VALU_DEP_1)
	v_clz_i32_u32_e32 v183, v178
	v_min_u32_e32 v183, 32, v183
	s_delay_alu instid0(VALU_DEP_1) | instskip(SKIP_1) | instid1(VALU_DEP_1)
	v_subrev_nc_u32_e32 v40, 28, v183
	v_sub_nc_u32_e32 v183, 29, v183
	v_dual_cndmask_b32 v183, v41, v183 :: v_dual_lshlrev_b32 v40, v40, v177
	v_lshlrev_b32_e32 v177, 24, v177
	s_delay_alu instid0(VALU_DEP_2) | instskip(NEXT) | instid1(VALU_DEP_3)
	v_and_b32_e32 v40, 7, v40
	v_lshl_add_u32 v183, v183, 23, 0x3b800000
	s_delay_alu instid0(VALU_DEP_2) | instskip(NEXT) | instid1(VALU_DEP_1)
	v_dual_cndmask_b32 v178, v178, v40 :: v_dual_and_b32 v177, 0x80000000, v177
	v_lshlrev_b32_e32 v178, 20, v178
	s_delay_alu instid0(VALU_DEP_1)
	v_or3_b32 v178, v177, v183, v178
.LBB6_4272:                             ;   in Loop: Header=BB6_3759 Depth=2
	s_or_b32 exec_lo, exec_lo, s27
	s_delay_alu instid0(VALU_DEP_1) | instskip(NEXT) | instid1(VALU_DEP_1)
	v_dual_max_f32 v177, v178, v178 :: v_dual_max_f32 v178, v181, v181
	v_min_f32_e32 v181, v178, v177
.LBB6_4273:                             ;   in Loop: Header=BB6_3759 Depth=2
	s_waitcnt vmcnt(14) lgkmcnt(14)
	s_delay_alu instid0(VALU_DEP_1) | instskip(NEXT) | instid1(VALU_DEP_1)
	v_and_b32_e32 v177, 0x7f800000, v181
	v_cmp_ne_u32_e32 vcc_lo, 0x7f800000, v177
	v_mov_b32_e32 v177, 0x80
	s_and_saveexec_b32 s27, vcc_lo
	s_cbranch_execz .LBB6_4281
; %bb.4274:                             ;   in Loop: Header=BB6_3759 Depth=2
	v_mov_b32_e32 v177, 0
	s_mov_b32 s28, exec_lo
	v_cmpx_ne_u32_e32 0, v181
	s_cbranch_execz .LBB6_4280
; %bb.4275:                             ;   in Loop: Header=BB6_3759 Depth=2
	v_bfe_u32 v177, v181, 23, 8
	s_delay_alu instid0(VALU_DEP_1) | instskip(SKIP_1) | instid1(VALU_DEP_2)
	v_sub_nc_u32_e32 v183, 0x78, v177
	v_cmp_gt_u32_e32 vcc_lo, 0x79, v177
	v_dual_cndmask_b32 v183, 0, v183 :: v_dual_and_b32 v178, 0x7fffff, v181
	s_delay_alu instid0(VALU_DEP_1) | instskip(SKIP_2) | instid1(VALU_DEP_4)
	v_or_b32_e32 v40, 0x800000, v178
	v_cmp_eq_u32_e32 vcc_lo, 0, v177
	v_add_nc_u32_e32 v177, 0xffffff89, v177
	v_cndmask_b32_e64 v183, v183, 0x77, vcc_lo
	s_delay_alu instid0(VALU_DEP_4) | instskip(NEXT) | instid1(VALU_DEP_3)
	v_cndmask_b32_e32 v178, v40, v178, vcc_lo
	v_cndmask_b32_e64 v177, v177, 0xffffff8a, vcc_lo
	s_delay_alu instid0(VALU_DEP_3) | instskip(NEXT) | instid1(VALU_DEP_3)
	v_lshl_add_u32 v40, 0x100000, v183, -1
	v_lshrrev_b32_e32 v41, v183, v178
	v_lshlrev_b32_e64 v43, v183, 0x80000
	s_delay_alu instid0(VALU_DEP_4) | instskip(NEXT) | instid1(VALU_DEP_4)
	v_add_nc_u32_e32 v183, v183, v177
	v_and_b32_e32 v178, v40, v178
	s_delay_alu instid0(VALU_DEP_4) | instskip(NEXT) | instid1(VALU_DEP_2)
	v_bfe_u32 v42, v41, 20, 1
	v_cmp_eq_u32_e64 s11, v178, v43
	s_delay_alu instid0(VALU_DEP_2) | instskip(NEXT) | instid1(VALU_DEP_1)
	v_add_nc_u32_e32 v40, -1, v42
	v_cndmask_b32_e64 v178, 0, v40, s11
	v_lshrrev_b32_e32 v40, 23, v41
	s_mov_b32 s11, exec_lo
	s_delay_alu instid0(VALU_DEP_2) | instskip(NEXT) | instid1(VALU_DEP_2)
	v_add_nc_u32_e32 v178, v178, v41
	v_xor_b32_e32 v40, 1, v40
	s_delay_alu instid0(VALU_DEP_2) | instskip(NEXT) | instid1(VALU_DEP_1)
	v_and_b32_e32 v177, 0xfffff, v178
	v_add_nc_u32_e32 v178, v177, v41
                                        ; implicit-def: $vgpr177
	s_delay_alu instid0(VALU_DEP_3)
	v_cmpx_ne_u32_e64 v183, v40
	s_xor_b32 s11, exec_lo, s11
; %bb.4276:                             ;   in Loop: Header=BB6_3759 Depth=2
	s_delay_alu instid0(VALU_DEP_2) | instskip(SKIP_2) | instid1(VALU_DEP_2)
	v_cmp_lt_u32_e32 vcc_lo, 0xffffff, v178
	v_sub_nc_u32_e32 v177, v183, v40
	v_cndmask_b32_e64 v183, 0, 1, vcc_lo
	v_add_co_ci_u32_e32 v177, vcc_lo, 0, v177, vcc_lo
	s_delay_alu instid0(VALU_DEP_2)
	v_lshrrev_b32_e32 v178, v183, v178
; %bb.4277:                             ;   in Loop: Header=BB6_3759 Depth=2
	s_and_not1_saveexec_b32 s11, s11
; %bb.4278:                             ;   in Loop: Header=BB6_3759 Depth=2
	s_delay_alu instid0(VALU_DEP_1)
	v_bfe_u32 v177, v178, 23, 1
; %bb.4279:                             ;   in Loop: Header=BB6_3759 Depth=2
	s_or_b32 exec_lo, exec_lo, s11
	v_lshrrev_b32_e32 v178, 20, v178
	s_delay_alu instid0(VALU_DEP_2) | instskip(SKIP_2) | instid1(VALU_DEP_2)
	v_cmp_gt_i32_e32 vcc_lo, 16, v177
	v_lshrrev_b32_e32 v181, 24, v181
	v_min_i32_e32 v183, 15, v177
	v_dual_cndmask_b32 v178, 7, v178 :: v_dual_and_b32 v181, 0x80, v181
	s_delay_alu instid0(VALU_DEP_2) | instskip(NEXT) | instid1(VALU_DEP_2)
	v_lshlrev_b32_e32 v183, 3, v183
	v_and_b32_e32 v40, 7, v178
	v_or_b32_e32 v177, v177, v178
	s_delay_alu instid0(VALU_DEP_2) | instskip(NEXT) | instid1(VALU_DEP_2)
	v_or3_b32 v178, v183, v181, v40
	v_cmp_ne_u32_e32 vcc_lo, 0, v177
	s_delay_alu instid0(VALU_DEP_2)
	v_cndmask_b32_e32 v177, 0, v178, vcc_lo
.LBB6_4280:                             ;   in Loop: Header=BB6_3759 Depth=2
	s_or_b32 exec_lo, exec_lo, s28
.LBB6_4281:                             ;   in Loop: Header=BB6_3759 Depth=2
	s_delay_alu instid0(SALU_CYCLE_1) | instskip(NEXT) | instid1(SALU_CYCLE_1)
	s_or_b32 exec_lo, exec_lo, s27
	s_and_not1_b32 vcc_lo, exec_lo, s25
	s_cbranch_vccnz .LBB6_4291
; %bb.4282:                             ;   in Loop: Header=BB6_3759 Depth=2
	v_and_b32_e32 v181, 0xff, v167
	s_mov_b32 s11, 0
	s_mov_b32 s28, exec_lo
                                        ; implicit-def: $sgpr27
	s_delay_alu instid0(VALU_DEP_1)
	v_cmpx_lt_i16_e64 0x7f, v181
	s_xor_b32 s28, exec_lo, s28
	s_cbranch_execnz .LBB6_4973
; %bb.4283:                             ;   in Loop: Header=BB6_3759 Depth=2
	s_or_saveexec_b32 s28, s28
	v_mov_b32_e32 v178, s27
	s_xor_b32 exec_lo, exec_lo, s28
	s_cbranch_execnz .LBB6_4976
.LBB6_4284:                             ;   in Loop: Header=BB6_3759 Depth=2
	s_or_b32 exec_lo, exec_lo, s28
	s_and_saveexec_b32 s27, s11
	s_cbranch_execz .LBB6_4286
.LBB6_4285:                             ;   in Loop: Header=BB6_3759 Depth=2
	v_lshrrev_b16 v40, 3, v167
	v_lshlrev_b32_e32 v41, 24, v167
	s_delay_alu instid0(VALU_DEP_2) | instskip(NEXT) | instid1(VALU_DEP_1)
	v_and_b32_e32 v40, 15, v40
	v_cmp_eq_u32_e32 vcc_lo, 0, v40
	v_and_b32_e32 v178, 7, v167
	s_delay_alu instid0(VALU_DEP_1) | instskip(NEXT) | instid1(VALU_DEP_1)
	v_clz_i32_u32_e32 v181, v178
	v_min_u32_e32 v181, 32, v181
	s_delay_alu instid0(VALU_DEP_1) | instskip(SKIP_1) | instid1(VALU_DEP_2)
	v_subrev_nc_u32_e32 v183, 28, v181
	v_sub_nc_u32_e32 v181, 29, v181
	v_lshlrev_b32_e32 v183, v183, v167
	s_delay_alu instid0(VALU_DEP_2) | instskip(NEXT) | instid1(VALU_DEP_2)
	v_cndmask_b32_e32 v181, v40, v181, vcc_lo
	v_and_b32_e32 v183, 7, v183
	s_delay_alu instid0(VALU_DEP_2) | instskip(NEXT) | instid1(VALU_DEP_2)
	v_lshl_add_u32 v181, v181, 23, 0x3b800000
	v_dual_cndmask_b32 v178, v178, v183 :: v_dual_and_b32 v183, 0x80000000, v41
	s_delay_alu instid0(VALU_DEP_1) | instskip(NEXT) | instid1(VALU_DEP_1)
	v_lshlrev_b32_e32 v178, 20, v178
	v_or3_b32 v178, v183, v181, v178
.LBB6_4286:                             ;   in Loop: Header=BB6_3759 Depth=2
	s_or_b32 exec_lo, exec_lo, s27
	s_waitcnt vmcnt(13) lgkmcnt(13)
	v_and_b32_e32 v183, 0xff, v166
	s_mov_b32 s11, 0
	s_mov_b32 s28, exec_lo
                                        ; implicit-def: $sgpr27
	s_delay_alu instid0(VALU_DEP_1)
	v_cmpx_lt_i16_e64 0x7f, v183
	s_xor_b32 s28, exec_lo, s28
	s_cbranch_execnz .LBB6_4977
; %bb.4287:                             ;   in Loop: Header=BB6_3759 Depth=2
	s_or_saveexec_b32 s28, s28
	v_mov_b32_e32 v181, s27
	s_xor_b32 exec_lo, exec_lo, s28
	s_cbranch_execnz .LBB6_4980
.LBB6_4288:                             ;   in Loop: Header=BB6_3759 Depth=2
	s_or_b32 exec_lo, exec_lo, s28
	s_and_saveexec_b32 s27, s11
	s_cbranch_execz .LBB6_4290
.LBB6_4289:                             ;   in Loop: Header=BB6_3759 Depth=2
	v_and_b32_e32 v181, 7, v166
	v_lshrrev_b16 v41, 3, v166
	s_delay_alu instid0(VALU_DEP_2) | instskip(NEXT) | instid1(VALU_DEP_2)
	v_clz_i32_u32_e32 v183, v181
	v_and_b32_e32 v41, 15, v41
	s_delay_alu instid0(VALU_DEP_2) | instskip(NEXT) | instid1(VALU_DEP_2)
	v_min_u32_e32 v183, 32, v183
	v_cmp_eq_u32_e32 vcc_lo, 0, v41
	s_delay_alu instid0(VALU_DEP_2) | instskip(SKIP_1) | instid1(VALU_DEP_1)
	v_subrev_nc_u32_e32 v40, 28, v183
	v_sub_nc_u32_e32 v183, 29, v183
	v_dual_cndmask_b32 v183, v41, v183 :: v_dual_lshlrev_b32 v40, v40, v166
	s_delay_alu instid0(VALU_DEP_1) | instskip(SKIP_1) | instid1(VALU_DEP_3)
	v_and_b32_e32 v40, 7, v40
	v_lshlrev_b32_e32 v42, 24, v166
	v_lshl_add_u32 v183, v183, 23, 0x3b800000
	s_delay_alu instid0(VALU_DEP_2) | instskip(NEXT) | instid1(VALU_DEP_1)
	v_dual_cndmask_b32 v181, v181, v40 :: v_dual_and_b32 v40, 0x80000000, v42
	v_lshlrev_b32_e32 v181, 20, v181
	s_delay_alu instid0(VALU_DEP_1)
	v_or3_b32 v181, v40, v183, v181
.LBB6_4290:                             ;   in Loop: Header=BB6_3759 Depth=2
	s_or_b32 exec_lo, exec_lo, s27
	s_delay_alu instid0(VALU_DEP_1) | instskip(SKIP_1) | instid1(VALU_DEP_1)
	v_dual_max_f32 v181, v181, v181 :: v_dual_max_f32 v178, v178, v178
	s_mov_b32 s11, 0
	v_max_f32_e32 v178, v178, v181
	s_branch .LBB6_4292
.LBB6_4291:                             ;   in Loop: Header=BB6_3759 Depth=2
	s_mov_b32 s11, -1
                                        ; implicit-def: $vgpr178
.LBB6_4292:                             ;   in Loop: Header=BB6_3759 Depth=2
	s_delay_alu instid0(SALU_CYCLE_1)
	s_and_b32 vcc_lo, exec_lo, s11
	s_cbranch_vccz .LBB6_4302
; %bb.4293:                             ;   in Loop: Header=BB6_3759 Depth=2
	v_and_b32_e32 v181, 0xff, v167
	s_mov_b32 s11, 0
	s_mov_b32 s28, exec_lo
                                        ; implicit-def: $sgpr27
	s_delay_alu instid0(VALU_DEP_1)
	v_cmpx_lt_i16_e64 0x7f, v181
	s_xor_b32 s28, exec_lo, s28
	s_cbranch_execnz .LBB6_4981
; %bb.4294:                             ;   in Loop: Header=BB6_3759 Depth=2
	s_or_saveexec_b32 s28, s28
	v_mov_b32_e32 v178, s27
	s_xor_b32 exec_lo, exec_lo, s28
	s_cbranch_execnz .LBB6_4984
.LBB6_4295:                             ;   in Loop: Header=BB6_3759 Depth=2
	s_or_b32 exec_lo, exec_lo, s28
	s_and_saveexec_b32 s27, s11
	s_cbranch_execz .LBB6_4297
.LBB6_4296:                             ;   in Loop: Header=BB6_3759 Depth=2
	v_lshrrev_b16 v40, 3, v167
	s_delay_alu instid0(VALU_DEP_1) | instskip(NEXT) | instid1(VALU_DEP_1)
	v_and_b32_e32 v40, 15, v40
	v_cmp_eq_u32_e32 vcc_lo, 0, v40
	v_and_b32_e32 v178, 7, v167
	s_delay_alu instid0(VALU_DEP_1) | instskip(NEXT) | instid1(VALU_DEP_1)
	v_clz_i32_u32_e32 v181, v178
	v_min_u32_e32 v181, 32, v181
	s_delay_alu instid0(VALU_DEP_1) | instskip(SKIP_1) | instid1(VALU_DEP_2)
	v_subrev_nc_u32_e32 v183, 28, v181
	v_sub_nc_u32_e32 v181, 29, v181
	v_lshlrev_b32_e32 v183, v183, v167
	s_delay_alu instid0(VALU_DEP_2) | instskip(SKIP_1) | instid1(VALU_DEP_3)
	v_cndmask_b32_e32 v181, v40, v181, vcc_lo
	v_lshlrev_b32_e32 v167, 24, v167
	v_and_b32_e32 v183, 7, v183
	s_delay_alu instid0(VALU_DEP_3) | instskip(NEXT) | instid1(VALU_DEP_3)
	v_lshl_add_u32 v181, v181, 23, 0x3b800000
	v_and_b32_e32 v167, 0x80000000, v167
	s_delay_alu instid0(VALU_DEP_3) | instskip(NEXT) | instid1(VALU_DEP_1)
	v_cndmask_b32_e32 v178, v178, v183, vcc_lo
	v_lshlrev_b32_e32 v178, 20, v178
	s_delay_alu instid0(VALU_DEP_1)
	v_or3_b32 v178, v167, v181, v178
.LBB6_4297:                             ;   in Loop: Header=BB6_3759 Depth=2
	s_or_b32 exec_lo, exec_lo, s27
	s_waitcnt vmcnt(13) lgkmcnt(13)
	v_and_b32_e32 v181, 0xff, v166
	s_mov_b32 s11, 0
	s_mov_b32 s28, exec_lo
                                        ; implicit-def: $sgpr27
	s_delay_alu instid0(VALU_DEP_1)
	v_cmpx_lt_i16_e64 0x7f, v181
	s_xor_b32 s28, exec_lo, s28
	s_cbranch_execnz .LBB6_4985
; %bb.4298:                             ;   in Loop: Header=BB6_3759 Depth=2
	s_or_saveexec_b32 s28, s28
	v_mov_b32_e32 v167, s27
	s_xor_b32 exec_lo, exec_lo, s28
	s_cbranch_execnz .LBB6_4988
.LBB6_4299:                             ;   in Loop: Header=BB6_3759 Depth=2
	s_or_b32 exec_lo, exec_lo, s28
	s_and_saveexec_b32 s27, s11
	s_cbranch_execz .LBB6_4301
.LBB6_4300:                             ;   in Loop: Header=BB6_3759 Depth=2
	v_and_b32_e32 v167, 7, v166
	v_lshrrev_b16 v40, 3, v166
	s_delay_alu instid0(VALU_DEP_2) | instskip(NEXT) | instid1(VALU_DEP_1)
	v_clz_i32_u32_e32 v181, v167
	v_min_u32_e32 v181, 32, v181
	s_delay_alu instid0(VALU_DEP_1) | instskip(SKIP_1) | instid1(VALU_DEP_2)
	v_subrev_nc_u32_e32 v183, 28, v181
	v_sub_nc_u32_e32 v181, 29, v181
	v_lshlrev_b32_e32 v183, v183, v166
	s_delay_alu instid0(VALU_DEP_1) | instskip(SKIP_1) | instid1(VALU_DEP_1)
	v_and_b32_e32 v183, 7, v183
	v_and_b32_e32 v40, 15, v40
	v_cmp_eq_u32_e32 vcc_lo, 0, v40
	s_delay_alu instid0(VALU_DEP_3) | instskip(SKIP_1) | instid1(VALU_DEP_2)
	v_dual_cndmask_b32 v167, v167, v183 :: v_dual_lshlrev_b32 v166, 24, v166
	v_cndmask_b32_e32 v181, v40, v181, vcc_lo
	v_lshlrev_b32_e32 v167, 20, v167
	s_delay_alu instid0(VALU_DEP_3) | instskip(NEXT) | instid1(VALU_DEP_3)
	v_and_b32_e32 v166, 0x80000000, v166
	v_lshl_add_u32 v181, v181, 23, 0x3b800000
	s_delay_alu instid0(VALU_DEP_1)
	v_or3_b32 v167, v166, v181, v167
.LBB6_4301:                             ;   in Loop: Header=BB6_3759 Depth=2
	s_or_b32 exec_lo, exec_lo, s27
	s_delay_alu instid0(VALU_DEP_1) | instskip(NEXT) | instid1(VALU_DEP_1)
	v_dual_max_f32 v166, v167, v167 :: v_dual_max_f32 v167, v178, v178
	v_min_f32_e32 v178, v167, v166
.LBB6_4302:                             ;   in Loop: Header=BB6_3759 Depth=2
	s_waitcnt vmcnt(13) lgkmcnt(13)
	s_delay_alu instid0(VALU_DEP_1) | instskip(NEXT) | instid1(VALU_DEP_1)
	v_and_b32_e32 v166, 0x7f800000, v178
	v_cmp_ne_u32_e32 vcc_lo, 0x7f800000, v166
	v_mov_b32_e32 v166, 0x80
	s_and_saveexec_b32 s27, vcc_lo
	s_cbranch_execz .LBB6_4310
; %bb.4303:                             ;   in Loop: Header=BB6_3759 Depth=2
	v_mov_b32_e32 v166, 0
	s_mov_b32 s28, exec_lo
	v_cmpx_ne_u32_e32 0, v178
	s_cbranch_execz .LBB6_4309
; %bb.4304:                             ;   in Loop: Header=BB6_3759 Depth=2
	v_bfe_u32 v166, v178, 23, 8
	v_and_b32_e32 v167, 0x7fffff, v178
	s_delay_alu instid0(VALU_DEP_2) | instskip(SKIP_1) | instid1(VALU_DEP_3)
	v_sub_nc_u32_e32 v181, 0x78, v166
	v_cmp_gt_u32_e32 vcc_lo, 0x79, v166
	v_or_b32_e32 v183, 0x800000, v167
	s_delay_alu instid0(VALU_DEP_3) | instskip(SKIP_2) | instid1(VALU_DEP_3)
	v_cndmask_b32_e32 v181, 0, v181, vcc_lo
	v_cmp_eq_u32_e32 vcc_lo, 0, v166
	v_add_nc_u32_e32 v166, 0xffffff89, v166
	v_cndmask_b32_e64 v181, v181, 0x77, vcc_lo
	v_cndmask_b32_e32 v167, v183, v167, vcc_lo
	s_delay_alu instid0(VALU_DEP_3) | instskip(NEXT) | instid1(VALU_DEP_3)
	v_cndmask_b32_e64 v166, v166, 0xffffff8a, vcc_lo
	v_lshl_add_u32 v183, 0x100000, v181, -1
	s_delay_alu instid0(VALU_DEP_3) | instskip(SKIP_1) | instid1(VALU_DEP_4)
	v_lshrrev_b32_e32 v40, v181, v167
	v_lshlrev_b32_e64 v42, v181, 0x80000
	v_add_nc_u32_e32 v181, v181, v166
	s_delay_alu instid0(VALU_DEP_4) | instskip(NEXT) | instid1(VALU_DEP_4)
	v_and_b32_e32 v167, v183, v167
	v_bfe_u32 v41, v40, 20, 1
	s_delay_alu instid0(VALU_DEP_2) | instskip(NEXT) | instid1(VALU_DEP_2)
	v_cmp_eq_u32_e64 s11, v167, v42
	v_add_nc_u32_e32 v183, -1, v41
	s_delay_alu instid0(VALU_DEP_1) | instskip(SKIP_2) | instid1(VALU_DEP_2)
	v_cndmask_b32_e64 v167, 0, v183, s11
	v_lshrrev_b32_e32 v183, 23, v40
	s_mov_b32 s11, exec_lo
	v_add_nc_u32_e32 v167, v167, v40
	s_delay_alu instid0(VALU_DEP_2) | instskip(NEXT) | instid1(VALU_DEP_2)
	v_xor_b32_e32 v183, 1, v183
	v_and_b32_e32 v166, 0xfffff, v167
	s_delay_alu instid0(VALU_DEP_1) | instskip(NEXT) | instid1(VALU_DEP_3)
	v_add_nc_u32_e32 v167, v166, v40
                                        ; implicit-def: $vgpr166
	v_cmpx_ne_u32_e64 v181, v183
	s_xor_b32 s11, exec_lo, s11
; %bb.4305:                             ;   in Loop: Header=BB6_3759 Depth=2
	s_delay_alu instid0(VALU_DEP_2) | instskip(SKIP_2) | instid1(VALU_DEP_2)
	v_cmp_lt_u32_e32 vcc_lo, 0xffffff, v167
	v_sub_nc_u32_e32 v166, v181, v183
	v_cndmask_b32_e64 v181, 0, 1, vcc_lo
	v_add_co_ci_u32_e32 v166, vcc_lo, 0, v166, vcc_lo
	s_delay_alu instid0(VALU_DEP_2)
	v_lshrrev_b32_e32 v167, v181, v167
; %bb.4306:                             ;   in Loop: Header=BB6_3759 Depth=2
	s_and_not1_saveexec_b32 s11, s11
; %bb.4307:                             ;   in Loop: Header=BB6_3759 Depth=2
	s_delay_alu instid0(VALU_DEP_1)
	v_bfe_u32 v166, v167, 23, 1
; %bb.4308:                             ;   in Loop: Header=BB6_3759 Depth=2
	s_or_b32 exec_lo, exec_lo, s11
	v_lshrrev_b32_e32 v167, 20, v167
	s_delay_alu instid0(VALU_DEP_2) | instskip(SKIP_2) | instid1(VALU_DEP_2)
	v_cmp_gt_i32_e32 vcc_lo, 16, v166
	v_lshrrev_b32_e32 v178, 24, v178
	v_min_i32_e32 v181, 15, v166
	v_dual_cndmask_b32 v167, 7, v167 :: v_dual_and_b32 v178, 0x80, v178
	s_delay_alu instid0(VALU_DEP_1) | instskip(SKIP_1) | instid1(VALU_DEP_2)
	v_or_b32_e32 v166, v166, v167
	v_and_b32_e32 v183, 7, v167
	v_cmp_ne_u32_e32 vcc_lo, 0, v166
	v_lshlrev_b32_e32 v181, 3, v181
	s_delay_alu instid0(VALU_DEP_1) | instskip(NEXT) | instid1(VALU_DEP_1)
	v_or3_b32 v167, v181, v178, v183
	v_cndmask_b32_e32 v166, 0, v167, vcc_lo
.LBB6_4309:                             ;   in Loop: Header=BB6_3759 Depth=2
	s_or_b32 exec_lo, exec_lo, s28
.LBB6_4310:                             ;   in Loop: Header=BB6_3759 Depth=2
	s_delay_alu instid0(SALU_CYCLE_1) | instskip(NEXT) | instid1(SALU_CYCLE_1)
	s_or_b32 exec_lo, exec_lo, s27
	s_and_not1_b32 vcc_lo, exec_lo, s25
	s_cbranch_vccnz .LBB6_4320
; %bb.4311:                             ;   in Loop: Header=BB6_3759 Depth=2
	v_and_b32_e32 v178, 0xff, v164
	s_mov_b32 s11, 0
	s_mov_b32 s28, exec_lo
                                        ; implicit-def: $sgpr27
	s_delay_alu instid0(VALU_DEP_1)
	v_cmpx_lt_i16_e64 0x7f, v178
	s_xor_b32 s28, exec_lo, s28
	s_cbranch_execnz .LBB6_4989
; %bb.4312:                             ;   in Loop: Header=BB6_3759 Depth=2
	s_or_saveexec_b32 s28, s28
	v_mov_b32_e32 v167, s27
	s_xor_b32 exec_lo, exec_lo, s28
	s_cbranch_execnz .LBB6_4992
.LBB6_4313:                             ;   in Loop: Header=BB6_3759 Depth=2
	s_or_b32 exec_lo, exec_lo, s28
	s_and_saveexec_b32 s27, s11
	s_cbranch_execz .LBB6_4315
.LBB6_4314:                             ;   in Loop: Header=BB6_3759 Depth=2
	v_lshrrev_b16 v183, 3, v164
	s_delay_alu instid0(VALU_DEP_1) | instskip(NEXT) | instid1(VALU_DEP_1)
	v_and_b32_e32 v183, 15, v183
	v_cmp_eq_u32_e32 vcc_lo, 0, v183
	v_and_b32_e32 v167, 7, v164
	s_delay_alu instid0(VALU_DEP_1) | instskip(NEXT) | instid1(VALU_DEP_1)
	v_clz_i32_u32_e32 v178, v167
	v_min_u32_e32 v178, 32, v178
	s_delay_alu instid0(VALU_DEP_1) | instskip(SKIP_1) | instid1(VALU_DEP_1)
	v_subrev_nc_u32_e32 v181, 28, v178
	v_sub_nc_u32_e32 v178, 29, v178
	v_dual_cndmask_b32 v178, v183, v178 :: v_dual_lshlrev_b32 v181, v181, v164
	s_delay_alu instid0(VALU_DEP_1) | instskip(SKIP_1) | instid1(VALU_DEP_3)
	v_and_b32_e32 v181, 7, v181
	v_lshlrev_b32_e32 v40, 24, v164
	v_lshl_add_u32 v178, v178, 23, 0x3b800000
	s_delay_alu instid0(VALU_DEP_3) | instskip(NEXT) | instid1(VALU_DEP_3)
	v_cndmask_b32_e32 v167, v167, v181, vcc_lo
	v_and_b32_e32 v181, 0x80000000, v40
	s_delay_alu instid0(VALU_DEP_2) | instskip(NEXT) | instid1(VALU_DEP_1)
	v_lshlrev_b32_e32 v167, 20, v167
	v_or3_b32 v167, v181, v178, v167
.LBB6_4315:                             ;   in Loop: Header=BB6_3759 Depth=2
	s_or_b32 exec_lo, exec_lo, s27
	s_waitcnt vmcnt(12) lgkmcnt(12)
	v_and_b32_e32 v181, 0xff, v163
	s_mov_b32 s11, 0
	s_mov_b32 s28, exec_lo
                                        ; implicit-def: $sgpr27
	s_delay_alu instid0(VALU_DEP_1)
	v_cmpx_lt_i16_e64 0x7f, v181
	s_xor_b32 s28, exec_lo, s28
	s_cbranch_execnz .LBB6_4993
; %bb.4316:                             ;   in Loop: Header=BB6_3759 Depth=2
	s_or_saveexec_b32 s28, s28
	v_mov_b32_e32 v178, s27
	s_xor_b32 exec_lo, exec_lo, s28
	s_cbranch_execnz .LBB6_4996
.LBB6_4317:                             ;   in Loop: Header=BB6_3759 Depth=2
	s_or_b32 exec_lo, exec_lo, s28
	s_and_saveexec_b32 s27, s11
	s_cbranch_execz .LBB6_4319
.LBB6_4318:                             ;   in Loop: Header=BB6_3759 Depth=2
	v_lshrrev_b16 v40, 3, v163
	v_lshlrev_b32_e32 v41, 24, v163
	s_delay_alu instid0(VALU_DEP_2) | instskip(NEXT) | instid1(VALU_DEP_1)
	v_and_b32_e32 v40, 15, v40
	v_cmp_eq_u32_e32 vcc_lo, 0, v40
	v_and_b32_e32 v178, 7, v163
	s_delay_alu instid0(VALU_DEP_1) | instskip(NEXT) | instid1(VALU_DEP_1)
	v_clz_i32_u32_e32 v181, v178
	v_min_u32_e32 v181, 32, v181
	s_delay_alu instid0(VALU_DEP_1) | instskip(SKIP_1) | instid1(VALU_DEP_2)
	v_subrev_nc_u32_e32 v183, 28, v181
	v_sub_nc_u32_e32 v181, 29, v181
	v_lshlrev_b32_e32 v183, v183, v163
	s_delay_alu instid0(VALU_DEP_2) | instskip(NEXT) | instid1(VALU_DEP_2)
	v_cndmask_b32_e32 v181, v40, v181, vcc_lo
	v_and_b32_e32 v183, 7, v183
	s_delay_alu instid0(VALU_DEP_2) | instskip(NEXT) | instid1(VALU_DEP_2)
	v_lshl_add_u32 v181, v181, 23, 0x3b800000
	v_dual_cndmask_b32 v178, v178, v183 :: v_dual_and_b32 v183, 0x80000000, v41
	s_delay_alu instid0(VALU_DEP_1) | instskip(NEXT) | instid1(VALU_DEP_1)
	v_lshlrev_b32_e32 v178, 20, v178
	v_or3_b32 v178, v183, v181, v178
.LBB6_4319:                             ;   in Loop: Header=BB6_3759 Depth=2
	s_or_b32 exec_lo, exec_lo, s27
	s_delay_alu instid0(VALU_DEP_1) | instskip(SKIP_1) | instid1(VALU_DEP_1)
	v_dual_max_f32 v178, v178, v178 :: v_dual_max_f32 v167, v167, v167
	s_mov_b32 s11, 0
	v_max_f32_e32 v167, v167, v178
	s_branch .LBB6_4321
.LBB6_4320:                             ;   in Loop: Header=BB6_3759 Depth=2
	s_mov_b32 s11, -1
                                        ; implicit-def: $vgpr167
.LBB6_4321:                             ;   in Loop: Header=BB6_3759 Depth=2
	s_delay_alu instid0(SALU_CYCLE_1)
	s_and_b32 vcc_lo, exec_lo, s11
	s_cbranch_vccz .LBB6_4331
; %bb.4322:                             ;   in Loop: Header=BB6_3759 Depth=2
	v_and_b32_e32 v178, 0xff, v164
	s_mov_b32 s11, 0
	s_mov_b32 s28, exec_lo
                                        ; implicit-def: $sgpr27
	s_delay_alu instid0(VALU_DEP_1)
	v_cmpx_lt_i16_e64 0x7f, v178
	s_xor_b32 s28, exec_lo, s28
	s_cbranch_execnz .LBB6_4997
; %bb.4323:                             ;   in Loop: Header=BB6_3759 Depth=2
	s_or_saveexec_b32 s28, s28
	v_mov_b32_e32 v167, s27
	s_xor_b32 exec_lo, exec_lo, s28
	s_cbranch_execnz .LBB6_5000
.LBB6_4324:                             ;   in Loop: Header=BB6_3759 Depth=2
	s_or_b32 exec_lo, exec_lo, s28
	s_and_saveexec_b32 s27, s11
	s_cbranch_execz .LBB6_4326
.LBB6_4325:                             ;   in Loop: Header=BB6_3759 Depth=2
	v_lshrrev_b16 v183, 3, v164
	s_delay_alu instid0(VALU_DEP_1) | instskip(NEXT) | instid1(VALU_DEP_1)
	v_and_b32_e32 v183, 15, v183
	v_cmp_eq_u32_e32 vcc_lo, 0, v183
	v_and_b32_e32 v167, 7, v164
	s_delay_alu instid0(VALU_DEP_1) | instskip(NEXT) | instid1(VALU_DEP_1)
	v_clz_i32_u32_e32 v178, v167
	v_min_u32_e32 v178, 32, v178
	s_delay_alu instid0(VALU_DEP_1) | instskip(SKIP_1) | instid1(VALU_DEP_1)
	v_subrev_nc_u32_e32 v181, 28, v178
	v_sub_nc_u32_e32 v178, 29, v178
	v_dual_cndmask_b32 v178, v183, v178 :: v_dual_lshlrev_b32 v181, v181, v164
	s_delay_alu instid0(VALU_DEP_1) | instskip(SKIP_1) | instid1(VALU_DEP_3)
	v_and_b32_e32 v181, 7, v181
	v_lshlrev_b32_e32 v164, 24, v164
	v_lshl_add_u32 v178, v178, 23, 0x3b800000
	s_delay_alu instid0(VALU_DEP_2) | instskip(NEXT) | instid1(VALU_DEP_1)
	v_dual_cndmask_b32 v167, v167, v181 :: v_dual_and_b32 v164, 0x80000000, v164
	v_lshlrev_b32_e32 v167, 20, v167
	s_delay_alu instid0(VALU_DEP_1)
	v_or3_b32 v167, v164, v178, v167
.LBB6_4326:                             ;   in Loop: Header=BB6_3759 Depth=2
	s_or_b32 exec_lo, exec_lo, s27
	s_waitcnt vmcnt(12) lgkmcnt(12)
	v_and_b32_e32 v178, 0xff, v163
	s_mov_b32 s11, 0
	s_mov_b32 s28, exec_lo
                                        ; implicit-def: $sgpr27
	s_delay_alu instid0(VALU_DEP_1)
	v_cmpx_lt_i16_e64 0x7f, v178
	s_xor_b32 s28, exec_lo, s28
	s_cbranch_execnz .LBB6_5001
; %bb.4327:                             ;   in Loop: Header=BB6_3759 Depth=2
	s_or_saveexec_b32 s28, s28
	v_mov_b32_e32 v164, s27
	s_xor_b32 exec_lo, exec_lo, s28
	s_cbranch_execnz .LBB6_5004
.LBB6_4328:                             ;   in Loop: Header=BB6_3759 Depth=2
	s_or_b32 exec_lo, exec_lo, s28
	s_and_saveexec_b32 s27, s11
	s_cbranch_execz .LBB6_4330
.LBB6_4329:                             ;   in Loop: Header=BB6_3759 Depth=2
	v_and_b32_e32 v164, 7, v163
	v_lshrrev_b16 v183, 3, v163
	s_delay_alu instid0(VALU_DEP_2) | instskip(NEXT) | instid1(VALU_DEP_2)
	v_clz_i32_u32_e32 v178, v164
	v_and_b32_e32 v183, 15, v183
	s_delay_alu instid0(VALU_DEP_2) | instskip(NEXT) | instid1(VALU_DEP_2)
	v_min_u32_e32 v178, 32, v178
	v_cmp_eq_u32_e32 vcc_lo, 0, v183
	s_delay_alu instid0(VALU_DEP_2) | instskip(SKIP_1) | instid1(VALU_DEP_1)
	v_subrev_nc_u32_e32 v181, 28, v178
	v_sub_nc_u32_e32 v178, 29, v178
	v_dual_cndmask_b32 v178, v183, v178 :: v_dual_lshlrev_b32 v181, v181, v163
	v_lshlrev_b32_e32 v163, 24, v163
	s_delay_alu instid0(VALU_DEP_2) | instskip(NEXT) | instid1(VALU_DEP_3)
	v_and_b32_e32 v181, 7, v181
	v_lshl_add_u32 v178, v178, 23, 0x3b800000
	s_delay_alu instid0(VALU_DEP_2) | instskip(NEXT) | instid1(VALU_DEP_1)
	v_dual_cndmask_b32 v164, v164, v181 :: v_dual_and_b32 v163, 0x80000000, v163
	v_lshlrev_b32_e32 v164, 20, v164
	s_delay_alu instid0(VALU_DEP_1)
	v_or3_b32 v164, v163, v178, v164
.LBB6_4330:                             ;   in Loop: Header=BB6_3759 Depth=2
	s_or_b32 exec_lo, exec_lo, s27
	s_delay_alu instid0(VALU_DEP_1) | instskip(NEXT) | instid1(VALU_DEP_1)
	v_dual_max_f32 v163, v164, v164 :: v_dual_max_f32 v164, v167, v167
	v_min_f32_e32 v167, v164, v163
.LBB6_4331:                             ;   in Loop: Header=BB6_3759 Depth=2
	s_waitcnt vmcnt(12) lgkmcnt(12)
	s_delay_alu instid0(VALU_DEP_1) | instskip(NEXT) | instid1(VALU_DEP_1)
	v_and_b32_e32 v163, 0x7f800000, v167
	v_cmp_ne_u32_e32 vcc_lo, 0x7f800000, v163
	v_mov_b32_e32 v163, 0x80
	s_and_saveexec_b32 s27, vcc_lo
	s_cbranch_execz .LBB6_4339
; %bb.4332:                             ;   in Loop: Header=BB6_3759 Depth=2
	v_mov_b32_e32 v163, 0
	s_mov_b32 s28, exec_lo
	v_cmpx_ne_u32_e32 0, v167
	s_cbranch_execz .LBB6_4338
; %bb.4333:                             ;   in Loop: Header=BB6_3759 Depth=2
	v_bfe_u32 v163, v167, 23, 8
	v_and_b32_e32 v164, 0x7fffff, v167
	s_delay_alu instid0(VALU_DEP_2) | instskip(SKIP_1) | instid1(VALU_DEP_3)
	v_sub_nc_u32_e32 v178, 0x78, v163
	v_cmp_gt_u32_e32 vcc_lo, 0x79, v163
	v_or_b32_e32 v181, 0x800000, v164
	s_delay_alu instid0(VALU_DEP_3) | instskip(SKIP_2) | instid1(VALU_DEP_3)
	v_cndmask_b32_e32 v178, 0, v178, vcc_lo
	v_cmp_eq_u32_e32 vcc_lo, 0, v163
	v_add_nc_u32_e32 v163, 0xffffff89, v163
	v_cndmask_b32_e64 v178, v178, 0x77, vcc_lo
	v_cndmask_b32_e32 v164, v181, v164, vcc_lo
	s_delay_alu instid0(VALU_DEP_3) | instskip(NEXT) | instid1(VALU_DEP_3)
	v_cndmask_b32_e64 v163, v163, 0xffffff8a, vcc_lo
	v_lshl_add_u32 v181, 0x100000, v178, -1
	s_delay_alu instid0(VALU_DEP_3) | instskip(SKIP_1) | instid1(VALU_DEP_4)
	v_lshrrev_b32_e32 v183, v178, v164
	v_lshlrev_b32_e64 v41, v178, 0x80000
	v_add_nc_u32_e32 v178, v178, v163
	s_delay_alu instid0(VALU_DEP_4) | instskip(NEXT) | instid1(VALU_DEP_4)
	v_and_b32_e32 v164, v181, v164
	v_bfe_u32 v40, v183, 20, 1
	s_delay_alu instid0(VALU_DEP_2) | instskip(NEXT) | instid1(VALU_DEP_2)
	v_cmp_eq_u32_e64 s11, v164, v41
	v_add_nc_u32_e32 v181, -1, v40
	s_delay_alu instid0(VALU_DEP_1) | instskip(SKIP_2) | instid1(VALU_DEP_2)
	v_cndmask_b32_e64 v164, 0, v181, s11
	v_lshrrev_b32_e32 v181, 23, v183
	s_mov_b32 s11, exec_lo
	v_add_nc_u32_e32 v164, v164, v183
	s_delay_alu instid0(VALU_DEP_2) | instskip(NEXT) | instid1(VALU_DEP_2)
	v_xor_b32_e32 v181, 1, v181
	v_and_b32_e32 v163, 0xfffff, v164
	s_delay_alu instid0(VALU_DEP_1) | instskip(NEXT) | instid1(VALU_DEP_3)
	v_add_nc_u32_e32 v164, v163, v183
                                        ; implicit-def: $vgpr163
	v_cmpx_ne_u32_e64 v178, v181
	s_xor_b32 s11, exec_lo, s11
; %bb.4334:                             ;   in Loop: Header=BB6_3759 Depth=2
	s_delay_alu instid0(VALU_DEP_2) | instskip(SKIP_2) | instid1(VALU_DEP_2)
	v_cmp_lt_u32_e32 vcc_lo, 0xffffff, v164
	v_sub_nc_u32_e32 v163, v178, v181
	v_cndmask_b32_e64 v178, 0, 1, vcc_lo
	v_add_co_ci_u32_e32 v163, vcc_lo, 0, v163, vcc_lo
	s_delay_alu instid0(VALU_DEP_2)
	v_lshrrev_b32_e32 v164, v178, v164
; %bb.4335:                             ;   in Loop: Header=BB6_3759 Depth=2
	s_and_not1_saveexec_b32 s11, s11
; %bb.4336:                             ;   in Loop: Header=BB6_3759 Depth=2
	s_delay_alu instid0(VALU_DEP_1)
	v_bfe_u32 v163, v164, 23, 1
; %bb.4337:                             ;   in Loop: Header=BB6_3759 Depth=2
	s_or_b32 exec_lo, exec_lo, s11
	v_lshrrev_b32_e32 v164, 20, v164
	s_delay_alu instid0(VALU_DEP_2) | instskip(SKIP_2) | instid1(VALU_DEP_2)
	v_cmp_gt_i32_e32 vcc_lo, 16, v163
	v_lshrrev_b32_e32 v167, 24, v167
	v_min_i32_e32 v178, 15, v163
	v_dual_cndmask_b32 v164, 7, v164 :: v_dual_and_b32 v167, 0x80, v167
	s_delay_alu instid0(VALU_DEP_1) | instskip(SKIP_1) | instid1(VALU_DEP_2)
	v_or_b32_e32 v163, v163, v164
	v_and_b32_e32 v181, 7, v164
	v_cmp_ne_u32_e32 vcc_lo, 0, v163
	v_lshlrev_b32_e32 v178, 3, v178
	s_delay_alu instid0(VALU_DEP_1) | instskip(NEXT) | instid1(VALU_DEP_1)
	v_or3_b32 v164, v178, v167, v181
	v_cndmask_b32_e32 v163, 0, v164, vcc_lo
.LBB6_4338:                             ;   in Loop: Header=BB6_3759 Depth=2
	s_or_b32 exec_lo, exec_lo, s28
.LBB6_4339:                             ;   in Loop: Header=BB6_3759 Depth=2
	s_delay_alu instid0(SALU_CYCLE_1) | instskip(NEXT) | instid1(SALU_CYCLE_1)
	s_or_b32 exec_lo, exec_lo, s27
	s_and_not1_b32 vcc_lo, exec_lo, s25
	s_cbranch_vccnz .LBB6_4349
; %bb.4340:                             ;   in Loop: Header=BB6_3759 Depth=2
	v_and_b32_e32 v167, 0xff, v161
	s_mov_b32 s11, 0
	s_mov_b32 s28, exec_lo
                                        ; implicit-def: $sgpr27
	s_delay_alu instid0(VALU_DEP_1)
	v_cmpx_lt_i16_e64 0x7f, v167
	s_xor_b32 s28, exec_lo, s28
	s_cbranch_execnz .LBB6_5005
; %bb.4341:                             ;   in Loop: Header=BB6_3759 Depth=2
	s_or_saveexec_b32 s28, s28
	v_mov_b32_e32 v164, s27
	s_xor_b32 exec_lo, exec_lo, s28
	s_cbranch_execnz .LBB6_5008
.LBB6_4342:                             ;   in Loop: Header=BB6_3759 Depth=2
	s_or_b32 exec_lo, exec_lo, s28
	s_and_saveexec_b32 s27, s11
	s_cbranch_execz .LBB6_4344
.LBB6_4343:                             ;   in Loop: Header=BB6_3759 Depth=2
	v_lshrrev_b16 v181, 3, v161
	v_lshlrev_b32_e32 v183, 24, v161
	s_delay_alu instid0(VALU_DEP_2) | instskip(NEXT) | instid1(VALU_DEP_1)
	v_and_b32_e32 v181, 15, v181
	v_cmp_eq_u32_e32 vcc_lo, 0, v181
	v_and_b32_e32 v164, 7, v161
	s_delay_alu instid0(VALU_DEP_1) | instskip(NEXT) | instid1(VALU_DEP_1)
	v_clz_i32_u32_e32 v167, v164
	v_min_u32_e32 v167, 32, v167
	s_delay_alu instid0(VALU_DEP_1) | instskip(SKIP_1) | instid1(VALU_DEP_1)
	v_subrev_nc_u32_e32 v178, 28, v167
	v_sub_nc_u32_e32 v167, 29, v167
	v_dual_cndmask_b32 v167, v181, v167 :: v_dual_lshlrev_b32 v178, v178, v161
	s_delay_alu instid0(VALU_DEP_1) | instskip(NEXT) | instid1(VALU_DEP_2)
	v_and_b32_e32 v178, 7, v178
	v_lshl_add_u32 v167, v167, 23, 0x3b800000
	s_delay_alu instid0(VALU_DEP_2) | instskip(SKIP_1) | instid1(VALU_DEP_2)
	v_cndmask_b32_e32 v164, v164, v178, vcc_lo
	v_and_b32_e32 v178, 0x80000000, v183
	v_lshlrev_b32_e32 v164, 20, v164
	s_delay_alu instid0(VALU_DEP_1)
	v_or3_b32 v164, v178, v167, v164
.LBB6_4344:                             ;   in Loop: Header=BB6_3759 Depth=2
	s_or_b32 exec_lo, exec_lo, s27
	s_waitcnt vmcnt(11) lgkmcnt(11)
	v_and_b32_e32 v178, 0xff, v160
	s_mov_b32 s11, 0
	s_mov_b32 s28, exec_lo
                                        ; implicit-def: $sgpr27
	s_delay_alu instid0(VALU_DEP_1)
	v_cmpx_lt_i16_e64 0x7f, v178
	s_xor_b32 s28, exec_lo, s28
	s_cbranch_execnz .LBB6_5009
; %bb.4345:                             ;   in Loop: Header=BB6_3759 Depth=2
	s_or_saveexec_b32 s28, s28
	v_mov_b32_e32 v167, s27
	s_xor_b32 exec_lo, exec_lo, s28
	s_cbranch_execnz .LBB6_5012
.LBB6_4346:                             ;   in Loop: Header=BB6_3759 Depth=2
	s_or_b32 exec_lo, exec_lo, s28
	s_and_saveexec_b32 s27, s11
	s_cbranch_execz .LBB6_4348
.LBB6_4347:                             ;   in Loop: Header=BB6_3759 Depth=2
	v_lshrrev_b16 v183, 3, v160
	s_delay_alu instid0(VALU_DEP_1) | instskip(NEXT) | instid1(VALU_DEP_1)
	v_and_b32_e32 v183, 15, v183
	v_cmp_eq_u32_e32 vcc_lo, 0, v183
	v_and_b32_e32 v167, 7, v160
	s_delay_alu instid0(VALU_DEP_1) | instskip(NEXT) | instid1(VALU_DEP_1)
	v_clz_i32_u32_e32 v178, v167
	v_min_u32_e32 v178, 32, v178
	s_delay_alu instid0(VALU_DEP_1) | instskip(SKIP_1) | instid1(VALU_DEP_1)
	v_subrev_nc_u32_e32 v181, 28, v178
	v_sub_nc_u32_e32 v178, 29, v178
	v_dual_cndmask_b32 v178, v183, v178 :: v_dual_lshlrev_b32 v181, v181, v160
	s_delay_alu instid0(VALU_DEP_1) | instskip(SKIP_1) | instid1(VALU_DEP_3)
	v_and_b32_e32 v181, 7, v181
	v_lshlrev_b32_e32 v40, 24, v160
	v_lshl_add_u32 v178, v178, 23, 0x3b800000
	s_delay_alu instid0(VALU_DEP_3) | instskip(NEXT) | instid1(VALU_DEP_3)
	v_cndmask_b32_e32 v167, v167, v181, vcc_lo
	v_and_b32_e32 v181, 0x80000000, v40
	s_delay_alu instid0(VALU_DEP_2) | instskip(NEXT) | instid1(VALU_DEP_1)
	v_lshlrev_b32_e32 v167, 20, v167
	v_or3_b32 v167, v181, v178, v167
.LBB6_4348:                             ;   in Loop: Header=BB6_3759 Depth=2
	s_or_b32 exec_lo, exec_lo, s27
	s_delay_alu instid0(VALU_DEP_1) | instskip(SKIP_1) | instid1(VALU_DEP_1)
	v_dual_max_f32 v167, v167, v167 :: v_dual_max_f32 v164, v164, v164
	s_mov_b32 s11, 0
	v_max_f32_e32 v164, v164, v167
	s_branch .LBB6_4350
.LBB6_4349:                             ;   in Loop: Header=BB6_3759 Depth=2
	s_mov_b32 s11, -1
                                        ; implicit-def: $vgpr164
.LBB6_4350:                             ;   in Loop: Header=BB6_3759 Depth=2
	s_delay_alu instid0(SALU_CYCLE_1)
	s_and_b32 vcc_lo, exec_lo, s11
	s_cbranch_vccz .LBB6_4360
; %bb.4351:                             ;   in Loop: Header=BB6_3759 Depth=2
	v_and_b32_e32 v167, 0xff, v161
	s_mov_b32 s11, 0
	s_mov_b32 s28, exec_lo
                                        ; implicit-def: $sgpr27
	s_delay_alu instid0(VALU_DEP_1)
	v_cmpx_lt_i16_e64 0x7f, v167
	s_xor_b32 s28, exec_lo, s28
	s_cbranch_execnz .LBB6_5013
; %bb.4352:                             ;   in Loop: Header=BB6_3759 Depth=2
	s_or_saveexec_b32 s28, s28
	v_mov_b32_e32 v164, s27
	s_xor_b32 exec_lo, exec_lo, s28
	s_cbranch_execnz .LBB6_5016
.LBB6_4353:                             ;   in Loop: Header=BB6_3759 Depth=2
	s_or_b32 exec_lo, exec_lo, s28
	s_and_saveexec_b32 s27, s11
	s_cbranch_execz .LBB6_4355
.LBB6_4354:                             ;   in Loop: Header=BB6_3759 Depth=2
	v_lshrrev_b16 v181, 3, v161
	s_delay_alu instid0(VALU_DEP_1) | instskip(NEXT) | instid1(VALU_DEP_1)
	v_and_b32_e32 v181, 15, v181
	v_cmp_eq_u32_e32 vcc_lo, 0, v181
	v_and_b32_e32 v164, 7, v161
	s_delay_alu instid0(VALU_DEP_1) | instskip(NEXT) | instid1(VALU_DEP_1)
	v_clz_i32_u32_e32 v167, v164
	v_min_u32_e32 v167, 32, v167
	s_delay_alu instid0(VALU_DEP_1) | instskip(SKIP_1) | instid1(VALU_DEP_1)
	v_subrev_nc_u32_e32 v178, 28, v167
	v_sub_nc_u32_e32 v167, 29, v167
	v_dual_cndmask_b32 v167, v181, v167 :: v_dual_lshlrev_b32 v178, v178, v161
	v_lshlrev_b32_e32 v161, 24, v161
	s_delay_alu instid0(VALU_DEP_2) | instskip(NEXT) | instid1(VALU_DEP_3)
	v_and_b32_e32 v178, 7, v178
	v_lshl_add_u32 v167, v167, 23, 0x3b800000
	s_delay_alu instid0(VALU_DEP_2) | instskip(NEXT) | instid1(VALU_DEP_1)
	v_dual_cndmask_b32 v164, v164, v178 :: v_dual_and_b32 v161, 0x80000000, v161
	v_lshlrev_b32_e32 v164, 20, v164
	s_delay_alu instid0(VALU_DEP_1)
	v_or3_b32 v164, v161, v167, v164
.LBB6_4355:                             ;   in Loop: Header=BB6_3759 Depth=2
	s_or_b32 exec_lo, exec_lo, s27
	s_waitcnt vmcnt(11) lgkmcnt(11)
	v_and_b32_e32 v167, 0xff, v160
	s_mov_b32 s11, 0
	s_mov_b32 s28, exec_lo
                                        ; implicit-def: $sgpr27
	s_delay_alu instid0(VALU_DEP_1)
	v_cmpx_lt_i16_e64 0x7f, v167
	s_xor_b32 s28, exec_lo, s28
	s_cbranch_execnz .LBB6_5017
; %bb.4356:                             ;   in Loop: Header=BB6_3759 Depth=2
	s_or_saveexec_b32 s28, s28
	v_mov_b32_e32 v161, s27
	s_xor_b32 exec_lo, exec_lo, s28
	s_cbranch_execnz .LBB6_5020
.LBB6_4357:                             ;   in Loop: Header=BB6_3759 Depth=2
	s_or_b32 exec_lo, exec_lo, s28
	s_and_saveexec_b32 s27, s11
	s_cbranch_execz .LBB6_4359
.LBB6_4358:                             ;   in Loop: Header=BB6_3759 Depth=2
	v_and_b32_e32 v161, 7, v160
	v_lshrrev_b16 v181, 3, v160
	s_delay_alu instid0(VALU_DEP_2) | instskip(NEXT) | instid1(VALU_DEP_2)
	v_clz_i32_u32_e32 v167, v161
	v_and_b32_e32 v181, 15, v181
	s_delay_alu instid0(VALU_DEP_2) | instskip(NEXT) | instid1(VALU_DEP_2)
	v_min_u32_e32 v167, 32, v167
	v_cmp_eq_u32_e32 vcc_lo, 0, v181
	s_delay_alu instid0(VALU_DEP_2) | instskip(SKIP_1) | instid1(VALU_DEP_1)
	v_subrev_nc_u32_e32 v178, 28, v167
	v_sub_nc_u32_e32 v167, 29, v167
	v_dual_cndmask_b32 v167, v181, v167 :: v_dual_lshlrev_b32 v178, v178, v160
	s_delay_alu instid0(VALU_DEP_1) | instskip(SKIP_1) | instid1(VALU_DEP_3)
	v_and_b32_e32 v178, 7, v178
	v_lshlrev_b32_e32 v160, 24, v160
	v_lshl_add_u32 v167, v167, 23, 0x3b800000
	s_delay_alu instid0(VALU_DEP_2) | instskip(NEXT) | instid1(VALU_DEP_1)
	v_dual_cndmask_b32 v161, v161, v178 :: v_dual_and_b32 v160, 0x80000000, v160
	v_lshlrev_b32_e32 v161, 20, v161
	s_delay_alu instid0(VALU_DEP_1)
	v_or3_b32 v161, v160, v167, v161
.LBB6_4359:                             ;   in Loop: Header=BB6_3759 Depth=2
	s_or_b32 exec_lo, exec_lo, s27
	s_delay_alu instid0(VALU_DEP_1) | instskip(NEXT) | instid1(VALU_DEP_1)
	v_dual_max_f32 v160, v161, v161 :: v_dual_max_f32 v161, v164, v164
	v_min_f32_e32 v164, v161, v160
.LBB6_4360:                             ;   in Loop: Header=BB6_3759 Depth=2
	s_waitcnt vmcnt(11) lgkmcnt(11)
	s_delay_alu instid0(VALU_DEP_1) | instskip(NEXT) | instid1(VALU_DEP_1)
	v_and_b32_e32 v160, 0x7f800000, v164
	v_cmp_ne_u32_e32 vcc_lo, 0x7f800000, v160
	v_mov_b32_e32 v160, 0x80
	s_and_saveexec_b32 s27, vcc_lo
	s_cbranch_execz .LBB6_4368
; %bb.4361:                             ;   in Loop: Header=BB6_3759 Depth=2
	v_mov_b32_e32 v160, 0
	s_mov_b32 s28, exec_lo
	v_cmpx_ne_u32_e32 0, v164
	s_cbranch_execz .LBB6_4367
; %bb.4362:                             ;   in Loop: Header=BB6_3759 Depth=2
	v_bfe_u32 v160, v164, 23, 8
	v_and_b32_e32 v161, 0x7fffff, v164
	s_delay_alu instid0(VALU_DEP_2) | instskip(SKIP_1) | instid1(VALU_DEP_3)
	v_sub_nc_u32_e32 v167, 0x78, v160
	v_cmp_gt_u32_e32 vcc_lo, 0x79, v160
	v_or_b32_e32 v178, 0x800000, v161
	s_delay_alu instid0(VALU_DEP_3) | instskip(SKIP_2) | instid1(VALU_DEP_3)
	v_cndmask_b32_e32 v167, 0, v167, vcc_lo
	v_cmp_eq_u32_e32 vcc_lo, 0, v160
	v_add_nc_u32_e32 v160, 0xffffff89, v160
	v_cndmask_b32_e64 v167, v167, 0x77, vcc_lo
	v_cndmask_b32_e32 v161, v178, v161, vcc_lo
	s_delay_alu instid0(VALU_DEP_3) | instskip(NEXT) | instid1(VALU_DEP_3)
	v_cndmask_b32_e64 v160, v160, 0xffffff8a, vcc_lo
	v_lshl_add_u32 v178, 0x100000, v167, -1
	s_delay_alu instid0(VALU_DEP_3) | instskip(SKIP_1) | instid1(VALU_DEP_4)
	v_lshrrev_b32_e32 v181, v167, v161
	v_lshlrev_b32_e64 v40, v167, 0x80000
	v_add_nc_u32_e32 v167, v167, v160
	s_delay_alu instid0(VALU_DEP_4) | instskip(NEXT) | instid1(VALU_DEP_4)
	v_and_b32_e32 v161, v178, v161
	v_bfe_u32 v183, v181, 20, 1
	s_delay_alu instid0(VALU_DEP_2) | instskip(NEXT) | instid1(VALU_DEP_2)
	v_cmp_eq_u32_e64 s11, v161, v40
	v_add_nc_u32_e32 v178, -1, v183
	s_delay_alu instid0(VALU_DEP_1) | instskip(SKIP_2) | instid1(VALU_DEP_2)
	v_cndmask_b32_e64 v161, 0, v178, s11
	v_lshrrev_b32_e32 v178, 23, v181
	s_mov_b32 s11, exec_lo
	v_add_nc_u32_e32 v161, v161, v181
	s_delay_alu instid0(VALU_DEP_2) | instskip(NEXT) | instid1(VALU_DEP_2)
	v_xor_b32_e32 v178, 1, v178
	v_and_b32_e32 v160, 0xfffff, v161
	s_delay_alu instid0(VALU_DEP_1) | instskip(NEXT) | instid1(VALU_DEP_3)
	v_add_nc_u32_e32 v161, v160, v181
                                        ; implicit-def: $vgpr160
	v_cmpx_ne_u32_e64 v167, v178
	s_xor_b32 s11, exec_lo, s11
; %bb.4363:                             ;   in Loop: Header=BB6_3759 Depth=2
	s_delay_alu instid0(VALU_DEP_2) | instskip(SKIP_2) | instid1(VALU_DEP_2)
	v_cmp_lt_u32_e32 vcc_lo, 0xffffff, v161
	v_sub_nc_u32_e32 v160, v167, v178
	v_cndmask_b32_e64 v167, 0, 1, vcc_lo
	v_add_co_ci_u32_e32 v160, vcc_lo, 0, v160, vcc_lo
	s_delay_alu instid0(VALU_DEP_2)
	v_lshrrev_b32_e32 v161, v167, v161
; %bb.4364:                             ;   in Loop: Header=BB6_3759 Depth=2
	s_and_not1_saveexec_b32 s11, s11
; %bb.4365:                             ;   in Loop: Header=BB6_3759 Depth=2
	s_delay_alu instid0(VALU_DEP_1)
	v_bfe_u32 v160, v161, 23, 1
; %bb.4366:                             ;   in Loop: Header=BB6_3759 Depth=2
	s_or_b32 exec_lo, exec_lo, s11
	v_lshrrev_b32_e32 v161, 20, v161
	s_delay_alu instid0(VALU_DEP_2) | instskip(SKIP_2) | instid1(VALU_DEP_2)
	v_cmp_gt_i32_e32 vcc_lo, 16, v160
	v_lshrrev_b32_e32 v164, 24, v164
	v_min_i32_e32 v167, 15, v160
	v_dual_cndmask_b32 v161, 7, v161 :: v_dual_and_b32 v164, 0x80, v164
	s_delay_alu instid0(VALU_DEP_1) | instskip(SKIP_1) | instid1(VALU_DEP_2)
	v_or_b32_e32 v160, v160, v161
	v_and_b32_e32 v178, 7, v161
	v_cmp_ne_u32_e32 vcc_lo, 0, v160
	v_lshlrev_b32_e32 v167, 3, v167
	s_delay_alu instid0(VALU_DEP_1) | instskip(NEXT) | instid1(VALU_DEP_1)
	v_or3_b32 v161, v167, v164, v178
	v_cndmask_b32_e32 v160, 0, v161, vcc_lo
.LBB6_4367:                             ;   in Loop: Header=BB6_3759 Depth=2
	s_or_b32 exec_lo, exec_lo, s28
.LBB6_4368:                             ;   in Loop: Header=BB6_3759 Depth=2
	s_delay_alu instid0(SALU_CYCLE_1) | instskip(NEXT) | instid1(SALU_CYCLE_1)
	s_or_b32 exec_lo, exec_lo, s27
	s_and_not1_b32 vcc_lo, exec_lo, s25
	s_cbranch_vccnz .LBB6_4378
; %bb.4369:                             ;   in Loop: Header=BB6_3759 Depth=2
	v_and_b32_e32 v164, 0xff, v150
	s_mov_b32 s11, 0
	s_mov_b32 s28, exec_lo
                                        ; implicit-def: $sgpr27
	s_delay_alu instid0(VALU_DEP_1)
	v_cmpx_lt_i16_e64 0x7f, v164
	s_xor_b32 s28, exec_lo, s28
	s_cbranch_execnz .LBB6_5021
; %bb.4370:                             ;   in Loop: Header=BB6_3759 Depth=2
	s_or_saveexec_b32 s28, s28
	v_mov_b32_e32 v161, s27
	s_xor_b32 exec_lo, exec_lo, s28
	s_cbranch_execnz .LBB6_5024
.LBB6_4371:                             ;   in Loop: Header=BB6_3759 Depth=2
	s_or_b32 exec_lo, exec_lo, s28
	s_and_saveexec_b32 s27, s11
	s_cbranch_execz .LBB6_4373
.LBB6_4372:                             ;   in Loop: Header=BB6_3759 Depth=2
	v_lshrrev_b16 v178, 3, v150
	v_lshlrev_b32_e32 v181, 24, v150
	s_delay_alu instid0(VALU_DEP_2) | instskip(NEXT) | instid1(VALU_DEP_1)
	v_and_b32_e32 v178, 15, v178
	v_cmp_eq_u32_e32 vcc_lo, 0, v178
	v_and_b32_e32 v161, 7, v150
	s_delay_alu instid0(VALU_DEP_1) | instskip(NEXT) | instid1(VALU_DEP_1)
	v_clz_i32_u32_e32 v164, v161
	v_min_u32_e32 v164, 32, v164
	s_delay_alu instid0(VALU_DEP_1) | instskip(SKIP_1) | instid1(VALU_DEP_1)
	v_subrev_nc_u32_e32 v167, 28, v164
	v_sub_nc_u32_e32 v164, 29, v164
	v_dual_cndmask_b32 v164, v178, v164 :: v_dual_lshlrev_b32 v167, v167, v150
	s_delay_alu instid0(VALU_DEP_1) | instskip(NEXT) | instid1(VALU_DEP_2)
	v_and_b32_e32 v167, 7, v167
	v_lshl_add_u32 v164, v164, 23, 0x3b800000
	s_delay_alu instid0(VALU_DEP_2) | instskip(SKIP_1) | instid1(VALU_DEP_2)
	v_cndmask_b32_e32 v161, v161, v167, vcc_lo
	v_and_b32_e32 v167, 0x80000000, v181
	v_lshlrev_b32_e32 v161, 20, v161
	s_delay_alu instid0(VALU_DEP_1)
	v_or3_b32 v161, v167, v164, v161
.LBB6_4373:                             ;   in Loop: Header=BB6_3759 Depth=2
	s_or_b32 exec_lo, exec_lo, s27
	s_waitcnt vmcnt(10) lgkmcnt(10)
	v_and_b32_e32 v167, 0xff, v149
	s_mov_b32 s11, 0
	s_mov_b32 s28, exec_lo
                                        ; implicit-def: $sgpr27
	s_delay_alu instid0(VALU_DEP_1)
	v_cmpx_lt_i16_e64 0x7f, v167
	s_xor_b32 s28, exec_lo, s28
	s_cbranch_execnz .LBB6_5025
; %bb.4374:                             ;   in Loop: Header=BB6_3759 Depth=2
	s_or_saveexec_b32 s28, s28
	v_mov_b32_e32 v164, s27
	s_xor_b32 exec_lo, exec_lo, s28
	s_cbranch_execnz .LBB6_5028
.LBB6_4375:                             ;   in Loop: Header=BB6_3759 Depth=2
	s_or_b32 exec_lo, exec_lo, s28
	s_and_saveexec_b32 s27, s11
	s_cbranch_execz .LBB6_4377
.LBB6_4376:                             ;   in Loop: Header=BB6_3759 Depth=2
	v_lshrrev_b16 v181, 3, v149
	v_lshlrev_b32_e32 v183, 24, v149
	s_delay_alu instid0(VALU_DEP_2) | instskip(NEXT) | instid1(VALU_DEP_1)
	v_and_b32_e32 v181, 15, v181
	v_cmp_eq_u32_e32 vcc_lo, 0, v181
	v_and_b32_e32 v164, 7, v149
	s_delay_alu instid0(VALU_DEP_1) | instskip(NEXT) | instid1(VALU_DEP_1)
	v_clz_i32_u32_e32 v167, v164
	v_min_u32_e32 v167, 32, v167
	s_delay_alu instid0(VALU_DEP_1) | instskip(SKIP_1) | instid1(VALU_DEP_1)
	v_subrev_nc_u32_e32 v178, 28, v167
	v_sub_nc_u32_e32 v167, 29, v167
	v_dual_cndmask_b32 v167, v181, v167 :: v_dual_lshlrev_b32 v178, v178, v149
	s_delay_alu instid0(VALU_DEP_1) | instskip(NEXT) | instid1(VALU_DEP_2)
	v_and_b32_e32 v178, 7, v178
	v_lshl_add_u32 v167, v167, 23, 0x3b800000
	s_delay_alu instid0(VALU_DEP_2) | instskip(SKIP_1) | instid1(VALU_DEP_2)
	v_cndmask_b32_e32 v164, v164, v178, vcc_lo
	v_and_b32_e32 v178, 0x80000000, v183
	v_lshlrev_b32_e32 v164, 20, v164
	s_delay_alu instid0(VALU_DEP_1)
	v_or3_b32 v164, v178, v167, v164
.LBB6_4377:                             ;   in Loop: Header=BB6_3759 Depth=2
	s_or_b32 exec_lo, exec_lo, s27
	s_delay_alu instid0(VALU_DEP_1) | instskip(SKIP_1) | instid1(VALU_DEP_1)
	v_dual_max_f32 v164, v164, v164 :: v_dual_max_f32 v161, v161, v161
	s_mov_b32 s11, 0
	v_max_f32_e32 v161, v161, v164
	s_branch .LBB6_4379
.LBB6_4378:                             ;   in Loop: Header=BB6_3759 Depth=2
	s_mov_b32 s11, -1
                                        ; implicit-def: $vgpr161
.LBB6_4379:                             ;   in Loop: Header=BB6_3759 Depth=2
	s_delay_alu instid0(SALU_CYCLE_1)
	s_and_b32 vcc_lo, exec_lo, s11
	s_cbranch_vccz .LBB6_4389
; %bb.4380:                             ;   in Loop: Header=BB6_3759 Depth=2
	v_and_b32_e32 v164, 0xff, v150
	s_mov_b32 s11, 0
	s_mov_b32 s28, exec_lo
                                        ; implicit-def: $sgpr27
	s_delay_alu instid0(VALU_DEP_1)
	v_cmpx_lt_i16_e64 0x7f, v164
	s_xor_b32 s28, exec_lo, s28
	s_cbranch_execnz .LBB6_5029
; %bb.4381:                             ;   in Loop: Header=BB6_3759 Depth=2
	s_or_saveexec_b32 s28, s28
	v_mov_b32_e32 v161, s27
	s_xor_b32 exec_lo, exec_lo, s28
	s_cbranch_execnz .LBB6_5032
.LBB6_4382:                             ;   in Loop: Header=BB6_3759 Depth=2
	s_or_b32 exec_lo, exec_lo, s28
	s_and_saveexec_b32 s27, s11
	s_cbranch_execz .LBB6_4384
.LBB6_4383:                             ;   in Loop: Header=BB6_3759 Depth=2
	v_lshrrev_b16 v178, 3, v150
	s_delay_alu instid0(VALU_DEP_1) | instskip(NEXT) | instid1(VALU_DEP_1)
	v_and_b32_e32 v178, 15, v178
	v_cmp_eq_u32_e32 vcc_lo, 0, v178
	v_and_b32_e32 v161, 7, v150
	s_delay_alu instid0(VALU_DEP_1) | instskip(NEXT) | instid1(VALU_DEP_1)
	v_clz_i32_u32_e32 v164, v161
	v_min_u32_e32 v164, 32, v164
	s_delay_alu instid0(VALU_DEP_1) | instskip(SKIP_1) | instid1(VALU_DEP_1)
	v_subrev_nc_u32_e32 v167, 28, v164
	v_sub_nc_u32_e32 v164, 29, v164
	v_dual_cndmask_b32 v164, v178, v164 :: v_dual_lshlrev_b32 v167, v167, v150
	v_lshlrev_b32_e32 v150, 24, v150
	s_delay_alu instid0(VALU_DEP_2) | instskip(NEXT) | instid1(VALU_DEP_3)
	v_and_b32_e32 v167, 7, v167
	v_lshl_add_u32 v164, v164, 23, 0x3b800000
	s_delay_alu instid0(VALU_DEP_2) | instskip(NEXT) | instid1(VALU_DEP_1)
	v_dual_cndmask_b32 v161, v161, v167 :: v_dual_and_b32 v150, 0x80000000, v150
	v_lshlrev_b32_e32 v161, 20, v161
	s_delay_alu instid0(VALU_DEP_1)
	v_or3_b32 v161, v150, v164, v161
.LBB6_4384:                             ;   in Loop: Header=BB6_3759 Depth=2
	s_or_b32 exec_lo, exec_lo, s27
	s_waitcnt vmcnt(10) lgkmcnt(10)
	v_and_b32_e32 v164, 0xff, v149
	s_mov_b32 s11, 0
	s_mov_b32 s28, exec_lo
                                        ; implicit-def: $sgpr27
	s_delay_alu instid0(VALU_DEP_1)
	v_cmpx_lt_i16_e64 0x7f, v164
	s_xor_b32 s28, exec_lo, s28
	s_cbranch_execnz .LBB6_5033
; %bb.4385:                             ;   in Loop: Header=BB6_3759 Depth=2
	s_or_saveexec_b32 s28, s28
	v_mov_b32_e32 v150, s27
	s_xor_b32 exec_lo, exec_lo, s28
	s_cbranch_execnz .LBB6_5036
.LBB6_4386:                             ;   in Loop: Header=BB6_3759 Depth=2
	s_or_b32 exec_lo, exec_lo, s28
	s_and_saveexec_b32 s27, s11
	s_cbranch_execz .LBB6_4388
.LBB6_4387:                             ;   in Loop: Header=BB6_3759 Depth=2
	v_and_b32_e32 v150, 7, v149
	v_lshrrev_b16 v178, 3, v149
	s_delay_alu instid0(VALU_DEP_2) | instskip(NEXT) | instid1(VALU_DEP_2)
	v_clz_i32_u32_e32 v164, v150
	v_and_b32_e32 v178, 15, v178
	s_delay_alu instid0(VALU_DEP_2) | instskip(NEXT) | instid1(VALU_DEP_2)
	v_min_u32_e32 v164, 32, v164
	v_cmp_eq_u32_e32 vcc_lo, 0, v178
	s_delay_alu instid0(VALU_DEP_2) | instskip(SKIP_1) | instid1(VALU_DEP_1)
	v_subrev_nc_u32_e32 v167, 28, v164
	v_sub_nc_u32_e32 v164, 29, v164
	v_dual_cndmask_b32 v164, v178, v164 :: v_dual_lshlrev_b32 v167, v167, v149
	s_delay_alu instid0(VALU_DEP_1) | instskip(SKIP_1) | instid1(VALU_DEP_3)
	v_and_b32_e32 v167, 7, v167
	v_lshlrev_b32_e32 v149, 24, v149
	v_lshl_add_u32 v164, v164, 23, 0x3b800000
	s_delay_alu instid0(VALU_DEP_2) | instskip(NEXT) | instid1(VALU_DEP_1)
	v_dual_cndmask_b32 v150, v150, v167 :: v_dual_and_b32 v149, 0x80000000, v149
	v_lshlrev_b32_e32 v150, 20, v150
	s_delay_alu instid0(VALU_DEP_1)
	v_or3_b32 v150, v149, v164, v150
.LBB6_4388:                             ;   in Loop: Header=BB6_3759 Depth=2
	s_or_b32 exec_lo, exec_lo, s27
	s_delay_alu instid0(VALU_DEP_1) | instskip(NEXT) | instid1(VALU_DEP_1)
	v_dual_max_f32 v149, v150, v150 :: v_dual_max_f32 v150, v161, v161
	v_min_f32_e32 v161, v150, v149
.LBB6_4389:                             ;   in Loop: Header=BB6_3759 Depth=2
	s_waitcnt vmcnt(10) lgkmcnt(10)
	s_delay_alu instid0(VALU_DEP_1) | instskip(NEXT) | instid1(VALU_DEP_1)
	v_and_b32_e32 v149, 0x7f800000, v161
	v_cmp_ne_u32_e32 vcc_lo, 0x7f800000, v149
	v_mov_b32_e32 v149, 0x80
	s_and_saveexec_b32 s27, vcc_lo
	s_cbranch_execz .LBB6_4397
; %bb.4390:                             ;   in Loop: Header=BB6_3759 Depth=2
	v_mov_b32_e32 v149, 0
	s_mov_b32 s28, exec_lo
	v_cmpx_ne_u32_e32 0, v161
	s_cbranch_execz .LBB6_4396
; %bb.4391:                             ;   in Loop: Header=BB6_3759 Depth=2
	v_bfe_u32 v149, v161, 23, 8
	v_and_b32_e32 v150, 0x7fffff, v161
	s_delay_alu instid0(VALU_DEP_2) | instskip(SKIP_1) | instid1(VALU_DEP_3)
	v_sub_nc_u32_e32 v164, 0x78, v149
	v_cmp_gt_u32_e32 vcc_lo, 0x79, v149
	v_or_b32_e32 v167, 0x800000, v150
	s_delay_alu instid0(VALU_DEP_3) | instskip(SKIP_2) | instid1(VALU_DEP_3)
	v_cndmask_b32_e32 v164, 0, v164, vcc_lo
	v_cmp_eq_u32_e32 vcc_lo, 0, v149
	v_add_nc_u32_e32 v149, 0xffffff89, v149
	v_cndmask_b32_e64 v164, v164, 0x77, vcc_lo
	v_cndmask_b32_e32 v150, v167, v150, vcc_lo
	s_delay_alu instid0(VALU_DEP_3) | instskip(NEXT) | instid1(VALU_DEP_3)
	v_cndmask_b32_e64 v149, v149, 0xffffff8a, vcc_lo
	v_lshl_add_u32 v167, 0x100000, v164, -1
	s_delay_alu instid0(VALU_DEP_3) | instskip(SKIP_1) | instid1(VALU_DEP_4)
	v_lshrrev_b32_e32 v178, v164, v150
	v_lshlrev_b32_e64 v183, v164, 0x80000
	v_add_nc_u32_e32 v164, v164, v149
	s_delay_alu instid0(VALU_DEP_4) | instskip(NEXT) | instid1(VALU_DEP_4)
	v_and_b32_e32 v150, v167, v150
	v_bfe_u32 v181, v178, 20, 1
	s_delay_alu instid0(VALU_DEP_2) | instskip(NEXT) | instid1(VALU_DEP_2)
	v_cmp_eq_u32_e64 s11, v150, v183
	v_add_nc_u32_e32 v167, -1, v181
	s_delay_alu instid0(VALU_DEP_1) | instskip(SKIP_2) | instid1(VALU_DEP_2)
	v_cndmask_b32_e64 v150, 0, v167, s11
	v_lshrrev_b32_e32 v167, 23, v178
	s_mov_b32 s11, exec_lo
	v_add_nc_u32_e32 v150, v150, v178
	s_delay_alu instid0(VALU_DEP_2) | instskip(NEXT) | instid1(VALU_DEP_2)
	v_xor_b32_e32 v167, 1, v167
	v_and_b32_e32 v149, 0xfffff, v150
	s_delay_alu instid0(VALU_DEP_1) | instskip(NEXT) | instid1(VALU_DEP_3)
	v_add_nc_u32_e32 v150, v149, v178
                                        ; implicit-def: $vgpr149
	v_cmpx_ne_u32_e64 v164, v167
	s_xor_b32 s11, exec_lo, s11
; %bb.4392:                             ;   in Loop: Header=BB6_3759 Depth=2
	s_delay_alu instid0(VALU_DEP_2) | instskip(SKIP_2) | instid1(VALU_DEP_2)
	v_cmp_lt_u32_e32 vcc_lo, 0xffffff, v150
	v_sub_nc_u32_e32 v149, v164, v167
	v_cndmask_b32_e64 v164, 0, 1, vcc_lo
	v_add_co_ci_u32_e32 v149, vcc_lo, 0, v149, vcc_lo
	s_delay_alu instid0(VALU_DEP_2)
	v_lshrrev_b32_e32 v150, v164, v150
; %bb.4393:                             ;   in Loop: Header=BB6_3759 Depth=2
	s_and_not1_saveexec_b32 s11, s11
; %bb.4394:                             ;   in Loop: Header=BB6_3759 Depth=2
	s_delay_alu instid0(VALU_DEP_1)
	v_bfe_u32 v149, v150, 23, 1
; %bb.4395:                             ;   in Loop: Header=BB6_3759 Depth=2
	s_or_b32 exec_lo, exec_lo, s11
	v_lshrrev_b32_e32 v150, 20, v150
	s_delay_alu instid0(VALU_DEP_2) | instskip(SKIP_2) | instid1(VALU_DEP_2)
	v_cmp_gt_i32_e32 vcc_lo, 16, v149
	v_lshrrev_b32_e32 v161, 24, v161
	v_min_i32_e32 v164, 15, v149
	v_dual_cndmask_b32 v150, 7, v150 :: v_dual_and_b32 v161, 0x80, v161
	s_delay_alu instid0(VALU_DEP_1) | instskip(SKIP_1) | instid1(VALU_DEP_2)
	v_or_b32_e32 v149, v149, v150
	v_and_b32_e32 v167, 7, v150
	v_cmp_ne_u32_e32 vcc_lo, 0, v149
	v_lshlrev_b32_e32 v164, 3, v164
	s_delay_alu instid0(VALU_DEP_1) | instskip(NEXT) | instid1(VALU_DEP_1)
	v_or3_b32 v150, v164, v161, v167
	v_cndmask_b32_e32 v149, 0, v150, vcc_lo
.LBB6_4396:                             ;   in Loop: Header=BB6_3759 Depth=2
	s_or_b32 exec_lo, exec_lo, s28
.LBB6_4397:                             ;   in Loop: Header=BB6_3759 Depth=2
	s_delay_alu instid0(SALU_CYCLE_1) | instskip(NEXT) | instid1(SALU_CYCLE_1)
	s_or_b32 exec_lo, exec_lo, s27
	s_and_not1_b32 vcc_lo, exec_lo, s25
	s_cbranch_vccnz .LBB6_4407
; %bb.4398:                             ;   in Loop: Header=BB6_3759 Depth=2
	v_and_b32_e32 v161, 0xff, v147
	s_mov_b32 s11, 0
	s_mov_b32 s28, exec_lo
                                        ; implicit-def: $sgpr27
	s_delay_alu instid0(VALU_DEP_1)
	v_cmpx_lt_i16_e64 0x7f, v161
	s_xor_b32 s28, exec_lo, s28
	s_cbranch_execnz .LBB6_5037
; %bb.4399:                             ;   in Loop: Header=BB6_3759 Depth=2
	s_or_saveexec_b32 s28, s28
	v_mov_b32_e32 v150, s27
	s_xor_b32 exec_lo, exec_lo, s28
	s_cbranch_execnz .LBB6_5040
.LBB6_4400:                             ;   in Loop: Header=BB6_3759 Depth=2
	s_or_b32 exec_lo, exec_lo, s28
	s_and_saveexec_b32 s27, s11
	s_cbranch_execz .LBB6_4402
.LBB6_4401:                             ;   in Loop: Header=BB6_3759 Depth=2
	v_lshrrev_b16 v167, 3, v147
	v_lshlrev_b32_e32 v178, 24, v147
	s_delay_alu instid0(VALU_DEP_2) | instskip(NEXT) | instid1(VALU_DEP_1)
	v_and_b32_e32 v167, 15, v167
	v_cmp_eq_u32_e32 vcc_lo, 0, v167
	v_and_b32_e32 v150, 7, v147
	s_delay_alu instid0(VALU_DEP_1) | instskip(NEXT) | instid1(VALU_DEP_1)
	v_clz_i32_u32_e32 v161, v150
	v_min_u32_e32 v161, 32, v161
	s_delay_alu instid0(VALU_DEP_1) | instskip(SKIP_1) | instid1(VALU_DEP_1)
	v_subrev_nc_u32_e32 v164, 28, v161
	v_sub_nc_u32_e32 v161, 29, v161
	v_dual_cndmask_b32 v161, v167, v161 :: v_dual_lshlrev_b32 v164, v164, v147
	s_delay_alu instid0(VALU_DEP_1) | instskip(NEXT) | instid1(VALU_DEP_2)
	v_and_b32_e32 v164, 7, v164
	v_lshl_add_u32 v161, v161, 23, 0x3b800000
	s_delay_alu instid0(VALU_DEP_2) | instskip(SKIP_1) | instid1(VALU_DEP_2)
	v_cndmask_b32_e32 v150, v150, v164, vcc_lo
	v_and_b32_e32 v164, 0x80000000, v178
	v_lshlrev_b32_e32 v150, 20, v150
	s_delay_alu instid0(VALU_DEP_1)
	v_or3_b32 v150, v164, v161, v150
.LBB6_4402:                             ;   in Loop: Header=BB6_3759 Depth=2
	s_or_b32 exec_lo, exec_lo, s27
	s_waitcnt vmcnt(9) lgkmcnt(9)
	v_and_b32_e32 v164, 0xff, v146
	s_mov_b32 s11, 0
	s_mov_b32 s28, exec_lo
                                        ; implicit-def: $sgpr27
	s_delay_alu instid0(VALU_DEP_1)
	v_cmpx_lt_i16_e64 0x7f, v164
	s_xor_b32 s28, exec_lo, s28
	s_cbranch_execnz .LBB6_5041
; %bb.4403:                             ;   in Loop: Header=BB6_3759 Depth=2
	s_or_saveexec_b32 s28, s28
	v_mov_b32_e32 v161, s27
	s_xor_b32 exec_lo, exec_lo, s28
	s_cbranch_execnz .LBB6_5044
.LBB6_4404:                             ;   in Loop: Header=BB6_3759 Depth=2
	s_or_b32 exec_lo, exec_lo, s28
	s_and_saveexec_b32 s27, s11
	s_cbranch_execz .LBB6_4406
.LBB6_4405:                             ;   in Loop: Header=BB6_3759 Depth=2
	v_lshrrev_b16 v178, 3, v146
	v_lshlrev_b32_e32 v181, 24, v146
	s_delay_alu instid0(VALU_DEP_2) | instskip(NEXT) | instid1(VALU_DEP_1)
	v_and_b32_e32 v178, 15, v178
	v_cmp_eq_u32_e32 vcc_lo, 0, v178
	v_and_b32_e32 v161, 7, v146
	s_delay_alu instid0(VALU_DEP_1) | instskip(NEXT) | instid1(VALU_DEP_1)
	v_clz_i32_u32_e32 v164, v161
	v_min_u32_e32 v164, 32, v164
	s_delay_alu instid0(VALU_DEP_1) | instskip(SKIP_1) | instid1(VALU_DEP_1)
	v_subrev_nc_u32_e32 v167, 28, v164
	v_sub_nc_u32_e32 v164, 29, v164
	v_dual_cndmask_b32 v164, v178, v164 :: v_dual_lshlrev_b32 v167, v167, v146
	s_delay_alu instid0(VALU_DEP_1) | instskip(NEXT) | instid1(VALU_DEP_2)
	v_and_b32_e32 v167, 7, v167
	v_lshl_add_u32 v164, v164, 23, 0x3b800000
	s_delay_alu instid0(VALU_DEP_2) | instskip(SKIP_1) | instid1(VALU_DEP_2)
	v_cndmask_b32_e32 v161, v161, v167, vcc_lo
	v_and_b32_e32 v167, 0x80000000, v181
	v_lshlrev_b32_e32 v161, 20, v161
	s_delay_alu instid0(VALU_DEP_1)
	v_or3_b32 v161, v167, v164, v161
.LBB6_4406:                             ;   in Loop: Header=BB6_3759 Depth=2
	s_or_b32 exec_lo, exec_lo, s27
	s_delay_alu instid0(VALU_DEP_1) | instskip(SKIP_1) | instid1(VALU_DEP_1)
	v_dual_max_f32 v161, v161, v161 :: v_dual_max_f32 v150, v150, v150
	s_mov_b32 s11, 0
	v_max_f32_e32 v150, v150, v161
	s_branch .LBB6_4408
.LBB6_4407:                             ;   in Loop: Header=BB6_3759 Depth=2
	s_mov_b32 s11, -1
                                        ; implicit-def: $vgpr150
.LBB6_4408:                             ;   in Loop: Header=BB6_3759 Depth=2
	s_delay_alu instid0(SALU_CYCLE_1)
	s_and_b32 vcc_lo, exec_lo, s11
	s_cbranch_vccz .LBB6_4418
; %bb.4409:                             ;   in Loop: Header=BB6_3759 Depth=2
	v_and_b32_e32 v161, 0xff, v147
	s_mov_b32 s11, 0
	s_mov_b32 s28, exec_lo
                                        ; implicit-def: $sgpr27
	s_delay_alu instid0(VALU_DEP_1)
	v_cmpx_lt_i16_e64 0x7f, v161
	s_xor_b32 s28, exec_lo, s28
	s_cbranch_execnz .LBB6_5045
; %bb.4410:                             ;   in Loop: Header=BB6_3759 Depth=2
	s_or_saveexec_b32 s28, s28
	v_mov_b32_e32 v150, s27
	s_xor_b32 exec_lo, exec_lo, s28
	s_cbranch_execnz .LBB6_5048
.LBB6_4411:                             ;   in Loop: Header=BB6_3759 Depth=2
	s_or_b32 exec_lo, exec_lo, s28
	s_and_saveexec_b32 s27, s11
	s_cbranch_execz .LBB6_4413
.LBB6_4412:                             ;   in Loop: Header=BB6_3759 Depth=2
	v_lshrrev_b16 v167, 3, v147
	s_delay_alu instid0(VALU_DEP_1) | instskip(NEXT) | instid1(VALU_DEP_1)
	v_and_b32_e32 v167, 15, v167
	v_cmp_eq_u32_e32 vcc_lo, 0, v167
	v_and_b32_e32 v150, 7, v147
	s_delay_alu instid0(VALU_DEP_1) | instskip(NEXT) | instid1(VALU_DEP_1)
	v_clz_i32_u32_e32 v161, v150
	v_min_u32_e32 v161, 32, v161
	s_delay_alu instid0(VALU_DEP_1) | instskip(SKIP_1) | instid1(VALU_DEP_1)
	v_subrev_nc_u32_e32 v164, 28, v161
	v_sub_nc_u32_e32 v161, 29, v161
	v_dual_cndmask_b32 v161, v167, v161 :: v_dual_lshlrev_b32 v164, v164, v147
	v_lshlrev_b32_e32 v147, 24, v147
	s_delay_alu instid0(VALU_DEP_2) | instskip(NEXT) | instid1(VALU_DEP_3)
	v_and_b32_e32 v164, 7, v164
	v_lshl_add_u32 v161, v161, 23, 0x3b800000
	s_delay_alu instid0(VALU_DEP_2) | instskip(NEXT) | instid1(VALU_DEP_1)
	v_dual_cndmask_b32 v150, v150, v164 :: v_dual_and_b32 v147, 0x80000000, v147
	v_lshlrev_b32_e32 v150, 20, v150
	s_delay_alu instid0(VALU_DEP_1)
	v_or3_b32 v150, v147, v161, v150
.LBB6_4413:                             ;   in Loop: Header=BB6_3759 Depth=2
	s_or_b32 exec_lo, exec_lo, s27
	s_waitcnt vmcnt(9) lgkmcnt(9)
	v_and_b32_e32 v161, 0xff, v146
	s_mov_b32 s11, 0
	s_mov_b32 s28, exec_lo
                                        ; implicit-def: $sgpr27
	s_delay_alu instid0(VALU_DEP_1)
	v_cmpx_lt_i16_e64 0x7f, v161
	s_xor_b32 s28, exec_lo, s28
	s_cbranch_execnz .LBB6_5049
; %bb.4414:                             ;   in Loop: Header=BB6_3759 Depth=2
	s_or_saveexec_b32 s28, s28
	v_mov_b32_e32 v147, s27
	s_xor_b32 exec_lo, exec_lo, s28
	s_cbranch_execnz .LBB6_5052
.LBB6_4415:                             ;   in Loop: Header=BB6_3759 Depth=2
	s_or_b32 exec_lo, exec_lo, s28
	s_and_saveexec_b32 s27, s11
	s_cbranch_execz .LBB6_4417
.LBB6_4416:                             ;   in Loop: Header=BB6_3759 Depth=2
	v_and_b32_e32 v147, 7, v146
	v_lshrrev_b16 v167, 3, v146
	s_delay_alu instid0(VALU_DEP_2) | instskip(NEXT) | instid1(VALU_DEP_2)
	v_clz_i32_u32_e32 v161, v147
	v_and_b32_e32 v167, 15, v167
	s_delay_alu instid0(VALU_DEP_2) | instskip(NEXT) | instid1(VALU_DEP_2)
	v_min_u32_e32 v161, 32, v161
	v_cmp_eq_u32_e32 vcc_lo, 0, v167
	s_delay_alu instid0(VALU_DEP_2) | instskip(SKIP_1) | instid1(VALU_DEP_1)
	v_subrev_nc_u32_e32 v164, 28, v161
	v_sub_nc_u32_e32 v161, 29, v161
	v_dual_cndmask_b32 v161, v167, v161 :: v_dual_lshlrev_b32 v164, v164, v146
	s_delay_alu instid0(VALU_DEP_1) | instskip(SKIP_1) | instid1(VALU_DEP_3)
	v_and_b32_e32 v164, 7, v164
	v_lshlrev_b32_e32 v146, 24, v146
	v_lshl_add_u32 v161, v161, 23, 0x3b800000
	s_delay_alu instid0(VALU_DEP_2) | instskip(NEXT) | instid1(VALU_DEP_1)
	v_dual_cndmask_b32 v147, v147, v164 :: v_dual_and_b32 v146, 0x80000000, v146
	v_lshlrev_b32_e32 v147, 20, v147
	s_delay_alu instid0(VALU_DEP_1)
	v_or3_b32 v147, v146, v161, v147
.LBB6_4417:                             ;   in Loop: Header=BB6_3759 Depth=2
	s_or_b32 exec_lo, exec_lo, s27
	s_delay_alu instid0(VALU_DEP_1) | instskip(NEXT) | instid1(VALU_DEP_1)
	v_dual_max_f32 v146, v147, v147 :: v_dual_max_f32 v147, v150, v150
	v_min_f32_e32 v150, v147, v146
.LBB6_4418:                             ;   in Loop: Header=BB6_3759 Depth=2
	s_waitcnt vmcnt(9) lgkmcnt(9)
	s_delay_alu instid0(VALU_DEP_1) | instskip(NEXT) | instid1(VALU_DEP_1)
	v_and_b32_e32 v146, 0x7f800000, v150
	v_cmp_ne_u32_e32 vcc_lo, 0x7f800000, v146
	v_mov_b32_e32 v146, 0x80
	s_and_saveexec_b32 s27, vcc_lo
	s_cbranch_execz .LBB6_4426
; %bb.4419:                             ;   in Loop: Header=BB6_3759 Depth=2
	v_mov_b32_e32 v146, 0
	s_mov_b32 s28, exec_lo
	v_cmpx_ne_u32_e32 0, v150
	s_cbranch_execz .LBB6_4425
; %bb.4420:                             ;   in Loop: Header=BB6_3759 Depth=2
	v_bfe_u32 v146, v150, 23, 8
	v_and_b32_e32 v147, 0x7fffff, v150
	s_delay_alu instid0(VALU_DEP_2) | instskip(SKIP_1) | instid1(VALU_DEP_3)
	v_sub_nc_u32_e32 v161, 0x78, v146
	v_cmp_gt_u32_e32 vcc_lo, 0x79, v146
	v_or_b32_e32 v164, 0x800000, v147
	s_delay_alu instid0(VALU_DEP_3) | instskip(SKIP_2) | instid1(VALU_DEP_3)
	v_cndmask_b32_e32 v161, 0, v161, vcc_lo
	v_cmp_eq_u32_e32 vcc_lo, 0, v146
	v_add_nc_u32_e32 v146, 0xffffff89, v146
	v_cndmask_b32_e64 v161, v161, 0x77, vcc_lo
	v_cndmask_b32_e32 v147, v164, v147, vcc_lo
	s_delay_alu instid0(VALU_DEP_3) | instskip(NEXT) | instid1(VALU_DEP_3)
	v_cndmask_b32_e64 v146, v146, 0xffffff8a, vcc_lo
	v_lshl_add_u32 v164, 0x100000, v161, -1
	s_delay_alu instid0(VALU_DEP_3) | instskip(SKIP_1) | instid1(VALU_DEP_4)
	v_lshrrev_b32_e32 v167, v161, v147
	v_lshlrev_b32_e64 v181, v161, 0x80000
	v_add_nc_u32_e32 v161, v161, v146
	s_delay_alu instid0(VALU_DEP_4) | instskip(NEXT) | instid1(VALU_DEP_4)
	v_and_b32_e32 v147, v164, v147
	v_bfe_u32 v178, v167, 20, 1
	s_delay_alu instid0(VALU_DEP_2) | instskip(NEXT) | instid1(VALU_DEP_2)
	v_cmp_eq_u32_e64 s11, v147, v181
	v_add_nc_u32_e32 v164, -1, v178
	s_delay_alu instid0(VALU_DEP_1) | instskip(SKIP_2) | instid1(VALU_DEP_2)
	v_cndmask_b32_e64 v147, 0, v164, s11
	v_lshrrev_b32_e32 v164, 23, v167
	s_mov_b32 s11, exec_lo
	v_add_nc_u32_e32 v147, v147, v167
	s_delay_alu instid0(VALU_DEP_2) | instskip(NEXT) | instid1(VALU_DEP_2)
	v_xor_b32_e32 v164, 1, v164
	v_and_b32_e32 v146, 0xfffff, v147
	s_delay_alu instid0(VALU_DEP_1) | instskip(NEXT) | instid1(VALU_DEP_3)
	v_add_nc_u32_e32 v147, v146, v167
                                        ; implicit-def: $vgpr146
	v_cmpx_ne_u32_e64 v161, v164
	s_xor_b32 s11, exec_lo, s11
; %bb.4421:                             ;   in Loop: Header=BB6_3759 Depth=2
	s_delay_alu instid0(VALU_DEP_2) | instskip(SKIP_2) | instid1(VALU_DEP_2)
	v_cmp_lt_u32_e32 vcc_lo, 0xffffff, v147
	v_sub_nc_u32_e32 v146, v161, v164
	v_cndmask_b32_e64 v161, 0, 1, vcc_lo
	v_add_co_ci_u32_e32 v146, vcc_lo, 0, v146, vcc_lo
	s_delay_alu instid0(VALU_DEP_2)
	v_lshrrev_b32_e32 v147, v161, v147
; %bb.4422:                             ;   in Loop: Header=BB6_3759 Depth=2
	s_and_not1_saveexec_b32 s11, s11
; %bb.4423:                             ;   in Loop: Header=BB6_3759 Depth=2
	s_delay_alu instid0(VALU_DEP_1)
	v_bfe_u32 v146, v147, 23, 1
; %bb.4424:                             ;   in Loop: Header=BB6_3759 Depth=2
	s_or_b32 exec_lo, exec_lo, s11
	v_lshrrev_b32_e32 v147, 20, v147
	s_delay_alu instid0(VALU_DEP_2) | instskip(SKIP_2) | instid1(VALU_DEP_2)
	v_cmp_gt_i32_e32 vcc_lo, 16, v146
	v_lshrrev_b32_e32 v150, 24, v150
	v_min_i32_e32 v161, 15, v146
	v_dual_cndmask_b32 v147, 7, v147 :: v_dual_and_b32 v150, 0x80, v150
	s_delay_alu instid0(VALU_DEP_1) | instskip(SKIP_1) | instid1(VALU_DEP_2)
	v_or_b32_e32 v146, v146, v147
	v_and_b32_e32 v164, 7, v147
	v_cmp_ne_u32_e32 vcc_lo, 0, v146
	v_lshlrev_b32_e32 v161, 3, v161
	s_delay_alu instid0(VALU_DEP_1) | instskip(NEXT) | instid1(VALU_DEP_1)
	v_or3_b32 v147, v161, v150, v164
	v_cndmask_b32_e32 v146, 0, v147, vcc_lo
.LBB6_4425:                             ;   in Loop: Header=BB6_3759 Depth=2
	s_or_b32 exec_lo, exec_lo, s28
.LBB6_4426:                             ;   in Loop: Header=BB6_3759 Depth=2
	s_delay_alu instid0(SALU_CYCLE_1) | instskip(NEXT) | instid1(SALU_CYCLE_1)
	s_or_b32 exec_lo, exec_lo, s27
	s_and_not1_b32 vcc_lo, exec_lo, s25
	s_cbranch_vccnz .LBB6_4436
; %bb.4427:                             ;   in Loop: Header=BB6_3759 Depth=2
	v_and_b32_e32 v150, 0xff, v101
	s_mov_b32 s11, 0
	s_mov_b32 s28, exec_lo
                                        ; implicit-def: $sgpr27
	s_delay_alu instid0(VALU_DEP_1)
	v_cmpx_lt_i16_e64 0x7f, v150
	s_xor_b32 s28, exec_lo, s28
	s_cbranch_execnz .LBB6_5053
; %bb.4428:                             ;   in Loop: Header=BB6_3759 Depth=2
	s_or_saveexec_b32 s28, s28
	v_mov_b32_e32 v147, s27
	s_xor_b32 exec_lo, exec_lo, s28
	s_cbranch_execnz .LBB6_5056
.LBB6_4429:                             ;   in Loop: Header=BB6_3759 Depth=2
	s_or_b32 exec_lo, exec_lo, s28
	s_and_saveexec_b32 s27, s11
	s_cbranch_execz .LBB6_4431
.LBB6_4430:                             ;   in Loop: Header=BB6_3759 Depth=2
	v_lshrrev_b16 v164, 3, v101
	v_lshlrev_b32_e32 v167, 24, v101
	s_delay_alu instid0(VALU_DEP_2) | instskip(NEXT) | instid1(VALU_DEP_1)
	v_and_b32_e32 v164, 15, v164
	v_cmp_eq_u32_e32 vcc_lo, 0, v164
	v_and_b32_e32 v147, 7, v101
	s_delay_alu instid0(VALU_DEP_1) | instskip(NEXT) | instid1(VALU_DEP_1)
	v_clz_i32_u32_e32 v150, v147
	v_min_u32_e32 v150, 32, v150
	s_delay_alu instid0(VALU_DEP_1) | instskip(SKIP_1) | instid1(VALU_DEP_1)
	v_subrev_nc_u32_e32 v161, 28, v150
	v_sub_nc_u32_e32 v150, 29, v150
	v_dual_cndmask_b32 v150, v164, v150 :: v_dual_lshlrev_b32 v161, v161, v101
	s_delay_alu instid0(VALU_DEP_1) | instskip(NEXT) | instid1(VALU_DEP_2)
	v_and_b32_e32 v161, 7, v161
	v_lshl_add_u32 v150, v150, 23, 0x3b800000
	s_delay_alu instid0(VALU_DEP_2) | instskip(SKIP_1) | instid1(VALU_DEP_2)
	v_cndmask_b32_e32 v147, v147, v161, vcc_lo
	v_and_b32_e32 v161, 0x80000000, v167
	v_lshlrev_b32_e32 v147, 20, v147
	s_delay_alu instid0(VALU_DEP_1)
	v_or3_b32 v147, v161, v150, v147
.LBB6_4431:                             ;   in Loop: Header=BB6_3759 Depth=2
	s_or_b32 exec_lo, exec_lo, s27
	s_waitcnt vmcnt(8) lgkmcnt(8)
	v_and_b32_e32 v161, 0xff, v100
	s_mov_b32 s11, 0
	s_mov_b32 s28, exec_lo
                                        ; implicit-def: $sgpr27
	s_delay_alu instid0(VALU_DEP_1)
	v_cmpx_lt_i16_e64 0x7f, v161
	s_xor_b32 s28, exec_lo, s28
	s_cbranch_execnz .LBB6_5057
; %bb.4432:                             ;   in Loop: Header=BB6_3759 Depth=2
	s_or_saveexec_b32 s28, s28
	v_mov_b32_e32 v150, s27
	s_xor_b32 exec_lo, exec_lo, s28
	s_cbranch_execnz .LBB6_5060
.LBB6_4433:                             ;   in Loop: Header=BB6_3759 Depth=2
	s_or_b32 exec_lo, exec_lo, s28
	s_and_saveexec_b32 s27, s11
	s_cbranch_execz .LBB6_4435
.LBB6_4434:                             ;   in Loop: Header=BB6_3759 Depth=2
	v_lshrrev_b16 v167, 3, v100
	v_lshlrev_b32_e32 v178, 24, v100
	s_delay_alu instid0(VALU_DEP_2) | instskip(NEXT) | instid1(VALU_DEP_1)
	v_and_b32_e32 v167, 15, v167
	v_cmp_eq_u32_e32 vcc_lo, 0, v167
	v_and_b32_e32 v150, 7, v100
	s_delay_alu instid0(VALU_DEP_1) | instskip(NEXT) | instid1(VALU_DEP_1)
	v_clz_i32_u32_e32 v161, v150
	v_min_u32_e32 v161, 32, v161
	s_delay_alu instid0(VALU_DEP_1) | instskip(SKIP_1) | instid1(VALU_DEP_1)
	v_subrev_nc_u32_e32 v164, 28, v161
	v_sub_nc_u32_e32 v161, 29, v161
	v_dual_cndmask_b32 v161, v167, v161 :: v_dual_lshlrev_b32 v164, v164, v100
	s_delay_alu instid0(VALU_DEP_1) | instskip(NEXT) | instid1(VALU_DEP_2)
	v_and_b32_e32 v164, 7, v164
	v_lshl_add_u32 v161, v161, 23, 0x3b800000
	s_delay_alu instid0(VALU_DEP_2) | instskip(SKIP_1) | instid1(VALU_DEP_2)
	v_cndmask_b32_e32 v150, v150, v164, vcc_lo
	v_and_b32_e32 v164, 0x80000000, v178
	v_lshlrev_b32_e32 v150, 20, v150
	s_delay_alu instid0(VALU_DEP_1)
	v_or3_b32 v150, v164, v161, v150
.LBB6_4435:                             ;   in Loop: Header=BB6_3759 Depth=2
	s_or_b32 exec_lo, exec_lo, s27
	s_delay_alu instid0(VALU_DEP_1) | instskip(SKIP_1) | instid1(VALU_DEP_1)
	v_dual_max_f32 v150, v150, v150 :: v_dual_max_f32 v147, v147, v147
	s_mov_b32 s11, 0
	v_max_f32_e32 v147, v147, v150
	s_branch .LBB6_4437
.LBB6_4436:                             ;   in Loop: Header=BB6_3759 Depth=2
	s_mov_b32 s11, -1
                                        ; implicit-def: $vgpr147
.LBB6_4437:                             ;   in Loop: Header=BB6_3759 Depth=2
	s_delay_alu instid0(SALU_CYCLE_1)
	s_and_b32 vcc_lo, exec_lo, s11
	s_cbranch_vccz .LBB6_4447
; %bb.4438:                             ;   in Loop: Header=BB6_3759 Depth=2
	v_and_b32_e32 v150, 0xff, v101
	s_mov_b32 s11, 0
	s_mov_b32 s28, exec_lo
                                        ; implicit-def: $sgpr27
	s_delay_alu instid0(VALU_DEP_1)
	v_cmpx_lt_i16_e64 0x7f, v150
	s_xor_b32 s28, exec_lo, s28
	s_cbranch_execnz .LBB6_5061
; %bb.4439:                             ;   in Loop: Header=BB6_3759 Depth=2
	s_or_saveexec_b32 s28, s28
	v_mov_b32_e32 v147, s27
	s_xor_b32 exec_lo, exec_lo, s28
	s_cbranch_execnz .LBB6_5064
.LBB6_4440:                             ;   in Loop: Header=BB6_3759 Depth=2
	s_or_b32 exec_lo, exec_lo, s28
	s_and_saveexec_b32 s27, s11
	s_cbranch_execz .LBB6_4442
.LBB6_4441:                             ;   in Loop: Header=BB6_3759 Depth=2
	v_lshrrev_b16 v164, 3, v101
	s_delay_alu instid0(VALU_DEP_1) | instskip(NEXT) | instid1(VALU_DEP_1)
	v_and_b32_e32 v164, 15, v164
	v_cmp_eq_u32_e32 vcc_lo, 0, v164
	v_and_b32_e32 v147, 7, v101
	s_delay_alu instid0(VALU_DEP_1) | instskip(NEXT) | instid1(VALU_DEP_1)
	v_clz_i32_u32_e32 v150, v147
	v_min_u32_e32 v150, 32, v150
	s_delay_alu instid0(VALU_DEP_1) | instskip(SKIP_1) | instid1(VALU_DEP_1)
	v_subrev_nc_u32_e32 v161, 28, v150
	v_sub_nc_u32_e32 v150, 29, v150
	v_dual_cndmask_b32 v150, v164, v150 :: v_dual_lshlrev_b32 v161, v161, v101
	v_lshlrev_b32_e32 v101, 24, v101
	s_delay_alu instid0(VALU_DEP_2) | instskip(NEXT) | instid1(VALU_DEP_3)
	v_and_b32_e32 v161, 7, v161
	v_lshl_add_u32 v150, v150, 23, 0x3b800000
	s_delay_alu instid0(VALU_DEP_3) | instskip(NEXT) | instid1(VALU_DEP_3)
	v_and_b32_e32 v101, 0x80000000, v101
	v_cndmask_b32_e32 v147, v147, v161, vcc_lo
	s_delay_alu instid0(VALU_DEP_1) | instskip(NEXT) | instid1(VALU_DEP_1)
	v_lshlrev_b32_e32 v147, 20, v147
	v_or3_b32 v147, v101, v150, v147
.LBB6_4442:                             ;   in Loop: Header=BB6_3759 Depth=2
	s_or_b32 exec_lo, exec_lo, s27
	s_waitcnt vmcnt(8) lgkmcnt(8)
	v_and_b32_e32 v150, 0xff, v100
	s_mov_b32 s11, 0
	s_mov_b32 s28, exec_lo
                                        ; implicit-def: $sgpr27
	s_delay_alu instid0(VALU_DEP_1)
	v_cmpx_lt_i16_e64 0x7f, v150
	s_xor_b32 s28, exec_lo, s28
	s_cbranch_execnz .LBB6_5065
; %bb.4443:                             ;   in Loop: Header=BB6_3759 Depth=2
	s_or_saveexec_b32 s28, s28
	v_mov_b32_e32 v101, s27
	s_xor_b32 exec_lo, exec_lo, s28
	s_cbranch_execnz .LBB6_5068
.LBB6_4444:                             ;   in Loop: Header=BB6_3759 Depth=2
	s_or_b32 exec_lo, exec_lo, s28
	s_and_saveexec_b32 s27, s11
	s_cbranch_execz .LBB6_4446
.LBB6_4445:                             ;   in Loop: Header=BB6_3759 Depth=2
	v_lshrrev_b16 v164, 3, v100
	s_delay_alu instid0(VALU_DEP_1) | instskip(NEXT) | instid1(VALU_DEP_1)
	v_and_b32_e32 v164, 15, v164
	v_cmp_eq_u32_e32 vcc_lo, 0, v164
	v_and_b32_e32 v101, 7, v100
	s_delay_alu instid0(VALU_DEP_1) | instskip(NEXT) | instid1(VALU_DEP_1)
	v_clz_i32_u32_e32 v150, v101
	v_min_u32_e32 v150, 32, v150
	s_delay_alu instid0(VALU_DEP_1) | instskip(SKIP_1) | instid1(VALU_DEP_1)
	v_subrev_nc_u32_e32 v161, 28, v150
	v_sub_nc_u32_e32 v150, 29, v150
	v_dual_cndmask_b32 v150, v164, v150 :: v_dual_lshlrev_b32 v161, v161, v100
	v_lshlrev_b32_e32 v100, 24, v100
	s_delay_alu instid0(VALU_DEP_2) | instskip(NEXT) | instid1(VALU_DEP_3)
	v_and_b32_e32 v161, 7, v161
	v_lshl_add_u32 v150, v150, 23, 0x3b800000
	s_delay_alu instid0(VALU_DEP_2) | instskip(NEXT) | instid1(VALU_DEP_1)
	v_dual_cndmask_b32 v101, v101, v161 :: v_dual_and_b32 v100, 0x80000000, v100
	v_lshlrev_b32_e32 v101, 20, v101
	s_delay_alu instid0(VALU_DEP_1)
	v_or3_b32 v101, v100, v150, v101
.LBB6_4446:                             ;   in Loop: Header=BB6_3759 Depth=2
	s_or_b32 exec_lo, exec_lo, s27
	s_delay_alu instid0(VALU_DEP_1) | instskip(NEXT) | instid1(VALU_DEP_1)
	v_dual_max_f32 v100, v101, v101 :: v_dual_max_f32 v101, v147, v147
	v_min_f32_e32 v147, v101, v100
.LBB6_4447:                             ;   in Loop: Header=BB6_3759 Depth=2
	s_waitcnt vmcnt(8) lgkmcnt(8)
	s_delay_alu instid0(VALU_DEP_1) | instskip(NEXT) | instid1(VALU_DEP_1)
	v_and_b32_e32 v100, 0x7f800000, v147
	v_cmp_ne_u32_e32 vcc_lo, 0x7f800000, v100
	v_mov_b32_e32 v100, 0x80
	s_and_saveexec_b32 s27, vcc_lo
	s_cbranch_execz .LBB6_4455
; %bb.4448:                             ;   in Loop: Header=BB6_3759 Depth=2
	v_mov_b32_e32 v100, 0
	s_mov_b32 s28, exec_lo
	v_cmpx_ne_u32_e32 0, v147
	s_cbranch_execz .LBB6_4454
; %bb.4449:                             ;   in Loop: Header=BB6_3759 Depth=2
	v_bfe_u32 v100, v147, 23, 8
	s_delay_alu instid0(VALU_DEP_1) | instskip(SKIP_1) | instid1(VALU_DEP_2)
	v_sub_nc_u32_e32 v150, 0x78, v100
	v_cmp_gt_u32_e32 vcc_lo, 0x79, v100
	v_dual_cndmask_b32 v150, 0, v150 :: v_dual_and_b32 v101, 0x7fffff, v147
	s_delay_alu instid0(VALU_DEP_1) | instskip(SKIP_2) | instid1(VALU_DEP_4)
	v_or_b32_e32 v161, 0x800000, v101
	v_cmp_eq_u32_e32 vcc_lo, 0, v100
	v_add_nc_u32_e32 v100, 0xffffff89, v100
	v_cndmask_b32_e64 v150, v150, 0x77, vcc_lo
	s_delay_alu instid0(VALU_DEP_4) | instskip(NEXT) | instid1(VALU_DEP_3)
	v_cndmask_b32_e32 v101, v161, v101, vcc_lo
	v_cndmask_b32_e64 v100, v100, 0xffffff8a, vcc_lo
	s_delay_alu instid0(VALU_DEP_3) | instskip(NEXT) | instid1(VALU_DEP_3)
	v_lshl_add_u32 v161, 0x100000, v150, -1
	v_lshrrev_b32_e32 v164, v150, v101
	v_lshlrev_b32_e64 v178, v150, 0x80000
	s_delay_alu instid0(VALU_DEP_4) | instskip(NEXT) | instid1(VALU_DEP_4)
	v_add_nc_u32_e32 v150, v150, v100
	v_and_b32_e32 v101, v161, v101
	s_delay_alu instid0(VALU_DEP_4) | instskip(NEXT) | instid1(VALU_DEP_2)
	v_bfe_u32 v167, v164, 20, 1
	v_cmp_eq_u32_e64 s11, v101, v178
	s_delay_alu instid0(VALU_DEP_2) | instskip(NEXT) | instid1(VALU_DEP_1)
	v_add_nc_u32_e32 v161, -1, v167
	v_cndmask_b32_e64 v101, 0, v161, s11
	v_lshrrev_b32_e32 v161, 23, v164
	s_mov_b32 s11, exec_lo
	s_delay_alu instid0(VALU_DEP_2) | instskip(NEXT) | instid1(VALU_DEP_2)
	v_add_nc_u32_e32 v101, v101, v164
	v_xor_b32_e32 v161, 1, v161
	s_delay_alu instid0(VALU_DEP_2) | instskip(NEXT) | instid1(VALU_DEP_1)
	v_and_b32_e32 v100, 0xfffff, v101
	v_add_nc_u32_e32 v101, v100, v164
                                        ; implicit-def: $vgpr100
	s_delay_alu instid0(VALU_DEP_3)
	v_cmpx_ne_u32_e64 v150, v161
	s_xor_b32 s11, exec_lo, s11
; %bb.4450:                             ;   in Loop: Header=BB6_3759 Depth=2
	s_delay_alu instid0(VALU_DEP_2) | instskip(SKIP_2) | instid1(VALU_DEP_2)
	v_cmp_lt_u32_e32 vcc_lo, 0xffffff, v101
	v_sub_nc_u32_e32 v100, v150, v161
	v_cndmask_b32_e64 v150, 0, 1, vcc_lo
	v_add_co_ci_u32_e32 v100, vcc_lo, 0, v100, vcc_lo
	s_delay_alu instid0(VALU_DEP_2)
	v_lshrrev_b32_e32 v101, v150, v101
; %bb.4451:                             ;   in Loop: Header=BB6_3759 Depth=2
	s_and_not1_saveexec_b32 s11, s11
; %bb.4452:                             ;   in Loop: Header=BB6_3759 Depth=2
	s_delay_alu instid0(VALU_DEP_1)
	v_bfe_u32 v100, v101, 23, 1
; %bb.4453:                             ;   in Loop: Header=BB6_3759 Depth=2
	s_or_b32 exec_lo, exec_lo, s11
	v_lshrrev_b32_e32 v101, 20, v101
	s_delay_alu instid0(VALU_DEP_2) | instskip(SKIP_2) | instid1(VALU_DEP_2)
	v_cmp_gt_i32_e32 vcc_lo, 16, v100
	v_min_i32_e32 v150, 15, v100
	v_lshrrev_b32_e32 v147, 24, v147
	v_dual_cndmask_b32 v101, 7, v101 :: v_dual_lshlrev_b32 v150, 3, v150
	s_delay_alu instid0(VALU_DEP_1) | instskip(SKIP_1) | instid1(VALU_DEP_2)
	v_or_b32_e32 v100, v100, v101
	v_and_b32_e32 v161, 7, v101
	v_cmp_ne_u32_e32 vcc_lo, 0, v100
	v_and_b32_e32 v147, 0x80, v147
	s_delay_alu instid0(VALU_DEP_1) | instskip(NEXT) | instid1(VALU_DEP_1)
	v_or3_b32 v101, v150, v147, v161
	v_cndmask_b32_e32 v100, 0, v101, vcc_lo
.LBB6_4454:                             ;   in Loop: Header=BB6_3759 Depth=2
	s_or_b32 exec_lo, exec_lo, s28
.LBB6_4455:                             ;   in Loop: Header=BB6_3759 Depth=2
	s_delay_alu instid0(SALU_CYCLE_1) | instskip(NEXT) | instid1(SALU_CYCLE_1)
	s_or_b32 exec_lo, exec_lo, s27
	s_and_not1_b32 vcc_lo, exec_lo, s25
	s_cbranch_vccnz .LBB6_4465
; %bb.4456:                             ;   in Loop: Header=BB6_3759 Depth=2
	v_and_b32_e32 v147, 0xff, v98
	s_mov_b32 s11, 0
	s_mov_b32 s28, exec_lo
                                        ; implicit-def: $sgpr27
	s_delay_alu instid0(VALU_DEP_1)
	v_cmpx_lt_i16_e64 0x7f, v147
	s_xor_b32 s28, exec_lo, s28
	s_cbranch_execnz .LBB6_5069
; %bb.4457:                             ;   in Loop: Header=BB6_3759 Depth=2
	s_or_saveexec_b32 s28, s28
	v_mov_b32_e32 v101, s27
	s_xor_b32 exec_lo, exec_lo, s28
	s_cbranch_execnz .LBB6_5072
.LBB6_4458:                             ;   in Loop: Header=BB6_3759 Depth=2
	s_or_b32 exec_lo, exec_lo, s28
	s_and_saveexec_b32 s27, s11
	s_cbranch_execz .LBB6_4460
.LBB6_4459:                             ;   in Loop: Header=BB6_3759 Depth=2
	v_and_b32_e32 v101, 7, v98
	v_lshrrev_b16 v161, 3, v98
	v_lshlrev_b32_e32 v164, 24, v98
	s_delay_alu instid0(VALU_DEP_3) | instskip(NEXT) | instid1(VALU_DEP_3)
	v_clz_i32_u32_e32 v147, v101
	v_and_b32_e32 v161, 15, v161
	s_delay_alu instid0(VALU_DEP_2) | instskip(NEXT) | instid1(VALU_DEP_2)
	v_min_u32_e32 v147, 32, v147
	v_cmp_eq_u32_e32 vcc_lo, 0, v161
	s_delay_alu instid0(VALU_DEP_2) | instskip(SKIP_1) | instid1(VALU_DEP_1)
	v_subrev_nc_u32_e32 v150, 28, v147
	v_sub_nc_u32_e32 v147, 29, v147
	v_dual_cndmask_b32 v147, v161, v147 :: v_dual_lshlrev_b32 v150, v150, v98
	s_delay_alu instid0(VALU_DEP_1) | instskip(NEXT) | instid1(VALU_DEP_2)
	v_and_b32_e32 v150, 7, v150
	v_lshl_add_u32 v147, v147, 23, 0x3b800000
	s_delay_alu instid0(VALU_DEP_2) | instskip(NEXT) | instid1(VALU_DEP_1)
	v_dual_cndmask_b32 v101, v101, v150 :: v_dual_and_b32 v150, 0x80000000, v164
	v_lshlrev_b32_e32 v101, 20, v101
	s_delay_alu instid0(VALU_DEP_1)
	v_or3_b32 v101, v150, v147, v101
.LBB6_4460:                             ;   in Loop: Header=BB6_3759 Depth=2
	s_or_b32 exec_lo, exec_lo, s27
	s_waitcnt vmcnt(7) lgkmcnt(7)
	v_and_b32_e32 v150, 0xff, v97
	s_mov_b32 s11, 0
	s_mov_b32 s28, exec_lo
                                        ; implicit-def: $sgpr27
	s_delay_alu instid0(VALU_DEP_1)
	v_cmpx_lt_i16_e64 0x7f, v150
	s_xor_b32 s28, exec_lo, s28
	s_cbranch_execnz .LBB6_5073
; %bb.4461:                             ;   in Loop: Header=BB6_3759 Depth=2
	s_or_saveexec_b32 s28, s28
	v_mov_b32_e32 v147, s27
	s_xor_b32 exec_lo, exec_lo, s28
	s_cbranch_execnz .LBB6_5076
.LBB6_4462:                             ;   in Loop: Header=BB6_3759 Depth=2
	s_or_b32 exec_lo, exec_lo, s28
	s_and_saveexec_b32 s27, s11
	s_cbranch_execz .LBB6_4464
.LBB6_4463:                             ;   in Loop: Header=BB6_3759 Depth=2
	v_lshrrev_b16 v164, 3, v97
	v_lshlrev_b32_e32 v167, 24, v97
	s_delay_alu instid0(VALU_DEP_2) | instskip(NEXT) | instid1(VALU_DEP_1)
	v_and_b32_e32 v164, 15, v164
	v_cmp_eq_u32_e32 vcc_lo, 0, v164
	v_and_b32_e32 v147, 7, v97
	s_delay_alu instid0(VALU_DEP_1) | instskip(NEXT) | instid1(VALU_DEP_1)
	v_clz_i32_u32_e32 v150, v147
	v_min_u32_e32 v150, 32, v150
	s_delay_alu instid0(VALU_DEP_1) | instskip(SKIP_1) | instid1(VALU_DEP_1)
	v_subrev_nc_u32_e32 v161, 28, v150
	v_sub_nc_u32_e32 v150, 29, v150
	v_dual_cndmask_b32 v150, v164, v150 :: v_dual_lshlrev_b32 v161, v161, v97
	s_delay_alu instid0(VALU_DEP_1) | instskip(NEXT) | instid1(VALU_DEP_2)
	v_and_b32_e32 v161, 7, v161
	v_lshl_add_u32 v150, v150, 23, 0x3b800000
	s_delay_alu instid0(VALU_DEP_2) | instskip(SKIP_1) | instid1(VALU_DEP_2)
	v_cndmask_b32_e32 v147, v147, v161, vcc_lo
	v_and_b32_e32 v161, 0x80000000, v167
	v_lshlrev_b32_e32 v147, 20, v147
	s_delay_alu instid0(VALU_DEP_1)
	v_or3_b32 v147, v161, v150, v147
.LBB6_4464:                             ;   in Loop: Header=BB6_3759 Depth=2
	s_or_b32 exec_lo, exec_lo, s27
	s_delay_alu instid0(VALU_DEP_1) | instskip(SKIP_2) | instid1(VALU_DEP_1)
	v_max_f32_e32 v147, v147, v147
	v_max_f32_e32 v101, v101, v101
	s_mov_b32 s11, 0
	v_max_f32_e32 v101, v101, v147
	s_branch .LBB6_4466
.LBB6_4465:                             ;   in Loop: Header=BB6_3759 Depth=2
	s_mov_b32 s11, -1
                                        ; implicit-def: $vgpr101
.LBB6_4466:                             ;   in Loop: Header=BB6_3759 Depth=2
	s_delay_alu instid0(SALU_CYCLE_1)
	s_and_b32 vcc_lo, exec_lo, s11
	s_cbranch_vccz .LBB6_4476
; %bb.4467:                             ;   in Loop: Header=BB6_3759 Depth=2
	v_and_b32_e32 v147, 0xff, v98
	s_mov_b32 s11, 0
	s_mov_b32 s28, exec_lo
                                        ; implicit-def: $sgpr27
	s_delay_alu instid0(VALU_DEP_1)
	v_cmpx_lt_i16_e64 0x7f, v147
	s_xor_b32 s28, exec_lo, s28
	s_cbranch_execnz .LBB6_5077
; %bb.4468:                             ;   in Loop: Header=BB6_3759 Depth=2
	s_or_saveexec_b32 s28, s28
	v_mov_b32_e32 v101, s27
	s_xor_b32 exec_lo, exec_lo, s28
	s_cbranch_execnz .LBB6_5080
.LBB6_4469:                             ;   in Loop: Header=BB6_3759 Depth=2
	s_or_b32 exec_lo, exec_lo, s28
	s_and_saveexec_b32 s27, s11
	s_cbranch_execz .LBB6_4471
.LBB6_4470:                             ;   in Loop: Header=BB6_3759 Depth=2
	v_and_b32_e32 v101, 7, v98
	v_lshrrev_b16 v161, 3, v98
	s_delay_alu instid0(VALU_DEP_2) | instskip(NEXT) | instid1(VALU_DEP_2)
	v_clz_i32_u32_e32 v147, v101
	v_and_b32_e32 v161, 15, v161
	s_delay_alu instid0(VALU_DEP_2) | instskip(NEXT) | instid1(VALU_DEP_2)
	v_min_u32_e32 v147, 32, v147
	v_cmp_eq_u32_e32 vcc_lo, 0, v161
	s_delay_alu instid0(VALU_DEP_2) | instskip(SKIP_1) | instid1(VALU_DEP_1)
	v_subrev_nc_u32_e32 v150, 28, v147
	v_sub_nc_u32_e32 v147, 29, v147
	v_dual_cndmask_b32 v147, v161, v147 :: v_dual_lshlrev_b32 v150, v150, v98
	v_lshlrev_b32_e32 v98, 24, v98
	s_delay_alu instid0(VALU_DEP_2) | instskip(NEXT) | instid1(VALU_DEP_3)
	v_and_b32_e32 v150, 7, v150
	v_lshl_add_u32 v147, v147, 23, 0x3b800000
	s_delay_alu instid0(VALU_DEP_3) | instskip(NEXT) | instid1(VALU_DEP_3)
	v_and_b32_e32 v98, 0x80000000, v98
	v_cndmask_b32_e32 v101, v101, v150, vcc_lo
	s_delay_alu instid0(VALU_DEP_1) | instskip(NEXT) | instid1(VALU_DEP_1)
	v_lshlrev_b32_e32 v101, 20, v101
	v_or3_b32 v101, v98, v147, v101
.LBB6_4471:                             ;   in Loop: Header=BB6_3759 Depth=2
	s_or_b32 exec_lo, exec_lo, s27
	s_waitcnt vmcnt(7) lgkmcnt(7)
	v_and_b32_e32 v147, 0xff, v97
	s_mov_b32 s11, 0
	s_mov_b32 s28, exec_lo
                                        ; implicit-def: $sgpr27
	s_delay_alu instid0(VALU_DEP_1)
	v_cmpx_lt_i16_e64 0x7f, v147
	s_xor_b32 s28, exec_lo, s28
	s_cbranch_execnz .LBB6_5081
; %bb.4472:                             ;   in Loop: Header=BB6_3759 Depth=2
	s_or_saveexec_b32 s28, s28
	v_mov_b32_e32 v98, s27
	s_xor_b32 exec_lo, exec_lo, s28
	s_cbranch_execnz .LBB6_5084
.LBB6_4473:                             ;   in Loop: Header=BB6_3759 Depth=2
	s_or_b32 exec_lo, exec_lo, s28
	s_and_saveexec_b32 s27, s11
	s_cbranch_execz .LBB6_4475
.LBB6_4474:                             ;   in Loop: Header=BB6_3759 Depth=2
	v_lshrrev_b16 v161, 3, v97
	s_delay_alu instid0(VALU_DEP_1) | instskip(NEXT) | instid1(VALU_DEP_1)
	v_and_b32_e32 v161, 15, v161
	v_cmp_eq_u32_e32 vcc_lo, 0, v161
	v_and_b32_e32 v98, 7, v97
	s_delay_alu instid0(VALU_DEP_1) | instskip(NEXT) | instid1(VALU_DEP_1)
	v_clz_i32_u32_e32 v147, v98
	v_min_u32_e32 v147, 32, v147
	s_delay_alu instid0(VALU_DEP_1) | instskip(SKIP_1) | instid1(VALU_DEP_1)
	v_subrev_nc_u32_e32 v150, 28, v147
	v_sub_nc_u32_e32 v147, 29, v147
	v_dual_cndmask_b32 v147, v161, v147 :: v_dual_lshlrev_b32 v150, v150, v97
	v_lshlrev_b32_e32 v97, 24, v97
	s_delay_alu instid0(VALU_DEP_2) | instskip(NEXT) | instid1(VALU_DEP_3)
	v_and_b32_e32 v150, 7, v150
	v_lshl_add_u32 v147, v147, 23, 0x3b800000
	s_delay_alu instid0(VALU_DEP_2) | instskip(NEXT) | instid1(VALU_DEP_1)
	v_dual_cndmask_b32 v98, v98, v150 :: v_dual_and_b32 v97, 0x80000000, v97
	v_lshlrev_b32_e32 v98, 20, v98
	s_delay_alu instid0(VALU_DEP_1)
	v_or3_b32 v98, v97, v147, v98
.LBB6_4475:                             ;   in Loop: Header=BB6_3759 Depth=2
	s_or_b32 exec_lo, exec_lo, s27
	s_delay_alu instid0(VALU_DEP_1) | instskip(NEXT) | instid1(VALU_DEP_1)
	v_dual_max_f32 v97, v98, v98 :: v_dual_max_f32 v98, v101, v101
	v_min_f32_e32 v101, v98, v97
.LBB6_4476:                             ;   in Loop: Header=BB6_3759 Depth=2
	s_waitcnt vmcnt(7) lgkmcnt(7)
	s_delay_alu instid0(VALU_DEP_1) | instskip(NEXT) | instid1(VALU_DEP_1)
	v_and_b32_e32 v97, 0x7f800000, v101
	v_cmp_ne_u32_e32 vcc_lo, 0x7f800000, v97
	v_mov_b32_e32 v97, 0x80
	s_and_saveexec_b32 s27, vcc_lo
	s_cbranch_execz .LBB6_4484
; %bb.4477:                             ;   in Loop: Header=BB6_3759 Depth=2
	v_mov_b32_e32 v97, 0
	s_mov_b32 s28, exec_lo
	v_cmpx_ne_u32_e32 0, v101
	s_cbranch_execz .LBB6_4483
; %bb.4478:                             ;   in Loop: Header=BB6_3759 Depth=2
	v_bfe_u32 v97, v101, 23, 8
	s_delay_alu instid0(VALU_DEP_1) | instskip(SKIP_1) | instid1(VALU_DEP_2)
	v_sub_nc_u32_e32 v147, 0x78, v97
	v_cmp_gt_u32_e32 vcc_lo, 0x79, v97
	v_dual_cndmask_b32 v147, 0, v147 :: v_dual_and_b32 v98, 0x7fffff, v101
	s_delay_alu instid0(VALU_DEP_1) | instskip(SKIP_2) | instid1(VALU_DEP_4)
	v_or_b32_e32 v150, 0x800000, v98
	v_cmp_eq_u32_e32 vcc_lo, 0, v97
	v_add_nc_u32_e32 v97, 0xffffff89, v97
	v_cndmask_b32_e64 v147, v147, 0x77, vcc_lo
	s_delay_alu instid0(VALU_DEP_4) | instskip(NEXT) | instid1(VALU_DEP_3)
	v_cndmask_b32_e32 v98, v150, v98, vcc_lo
	v_cndmask_b32_e64 v97, v97, 0xffffff8a, vcc_lo
	s_delay_alu instid0(VALU_DEP_3) | instskip(NEXT) | instid1(VALU_DEP_3)
	v_lshl_add_u32 v150, 0x100000, v147, -1
	v_lshrrev_b32_e32 v161, v147, v98
	v_lshlrev_b32_e64 v167, v147, 0x80000
	s_delay_alu instid0(VALU_DEP_4) | instskip(NEXT) | instid1(VALU_DEP_4)
	v_add_nc_u32_e32 v147, v147, v97
	v_and_b32_e32 v98, v150, v98
	s_delay_alu instid0(VALU_DEP_4) | instskip(NEXT) | instid1(VALU_DEP_2)
	v_bfe_u32 v164, v161, 20, 1
	v_cmp_eq_u32_e64 s11, v98, v167
	s_delay_alu instid0(VALU_DEP_2) | instskip(NEXT) | instid1(VALU_DEP_1)
	v_add_nc_u32_e32 v150, -1, v164
	v_cndmask_b32_e64 v98, 0, v150, s11
	v_lshrrev_b32_e32 v150, 23, v161
	s_mov_b32 s11, exec_lo
	s_delay_alu instid0(VALU_DEP_2) | instskip(NEXT) | instid1(VALU_DEP_2)
	v_add_nc_u32_e32 v98, v98, v161
	v_xor_b32_e32 v150, 1, v150
	s_delay_alu instid0(VALU_DEP_2) | instskip(NEXT) | instid1(VALU_DEP_1)
	v_and_b32_e32 v97, 0xfffff, v98
	v_add_nc_u32_e32 v98, v97, v161
                                        ; implicit-def: $vgpr97
	s_delay_alu instid0(VALU_DEP_3)
	v_cmpx_ne_u32_e64 v147, v150
	s_xor_b32 s11, exec_lo, s11
; %bb.4479:                             ;   in Loop: Header=BB6_3759 Depth=2
	s_delay_alu instid0(VALU_DEP_2) | instskip(SKIP_2) | instid1(VALU_DEP_2)
	v_cmp_lt_u32_e32 vcc_lo, 0xffffff, v98
	v_sub_nc_u32_e32 v97, v147, v150
	v_cndmask_b32_e64 v147, 0, 1, vcc_lo
	v_add_co_ci_u32_e32 v97, vcc_lo, 0, v97, vcc_lo
	s_delay_alu instid0(VALU_DEP_2)
	v_lshrrev_b32_e32 v98, v147, v98
; %bb.4480:                             ;   in Loop: Header=BB6_3759 Depth=2
	s_and_not1_saveexec_b32 s11, s11
; %bb.4481:                             ;   in Loop: Header=BB6_3759 Depth=2
	s_delay_alu instid0(VALU_DEP_1)
	v_bfe_u32 v97, v98, 23, 1
; %bb.4482:                             ;   in Loop: Header=BB6_3759 Depth=2
	s_or_b32 exec_lo, exec_lo, s11
	v_lshrrev_b32_e32 v98, 20, v98
	s_delay_alu instid0(VALU_DEP_2) | instskip(SKIP_2) | instid1(VALU_DEP_2)
	v_cmp_gt_i32_e32 vcc_lo, 16, v97
	v_lshrrev_b32_e32 v101, 24, v101
	v_min_i32_e32 v147, 15, v97
	v_dual_cndmask_b32 v98, 7, v98 :: v_dual_and_b32 v101, 0x80, v101
	s_delay_alu instid0(VALU_DEP_2) | instskip(NEXT) | instid1(VALU_DEP_2)
	v_lshlrev_b32_e32 v147, 3, v147
	v_and_b32_e32 v150, 7, v98
	v_or_b32_e32 v97, v97, v98
	s_delay_alu instid0(VALU_DEP_2) | instskip(NEXT) | instid1(VALU_DEP_2)
	v_or3_b32 v98, v147, v101, v150
	v_cmp_ne_u32_e32 vcc_lo, 0, v97
	s_delay_alu instid0(VALU_DEP_2)
	v_cndmask_b32_e32 v97, 0, v98, vcc_lo
.LBB6_4483:                             ;   in Loop: Header=BB6_3759 Depth=2
	s_or_b32 exec_lo, exec_lo, s28
.LBB6_4484:                             ;   in Loop: Header=BB6_3759 Depth=2
	s_delay_alu instid0(SALU_CYCLE_1) | instskip(NEXT) | instid1(SALU_CYCLE_1)
	s_or_b32 exec_lo, exec_lo, s27
	s_and_not1_b32 vcc_lo, exec_lo, s25
	s_cbranch_vccnz .LBB6_4494
; %bb.4485:                             ;   in Loop: Header=BB6_3759 Depth=2
	v_and_b32_e32 v101, 0xff, v50
	s_mov_b32 s11, 0
	s_mov_b32 s28, exec_lo
                                        ; implicit-def: $sgpr27
	s_delay_alu instid0(VALU_DEP_1)
	v_cmpx_lt_i16_e32 0x7f, v101
	s_xor_b32 s28, exec_lo, s28
	s_cbranch_execnz .LBB6_5085
; %bb.4486:                             ;   in Loop: Header=BB6_3759 Depth=2
	s_or_saveexec_b32 s28, s28
	v_mov_b32_e32 v98, s27
	s_xor_b32 exec_lo, exec_lo, s28
	s_cbranch_execnz .LBB6_5088
.LBB6_4487:                             ;   in Loop: Header=BB6_3759 Depth=2
	s_or_b32 exec_lo, exec_lo, s28
	s_and_saveexec_b32 s27, s11
	s_cbranch_execz .LBB6_4489
.LBB6_4488:                             ;   in Loop: Header=BB6_3759 Depth=2
	v_lshrrev_b16 v150, 3, v50
	s_delay_alu instid0(VALU_DEP_1) | instskip(NEXT) | instid1(VALU_DEP_1)
	v_and_b32_e32 v150, 15, v150
	v_cmp_eq_u32_e32 vcc_lo, 0, v150
	v_and_b32_e32 v98, 7, v50
	s_delay_alu instid0(VALU_DEP_1) | instskip(NEXT) | instid1(VALU_DEP_1)
	v_clz_i32_u32_e32 v101, v98
	v_min_u32_e32 v101, 32, v101
	s_delay_alu instid0(VALU_DEP_1) | instskip(SKIP_1) | instid1(VALU_DEP_2)
	v_subrev_nc_u32_e32 v147, 28, v101
	v_sub_nc_u32_e32 v101, 29, v101
	v_lshlrev_b32_e32 v147, v147, v50
	s_delay_alu instid0(VALU_DEP_2) | instskip(NEXT) | instid1(VALU_DEP_2)
	v_cndmask_b32_e32 v101, v150, v101, vcc_lo
	v_and_b32_e32 v147, 7, v147
	v_lshlrev_b32_e32 v161, 24, v50
	s_delay_alu instid0(VALU_DEP_3) | instskip(NEXT) | instid1(VALU_DEP_2)
	v_lshl_add_u32 v101, v101, 23, 0x3b800000
	v_dual_cndmask_b32 v98, v98, v147 :: v_dual_and_b32 v147, 0x80000000, v161
	s_delay_alu instid0(VALU_DEP_1) | instskip(NEXT) | instid1(VALU_DEP_1)
	v_lshlrev_b32_e32 v98, 20, v98
	v_or3_b32 v98, v147, v101, v98
.LBB6_4489:                             ;   in Loop: Header=BB6_3759 Depth=2
	s_or_b32 exec_lo, exec_lo, s27
	s_waitcnt vmcnt(6) lgkmcnt(6)
	v_and_b32_e32 v147, 0xff, v49
	s_mov_b32 s11, 0
	s_mov_b32 s28, exec_lo
                                        ; implicit-def: $sgpr27
	s_delay_alu instid0(VALU_DEP_1)
	v_cmpx_lt_i16_e64 0x7f, v147
	s_xor_b32 s28, exec_lo, s28
	s_cbranch_execnz .LBB6_5089
; %bb.4490:                             ;   in Loop: Header=BB6_3759 Depth=2
	s_or_saveexec_b32 s28, s28
	v_mov_b32_e32 v101, s27
	s_xor_b32 exec_lo, exec_lo, s28
	s_cbranch_execnz .LBB6_5092
.LBB6_4491:                             ;   in Loop: Header=BB6_3759 Depth=2
	s_or_b32 exec_lo, exec_lo, s28
	s_and_saveexec_b32 s27, s11
	s_cbranch_execz .LBB6_4493
.LBB6_4492:                             ;   in Loop: Header=BB6_3759 Depth=2
	v_and_b32_e32 v101, 7, v49
	v_lshrrev_b16 v161, 3, v49
	s_delay_alu instid0(VALU_DEP_2) | instskip(NEXT) | instid1(VALU_DEP_2)
	v_clz_i32_u32_e32 v147, v101
	v_and_b32_e32 v161, 15, v161
	s_delay_alu instid0(VALU_DEP_2) | instskip(NEXT) | instid1(VALU_DEP_2)
	v_min_u32_e32 v147, 32, v147
	v_cmp_eq_u32_e32 vcc_lo, 0, v161
	s_delay_alu instid0(VALU_DEP_2) | instskip(SKIP_1) | instid1(VALU_DEP_1)
	v_subrev_nc_u32_e32 v150, 28, v147
	v_sub_nc_u32_e32 v147, 29, v147
	v_dual_cndmask_b32 v147, v161, v147 :: v_dual_lshlrev_b32 v150, v150, v49
	s_delay_alu instid0(VALU_DEP_1) | instskip(SKIP_1) | instid1(VALU_DEP_3)
	v_and_b32_e32 v150, 7, v150
	v_lshlrev_b32_e32 v164, 24, v49
	v_lshl_add_u32 v147, v147, 23, 0x3b800000
	s_delay_alu instid0(VALU_DEP_2) | instskip(NEXT) | instid1(VALU_DEP_1)
	v_dual_cndmask_b32 v101, v101, v150 :: v_dual_and_b32 v150, 0x80000000, v164
	v_lshlrev_b32_e32 v101, 20, v101
	s_delay_alu instid0(VALU_DEP_1)
	v_or3_b32 v101, v150, v147, v101
.LBB6_4493:                             ;   in Loop: Header=BB6_3759 Depth=2
	s_or_b32 exec_lo, exec_lo, s27
	s_delay_alu instid0(VALU_DEP_1) | instskip(SKIP_1) | instid1(VALU_DEP_1)
	v_dual_max_f32 v101, v101, v101 :: v_dual_max_f32 v98, v98, v98
	s_mov_b32 s11, 0
	v_max_f32_e32 v98, v98, v101
	s_branch .LBB6_4495
.LBB6_4494:                             ;   in Loop: Header=BB6_3759 Depth=2
	s_mov_b32 s11, -1
                                        ; implicit-def: $vgpr98
.LBB6_4495:                             ;   in Loop: Header=BB6_3759 Depth=2
	s_delay_alu instid0(SALU_CYCLE_1)
	s_and_b32 vcc_lo, exec_lo, s11
	s_cbranch_vccz .LBB6_4505
; %bb.4496:                             ;   in Loop: Header=BB6_3759 Depth=2
	v_and_b32_e32 v101, 0xff, v50
	s_mov_b32 s11, 0
	s_mov_b32 s28, exec_lo
                                        ; implicit-def: $sgpr27
	s_delay_alu instid0(VALU_DEP_1)
	v_cmpx_lt_i16_e32 0x7f, v101
	s_xor_b32 s28, exec_lo, s28
	s_cbranch_execnz .LBB6_5093
; %bb.4497:                             ;   in Loop: Header=BB6_3759 Depth=2
	s_or_saveexec_b32 s28, s28
	v_mov_b32_e32 v98, s27
	s_xor_b32 exec_lo, exec_lo, s28
	s_cbranch_execnz .LBB6_5096
.LBB6_4498:                             ;   in Loop: Header=BB6_3759 Depth=2
	s_or_b32 exec_lo, exec_lo, s28
	s_and_saveexec_b32 s27, s11
	s_cbranch_execz .LBB6_4500
.LBB6_4499:                             ;   in Loop: Header=BB6_3759 Depth=2
	v_lshrrev_b16 v150, 3, v50
	s_delay_alu instid0(VALU_DEP_1) | instskip(NEXT) | instid1(VALU_DEP_1)
	v_and_b32_e32 v150, 15, v150
	v_cmp_eq_u32_e32 vcc_lo, 0, v150
	v_and_b32_e32 v98, 7, v50
	s_delay_alu instid0(VALU_DEP_1) | instskip(NEXT) | instid1(VALU_DEP_1)
	v_clz_i32_u32_e32 v101, v98
	v_min_u32_e32 v101, 32, v101
	s_delay_alu instid0(VALU_DEP_1) | instskip(SKIP_1) | instid1(VALU_DEP_2)
	v_subrev_nc_u32_e32 v147, 28, v101
	v_sub_nc_u32_e32 v101, 29, v101
	v_lshlrev_b32_e32 v147, v147, v50
	s_delay_alu instid0(VALU_DEP_2) | instskip(NEXT) | instid1(VALU_DEP_2)
	v_dual_cndmask_b32 v101, v150, v101 :: v_dual_lshlrev_b32 v50, 24, v50
	v_and_b32_e32 v147, 7, v147
	s_delay_alu instid0(VALU_DEP_2) | instskip(NEXT) | instid1(VALU_DEP_3)
	v_lshl_add_u32 v101, v101, 23, 0x3b800000
	v_and_b32_e32 v50, 0x80000000, v50
	s_delay_alu instid0(VALU_DEP_3) | instskip(NEXT) | instid1(VALU_DEP_1)
	v_cndmask_b32_e32 v98, v98, v147, vcc_lo
	v_lshlrev_b32_e32 v98, 20, v98
	s_delay_alu instid0(VALU_DEP_1)
	v_or3_b32 v98, v50, v101, v98
.LBB6_4500:                             ;   in Loop: Header=BB6_3759 Depth=2
	s_or_b32 exec_lo, exec_lo, s27
	s_waitcnt vmcnt(6) lgkmcnt(6)
	v_and_b32_e32 v101, 0xff, v49
	s_mov_b32 s11, 0
	s_mov_b32 s28, exec_lo
                                        ; implicit-def: $sgpr27
	s_delay_alu instid0(VALU_DEP_1)
	v_cmpx_lt_i16_e32 0x7f, v101
	s_xor_b32 s28, exec_lo, s28
	s_cbranch_execnz .LBB6_5097
; %bb.4501:                             ;   in Loop: Header=BB6_3759 Depth=2
	s_or_saveexec_b32 s28, s28
	v_mov_b32_e32 v50, s27
	s_xor_b32 exec_lo, exec_lo, s28
	s_cbranch_execnz .LBB6_5100
.LBB6_4502:                             ;   in Loop: Header=BB6_3759 Depth=2
	s_or_b32 exec_lo, exec_lo, s28
	s_and_saveexec_b32 s27, s11
	s_cbranch_execz .LBB6_4504
.LBB6_4503:                             ;   in Loop: Header=BB6_3759 Depth=2
	v_and_b32_e32 v50, 7, v49
	v_lshrrev_b16 v150, 3, v49
	s_delay_alu instid0(VALU_DEP_2) | instskip(NEXT) | instid1(VALU_DEP_2)
	v_clz_i32_u32_e32 v101, v50
	v_and_b32_e32 v150, 15, v150
	s_delay_alu instid0(VALU_DEP_2) | instskip(NEXT) | instid1(VALU_DEP_2)
	v_min_u32_e32 v101, 32, v101
	v_cmp_eq_u32_e32 vcc_lo, 0, v150
	s_delay_alu instid0(VALU_DEP_2) | instskip(SKIP_1) | instid1(VALU_DEP_2)
	v_subrev_nc_u32_e32 v147, 28, v101
	v_sub_nc_u32_e32 v101, 29, v101
	v_lshlrev_b32_e32 v147, v147, v49
	s_delay_alu instid0(VALU_DEP_1) | instskip(NEXT) | instid1(VALU_DEP_1)
	v_and_b32_e32 v147, 7, v147
	v_dual_cndmask_b32 v50, v50, v147 :: v_dual_lshlrev_b32 v49, 24, v49
	s_delay_alu instid0(VALU_DEP_4) | instskip(NEXT) | instid1(VALU_DEP_2)
	v_cndmask_b32_e32 v101, v150, v101, vcc_lo
	v_and_b32_e32 v49, 0x80000000, v49
	s_delay_alu instid0(VALU_DEP_3) | instskip(NEXT) | instid1(VALU_DEP_3)
	v_lshlrev_b32_e32 v50, 20, v50
	v_lshl_add_u32 v101, v101, 23, 0x3b800000
	s_delay_alu instid0(VALU_DEP_1)
	v_or3_b32 v50, v49, v101, v50
.LBB6_4504:                             ;   in Loop: Header=BB6_3759 Depth=2
	s_or_b32 exec_lo, exec_lo, s27
	s_delay_alu instid0(VALU_DEP_1) | instskip(SKIP_1) | instid1(VALU_DEP_1)
	v_max_f32_e32 v49, v50, v50
	v_max_f32_e32 v50, v98, v98
	v_min_f32_e32 v98, v50, v49
.LBB6_4505:                             ;   in Loop: Header=BB6_3759 Depth=2
	s_waitcnt vmcnt(6) lgkmcnt(6)
	s_delay_alu instid0(VALU_DEP_1) | instskip(NEXT) | instid1(VALU_DEP_1)
	v_and_b32_e32 v49, 0x7f800000, v98
	v_cmp_ne_u32_e32 vcc_lo, 0x7f800000, v49
	v_mov_b32_e32 v49, 0x80
	s_and_saveexec_b32 s27, vcc_lo
	s_cbranch_execz .LBB6_4513
; %bb.4506:                             ;   in Loop: Header=BB6_3759 Depth=2
	v_mov_b32_e32 v49, 0
	s_mov_b32 s28, exec_lo
	v_cmpx_ne_u32_e32 0, v98
	s_cbranch_execz .LBB6_4512
; %bb.4507:                             ;   in Loop: Header=BB6_3759 Depth=2
	v_bfe_u32 v49, v98, 23, 8
	s_delay_alu instid0(VALU_DEP_1) | instskip(SKIP_1) | instid1(VALU_DEP_2)
	v_sub_nc_u32_e32 v101, 0x78, v49
	v_cmp_gt_u32_e32 vcc_lo, 0x79, v49
	v_dual_cndmask_b32 v101, 0, v101 :: v_dual_and_b32 v50, 0x7fffff, v98
	s_delay_alu instid0(VALU_DEP_1) | instskip(SKIP_2) | instid1(VALU_DEP_4)
	v_or_b32_e32 v147, 0x800000, v50
	v_cmp_eq_u32_e32 vcc_lo, 0, v49
	v_add_nc_u32_e32 v49, 0xffffff89, v49
	v_cndmask_b32_e64 v101, v101, 0x77, vcc_lo
	s_delay_alu instid0(VALU_DEP_4) | instskip(NEXT) | instid1(VALU_DEP_3)
	v_cndmask_b32_e32 v50, v147, v50, vcc_lo
	v_cndmask_b32_e64 v49, v49, 0xffffff8a, vcc_lo
	s_delay_alu instid0(VALU_DEP_3) | instskip(NEXT) | instid1(VALU_DEP_3)
	v_lshl_add_u32 v147, 0x100000, v101, -1
	v_lshrrev_b32_e32 v150, v101, v50
	v_lshlrev_b32_e64 v164, v101, 0x80000
	s_delay_alu instid0(VALU_DEP_4) | instskip(NEXT) | instid1(VALU_DEP_4)
	v_add_nc_u32_e32 v101, v101, v49
	v_and_b32_e32 v50, v147, v50
	s_delay_alu instid0(VALU_DEP_4) | instskip(NEXT) | instid1(VALU_DEP_2)
	v_bfe_u32 v161, v150, 20, 1
	v_cmp_eq_u32_e64 s11, v50, v164
	s_delay_alu instid0(VALU_DEP_2) | instskip(NEXT) | instid1(VALU_DEP_1)
	v_add_nc_u32_e32 v147, -1, v161
	v_cndmask_b32_e64 v50, 0, v147, s11
	v_lshrrev_b32_e32 v147, 23, v150
	s_mov_b32 s11, exec_lo
	s_delay_alu instid0(VALU_DEP_2) | instskip(NEXT) | instid1(VALU_DEP_2)
	v_add_nc_u32_e32 v50, v50, v150
	v_xor_b32_e32 v147, 1, v147
	s_delay_alu instid0(VALU_DEP_2) | instskip(NEXT) | instid1(VALU_DEP_1)
	v_and_b32_e32 v49, 0xfffff, v50
	v_add_nc_u32_e32 v50, v49, v150
                                        ; implicit-def: $vgpr49
	s_delay_alu instid0(VALU_DEP_3)
	v_cmpx_ne_u32_e64 v101, v147
	s_xor_b32 s11, exec_lo, s11
; %bb.4508:                             ;   in Loop: Header=BB6_3759 Depth=2
	s_delay_alu instid0(VALU_DEP_2) | instskip(SKIP_2) | instid1(VALU_DEP_2)
	v_cmp_lt_u32_e32 vcc_lo, 0xffffff, v50
	v_sub_nc_u32_e32 v49, v101, v147
	v_cndmask_b32_e64 v101, 0, 1, vcc_lo
	v_add_co_ci_u32_e32 v49, vcc_lo, 0, v49, vcc_lo
	s_delay_alu instid0(VALU_DEP_2)
	v_lshrrev_b32_e32 v50, v101, v50
; %bb.4509:                             ;   in Loop: Header=BB6_3759 Depth=2
	s_and_not1_saveexec_b32 s11, s11
; %bb.4510:                             ;   in Loop: Header=BB6_3759 Depth=2
	s_delay_alu instid0(VALU_DEP_1)
	v_bfe_u32 v49, v50, 23, 1
; %bb.4511:                             ;   in Loop: Header=BB6_3759 Depth=2
	s_or_b32 exec_lo, exec_lo, s11
	v_lshrrev_b32_e32 v50, 20, v50
	s_delay_alu instid0(VALU_DEP_2) | instskip(SKIP_2) | instid1(VALU_DEP_4)
	v_cmp_gt_i32_e32 vcc_lo, 16, v49
	v_lshrrev_b32_e32 v98, 24, v98
	v_min_i32_e32 v101, 15, v49
	v_cndmask_b32_e32 v50, 7, v50, vcc_lo
	s_delay_alu instid0(VALU_DEP_3) | instskip(NEXT) | instid1(VALU_DEP_3)
	v_and_b32_e32 v98, 0x80, v98
	v_lshlrev_b32_e32 v101, 3, v101
	s_delay_alu instid0(VALU_DEP_3) | instskip(SKIP_1) | instid1(VALU_DEP_2)
	v_and_b32_e32 v147, 7, v50
	v_or_b32_e32 v49, v49, v50
	v_or3_b32 v50, v101, v98, v147
	s_delay_alu instid0(VALU_DEP_2) | instskip(NEXT) | instid1(VALU_DEP_2)
	v_cmp_ne_u32_e32 vcc_lo, 0, v49
	v_cndmask_b32_e32 v49, 0, v50, vcc_lo
.LBB6_4512:                             ;   in Loop: Header=BB6_3759 Depth=2
	s_or_b32 exec_lo, exec_lo, s28
.LBB6_4513:                             ;   in Loop: Header=BB6_3759 Depth=2
	s_delay_alu instid0(SALU_CYCLE_1) | instskip(NEXT) | instid1(SALU_CYCLE_1)
	s_or_b32 exec_lo, exec_lo, s27
	s_and_not1_b32 vcc_lo, exec_lo, s25
	s_cbranch_vccnz .LBB6_4523
; %bb.4514:                             ;   in Loop: Header=BB6_3759 Depth=2
	v_and_b32_e32 v98, 0xff, v39
	s_mov_b32 s11, 0
	s_mov_b32 s28, exec_lo
                                        ; implicit-def: $sgpr27
	s_delay_alu instid0(VALU_DEP_1)
	v_cmpx_lt_i16_e32 0x7f, v98
	s_xor_b32 s28, exec_lo, s28
	s_cbranch_execnz .LBB6_5101
; %bb.4515:                             ;   in Loop: Header=BB6_3759 Depth=2
	s_or_saveexec_b32 s28, s28
	v_mov_b32_e32 v50, s27
	s_xor_b32 exec_lo, exec_lo, s28
	s_cbranch_execnz .LBB6_5104
.LBB6_4516:                             ;   in Loop: Header=BB6_3759 Depth=2
	s_or_b32 exec_lo, exec_lo, s28
	s_and_saveexec_b32 s27, s11
	s_cbranch_execz .LBB6_4518
.LBB6_4517:                             ;   in Loop: Header=BB6_3759 Depth=2
	v_and_b32_e32 v50, 7, v39
	v_lshrrev_b16 v147, 3, v39
	v_lshlrev_b32_e32 v150, 24, v39
	s_delay_alu instid0(VALU_DEP_3) | instskip(NEXT) | instid1(VALU_DEP_3)
	v_clz_i32_u32_e32 v98, v50
	v_and_b32_e32 v147, 15, v147
	s_delay_alu instid0(VALU_DEP_2) | instskip(NEXT) | instid1(VALU_DEP_2)
	v_min_u32_e32 v98, 32, v98
	v_cmp_eq_u32_e32 vcc_lo, 0, v147
	s_delay_alu instid0(VALU_DEP_2) | instskip(SKIP_1) | instid1(VALU_DEP_1)
	v_subrev_nc_u32_e32 v101, 28, v98
	v_sub_nc_u32_e32 v98, 29, v98
	v_dual_cndmask_b32 v98, v147, v98 :: v_dual_lshlrev_b32 v101, v101, v39
	s_delay_alu instid0(VALU_DEP_1) | instskip(NEXT) | instid1(VALU_DEP_2)
	v_and_b32_e32 v101, 7, v101
	v_lshl_add_u32 v98, v98, 23, 0x3b800000
	s_delay_alu instid0(VALU_DEP_2) | instskip(NEXT) | instid1(VALU_DEP_1)
	v_dual_cndmask_b32 v50, v50, v101 :: v_dual_and_b32 v101, 0x80000000, v150
	v_lshlrev_b32_e32 v50, 20, v50
	s_delay_alu instid0(VALU_DEP_1)
	v_or3_b32 v50, v101, v98, v50
.LBB6_4518:                             ;   in Loop: Header=BB6_3759 Depth=2
	s_or_b32 exec_lo, exec_lo, s27
	s_waitcnt vmcnt(5) lgkmcnt(5)
	v_and_b32_e32 v101, 0xff, v38
	s_mov_b32 s11, 0
	s_mov_b32 s28, exec_lo
                                        ; implicit-def: $sgpr27
	s_delay_alu instid0(VALU_DEP_1)
	v_cmpx_lt_i16_e32 0x7f, v101
	s_xor_b32 s28, exec_lo, s28
	s_cbranch_execnz .LBB6_5105
; %bb.4519:                             ;   in Loop: Header=BB6_3759 Depth=2
	s_or_saveexec_b32 s28, s28
	v_mov_b32_e32 v98, s27
	s_xor_b32 exec_lo, exec_lo, s28
	s_cbranch_execnz .LBB6_5108
.LBB6_4520:                             ;   in Loop: Header=BB6_3759 Depth=2
	s_or_b32 exec_lo, exec_lo, s28
	s_and_saveexec_b32 s27, s11
	s_cbranch_execz .LBB6_4522
.LBB6_4521:                             ;   in Loop: Header=BB6_3759 Depth=2
	v_lshrrev_b16 v150, 3, v38
	s_delay_alu instid0(VALU_DEP_1) | instskip(NEXT) | instid1(VALU_DEP_1)
	v_and_b32_e32 v150, 15, v150
	v_cmp_eq_u32_e32 vcc_lo, 0, v150
	v_and_b32_e32 v98, 7, v38
	s_delay_alu instid0(VALU_DEP_1) | instskip(NEXT) | instid1(VALU_DEP_1)
	v_clz_i32_u32_e32 v101, v98
	v_min_u32_e32 v101, 32, v101
	s_delay_alu instid0(VALU_DEP_1) | instskip(SKIP_1) | instid1(VALU_DEP_2)
	v_subrev_nc_u32_e32 v147, 28, v101
	v_sub_nc_u32_e32 v101, 29, v101
	v_lshlrev_b32_e32 v147, v147, v38
	s_delay_alu instid0(VALU_DEP_2) | instskip(NEXT) | instid1(VALU_DEP_2)
	v_cndmask_b32_e32 v101, v150, v101, vcc_lo
	v_and_b32_e32 v147, 7, v147
	v_lshlrev_b32_e32 v161, 24, v38
	s_delay_alu instid0(VALU_DEP_3) | instskip(NEXT) | instid1(VALU_DEP_2)
	v_lshl_add_u32 v101, v101, 23, 0x3b800000
	v_dual_cndmask_b32 v98, v98, v147 :: v_dual_and_b32 v147, 0x80000000, v161
	s_delay_alu instid0(VALU_DEP_1) | instskip(NEXT) | instid1(VALU_DEP_1)
	v_lshlrev_b32_e32 v98, 20, v98
	v_or3_b32 v98, v147, v101, v98
.LBB6_4522:                             ;   in Loop: Header=BB6_3759 Depth=2
	s_or_b32 exec_lo, exec_lo, s27
	s_delay_alu instid0(VALU_DEP_1) | instskip(SKIP_2) | instid1(VALU_DEP_1)
	v_max_f32_e32 v98, v98, v98
	v_max_f32_e32 v50, v50, v50
	s_mov_b32 s11, 0
	v_max_f32_e32 v50, v50, v98
	s_branch .LBB6_4524
.LBB6_4523:                             ;   in Loop: Header=BB6_3759 Depth=2
	s_mov_b32 s11, -1
                                        ; implicit-def: $vgpr50
.LBB6_4524:                             ;   in Loop: Header=BB6_3759 Depth=2
	s_delay_alu instid0(SALU_CYCLE_1)
	s_and_b32 vcc_lo, exec_lo, s11
	s_cbranch_vccz .LBB6_4534
; %bb.4525:                             ;   in Loop: Header=BB6_3759 Depth=2
	v_and_b32_e32 v98, 0xff, v39
	s_mov_b32 s11, 0
	s_mov_b32 s28, exec_lo
                                        ; implicit-def: $sgpr27
	s_delay_alu instid0(VALU_DEP_1)
	v_cmpx_lt_i16_e32 0x7f, v98
	s_xor_b32 s28, exec_lo, s28
	s_cbranch_execnz .LBB6_5109
; %bb.4526:                             ;   in Loop: Header=BB6_3759 Depth=2
	s_or_saveexec_b32 s28, s28
	v_mov_b32_e32 v50, s27
	s_xor_b32 exec_lo, exec_lo, s28
	s_cbranch_execnz .LBB6_5112
.LBB6_4527:                             ;   in Loop: Header=BB6_3759 Depth=2
	s_or_b32 exec_lo, exec_lo, s28
	s_and_saveexec_b32 s27, s11
	s_cbranch_execz .LBB6_4529
.LBB6_4528:                             ;   in Loop: Header=BB6_3759 Depth=2
	v_and_b32_e32 v50, 7, v39
	v_lshrrev_b16 v147, 3, v39
	s_delay_alu instid0(VALU_DEP_2) | instskip(NEXT) | instid1(VALU_DEP_2)
	v_clz_i32_u32_e32 v98, v50
	v_and_b32_e32 v147, 15, v147
	s_delay_alu instid0(VALU_DEP_2) | instskip(NEXT) | instid1(VALU_DEP_2)
	v_min_u32_e32 v98, 32, v98
	v_cmp_eq_u32_e32 vcc_lo, 0, v147
	s_delay_alu instid0(VALU_DEP_2) | instskip(SKIP_1) | instid1(VALU_DEP_1)
	v_subrev_nc_u32_e32 v101, 28, v98
	v_sub_nc_u32_e32 v98, 29, v98
	v_dual_cndmask_b32 v98, v147, v98 :: v_dual_lshlrev_b32 v101, v101, v39
	v_lshlrev_b32_e32 v39, 24, v39
	s_delay_alu instid0(VALU_DEP_2) | instskip(NEXT) | instid1(VALU_DEP_3)
	v_and_b32_e32 v101, 7, v101
	v_lshl_add_u32 v98, v98, 23, 0x3b800000
	s_delay_alu instid0(VALU_DEP_2) | instskip(NEXT) | instid1(VALU_DEP_1)
	v_dual_cndmask_b32 v50, v50, v101 :: v_dual_and_b32 v39, 0x80000000, v39
	v_lshlrev_b32_e32 v50, 20, v50
	s_delay_alu instid0(VALU_DEP_1)
	v_or3_b32 v50, v39, v98, v50
.LBB6_4529:                             ;   in Loop: Header=BB6_3759 Depth=2
	s_or_b32 exec_lo, exec_lo, s27
	s_waitcnt vmcnt(5) lgkmcnt(5)
	v_and_b32_e32 v98, 0xff, v38
	s_mov_b32 s11, 0
	s_mov_b32 s28, exec_lo
                                        ; implicit-def: $sgpr27
	s_delay_alu instid0(VALU_DEP_1)
	v_cmpx_lt_i16_e32 0x7f, v98
	s_xor_b32 s28, exec_lo, s28
	s_cbranch_execnz .LBB6_5113
; %bb.4530:                             ;   in Loop: Header=BB6_3759 Depth=2
	s_or_saveexec_b32 s28, s28
	v_mov_b32_e32 v39, s27
	s_xor_b32 exec_lo, exec_lo, s28
	s_cbranch_execnz .LBB6_5116
.LBB6_4531:                             ;   in Loop: Header=BB6_3759 Depth=2
	s_or_b32 exec_lo, exec_lo, s28
	s_and_saveexec_b32 s27, s11
	s_cbranch_execz .LBB6_4533
.LBB6_4532:                             ;   in Loop: Header=BB6_3759 Depth=2
	v_and_b32_e32 v39, 7, v38
	v_lshrrev_b16 v147, 3, v38
	s_delay_alu instid0(VALU_DEP_2) | instskip(NEXT) | instid1(VALU_DEP_2)
	v_clz_i32_u32_e32 v98, v39
	v_and_b32_e32 v147, 15, v147
	s_delay_alu instid0(VALU_DEP_2) | instskip(NEXT) | instid1(VALU_DEP_2)
	v_min_u32_e32 v98, 32, v98
	v_cmp_eq_u32_e32 vcc_lo, 0, v147
	s_delay_alu instid0(VALU_DEP_2) | instskip(SKIP_1) | instid1(VALU_DEP_2)
	v_subrev_nc_u32_e32 v101, 28, v98
	v_sub_nc_u32_e32 v98, 29, v98
	v_lshlrev_b32_e32 v101, v101, v38
	s_delay_alu instid0(VALU_DEP_1) | instskip(SKIP_1) | instid1(VALU_DEP_2)
	v_dual_cndmask_b32 v98, v147, v98 :: v_dual_and_b32 v101, 7, v101
	v_lshlrev_b32_e32 v38, 24, v38
	v_lshl_add_u32 v98, v98, 23, 0x3b800000
	s_delay_alu instid0(VALU_DEP_2) | instskip(NEXT) | instid1(VALU_DEP_1)
	v_dual_cndmask_b32 v39, v39, v101 :: v_dual_and_b32 v38, 0x80000000, v38
	v_lshlrev_b32_e32 v39, 20, v39
	s_delay_alu instid0(VALU_DEP_1)
	v_or3_b32 v39, v38, v98, v39
.LBB6_4533:                             ;   in Loop: Header=BB6_3759 Depth=2
	s_or_b32 exec_lo, exec_lo, s27
	s_delay_alu instid0(VALU_DEP_1) | instskip(NEXT) | instid1(VALU_DEP_1)
	v_dual_max_f32 v38, v39, v39 :: v_dual_max_f32 v39, v50, v50
	v_min_f32_e32 v50, v39, v38
.LBB6_4534:                             ;   in Loop: Header=BB6_3759 Depth=2
	s_waitcnt vmcnt(5) lgkmcnt(5)
	s_delay_alu instid0(VALU_DEP_1) | instskip(NEXT) | instid1(VALU_DEP_1)
	v_and_b32_e32 v38, 0x7f800000, v50
	v_cmp_ne_u32_e32 vcc_lo, 0x7f800000, v38
	v_mov_b32_e32 v38, 0x80
	s_and_saveexec_b32 s27, vcc_lo
	s_cbranch_execz .LBB6_4542
; %bb.4535:                             ;   in Loop: Header=BB6_3759 Depth=2
	v_mov_b32_e32 v38, 0
	s_mov_b32 s28, exec_lo
	v_cmpx_ne_u32_e32 0, v50
	s_cbranch_execz .LBB6_4541
; %bb.4536:                             ;   in Loop: Header=BB6_3759 Depth=2
	v_bfe_u32 v38, v50, 23, 8
	v_and_b32_e32 v39, 0x7fffff, v50
	s_delay_alu instid0(VALU_DEP_2) | instskip(SKIP_1) | instid1(VALU_DEP_3)
	v_sub_nc_u32_e32 v98, 0x78, v38
	v_cmp_gt_u32_e32 vcc_lo, 0x79, v38
	v_or_b32_e32 v101, 0x800000, v39
	s_delay_alu instid0(VALU_DEP_3) | instskip(SKIP_1) | instid1(VALU_DEP_3)
	v_cndmask_b32_e32 v98, 0, v98, vcc_lo
	v_cmp_eq_u32_e32 vcc_lo, 0, v38
	v_dual_cndmask_b32 v39, v101, v39 :: v_dual_add_nc_u32 v38, 0xffffff89, v38
	s_delay_alu instid0(VALU_DEP_3) | instskip(NEXT) | instid1(VALU_DEP_2)
	v_cndmask_b32_e64 v98, v98, 0x77, vcc_lo
	v_cndmask_b32_e64 v38, v38, 0xffffff8a, vcc_lo
	s_delay_alu instid0(VALU_DEP_2) | instskip(SKIP_2) | instid1(VALU_DEP_4)
	v_lshrrev_b32_e32 v147, v98, v39
	v_lshl_add_u32 v101, 0x100000, v98, -1
	v_lshlrev_b32_e64 v161, v98, 0x80000
	v_add_nc_u32_e32 v98, v98, v38
	s_delay_alu instid0(VALU_DEP_4) | instskip(NEXT) | instid1(VALU_DEP_4)
	v_bfe_u32 v150, v147, 20, 1
	v_and_b32_e32 v39, v101, v39
	s_delay_alu instid0(VALU_DEP_2) | instskip(NEXT) | instid1(VALU_DEP_2)
	v_add_nc_u32_e32 v101, -1, v150
	v_cmp_eq_u32_e64 s11, v39, v161
	s_delay_alu instid0(VALU_DEP_1) | instskip(SKIP_2) | instid1(VALU_DEP_2)
	v_cndmask_b32_e64 v39, 0, v101, s11
	v_lshrrev_b32_e32 v101, 23, v147
	s_mov_b32 s11, exec_lo
	v_add_nc_u32_e32 v39, v39, v147
	s_delay_alu instid0(VALU_DEP_2) | instskip(NEXT) | instid1(VALU_DEP_2)
	v_xor_b32_e32 v101, 1, v101
	v_and_b32_e32 v38, 0xfffff, v39
	s_delay_alu instid0(VALU_DEP_1) | instskip(NEXT) | instid1(VALU_DEP_3)
	v_add_nc_u32_e32 v39, v38, v147
                                        ; implicit-def: $vgpr38
	v_cmpx_ne_u32_e64 v98, v101
	s_xor_b32 s11, exec_lo, s11
; %bb.4537:                             ;   in Loop: Header=BB6_3759 Depth=2
	s_delay_alu instid0(VALU_DEP_2) | instskip(SKIP_2) | instid1(VALU_DEP_2)
	v_cmp_lt_u32_e32 vcc_lo, 0xffffff, v39
	v_sub_nc_u32_e32 v38, v98, v101
	v_cndmask_b32_e64 v98, 0, 1, vcc_lo
	v_add_co_ci_u32_e32 v38, vcc_lo, 0, v38, vcc_lo
	s_delay_alu instid0(VALU_DEP_2)
	v_lshrrev_b32_e32 v39, v98, v39
; %bb.4538:                             ;   in Loop: Header=BB6_3759 Depth=2
	s_and_not1_saveexec_b32 s11, s11
; %bb.4539:                             ;   in Loop: Header=BB6_3759 Depth=2
	s_delay_alu instid0(VALU_DEP_1)
	v_bfe_u32 v38, v39, 23, 1
; %bb.4540:                             ;   in Loop: Header=BB6_3759 Depth=2
	s_or_b32 exec_lo, exec_lo, s11
	v_lshrrev_b32_e32 v39, 20, v39
	s_delay_alu instid0(VALU_DEP_2) | instskip(SKIP_2) | instid1(VALU_DEP_2)
	v_cmp_gt_i32_e32 vcc_lo, 16, v38
	v_lshrrev_b32_e32 v50, 24, v50
	v_min_i32_e32 v98, 15, v38
	v_dual_cndmask_b32 v39, 7, v39 :: v_dual_and_b32 v50, 0x80, v50
	s_delay_alu instid0(VALU_DEP_2) | instskip(NEXT) | instid1(VALU_DEP_2)
	v_lshlrev_b32_e32 v98, 3, v98
	v_and_b32_e32 v101, 7, v39
	v_or_b32_e32 v38, v38, v39
	s_delay_alu instid0(VALU_DEP_2) | instskip(NEXT) | instid1(VALU_DEP_2)
	v_or3_b32 v39, v98, v50, v101
	v_cmp_ne_u32_e32 vcc_lo, 0, v38
	s_delay_alu instid0(VALU_DEP_2)
	v_cndmask_b32_e32 v38, 0, v39, vcc_lo
.LBB6_4541:                             ;   in Loop: Header=BB6_3759 Depth=2
	s_or_b32 exec_lo, exec_lo, s28
.LBB6_4542:                             ;   in Loop: Header=BB6_3759 Depth=2
	s_delay_alu instid0(SALU_CYCLE_1) | instskip(NEXT) | instid1(SALU_CYCLE_1)
	s_or_b32 exec_lo, exec_lo, s27
	s_and_not1_b32 vcc_lo, exec_lo, s25
	s_cbranch_vccnz .LBB6_4552
; %bb.4543:                             ;   in Loop: Header=BB6_3759 Depth=2
	v_and_b32_e32 v50, 0xff, v36
	s_mov_b32 s11, 0
	s_mov_b32 s28, exec_lo
                                        ; implicit-def: $sgpr27
	s_delay_alu instid0(VALU_DEP_1)
	v_cmpx_lt_i16_e32 0x7f, v50
	s_xor_b32 s28, exec_lo, s28
	s_cbranch_execnz .LBB6_5117
; %bb.4544:                             ;   in Loop: Header=BB6_3759 Depth=2
	s_or_saveexec_b32 s28, s28
	v_mov_b32_e32 v39, s27
	s_xor_b32 exec_lo, exec_lo, s28
	s_cbranch_execnz .LBB6_5120
.LBB6_4545:                             ;   in Loop: Header=BB6_3759 Depth=2
	s_or_b32 exec_lo, exec_lo, s28
	s_and_saveexec_b32 s27, s11
	s_cbranch_execz .LBB6_4547
.LBB6_4546:                             ;   in Loop: Header=BB6_3759 Depth=2
	v_lshrrev_b16 v101, 3, v36
	v_lshlrev_b32_e32 v147, 24, v36
	s_delay_alu instid0(VALU_DEP_2) | instskip(NEXT) | instid1(VALU_DEP_1)
	v_and_b32_e32 v101, 15, v101
	v_cmp_eq_u32_e32 vcc_lo, 0, v101
	v_and_b32_e32 v39, 7, v36
	s_delay_alu instid0(VALU_DEP_1) | instskip(NEXT) | instid1(VALU_DEP_1)
	v_clz_i32_u32_e32 v50, v39
	v_min_u32_e32 v50, 32, v50
	s_delay_alu instid0(VALU_DEP_1) | instskip(SKIP_1) | instid1(VALU_DEP_2)
	v_subrev_nc_u32_e32 v98, 28, v50
	v_sub_nc_u32_e32 v50, 29, v50
	v_lshlrev_b32_e32 v98, v98, v36
	s_delay_alu instid0(VALU_DEP_2) | instskip(NEXT) | instid1(VALU_DEP_2)
	v_cndmask_b32_e32 v50, v101, v50, vcc_lo
	v_and_b32_e32 v98, 7, v98
	s_delay_alu instid0(VALU_DEP_2) | instskip(NEXT) | instid1(VALU_DEP_2)
	v_lshl_add_u32 v50, v50, 23, 0x3b800000
	v_dual_cndmask_b32 v39, v39, v98 :: v_dual_and_b32 v98, 0x80000000, v147
	s_delay_alu instid0(VALU_DEP_1) | instskip(NEXT) | instid1(VALU_DEP_1)
	v_lshlrev_b32_e32 v39, 20, v39
	v_or3_b32 v39, v98, v50, v39
.LBB6_4547:                             ;   in Loop: Header=BB6_3759 Depth=2
	s_or_b32 exec_lo, exec_lo, s27
	s_waitcnt vmcnt(4) lgkmcnt(4)
	v_and_b32_e32 v98, 0xff, v35
	s_mov_b32 s11, 0
	s_mov_b32 s28, exec_lo
                                        ; implicit-def: $sgpr27
	s_delay_alu instid0(VALU_DEP_1)
	v_cmpx_lt_i16_e32 0x7f, v98
	s_xor_b32 s28, exec_lo, s28
	s_cbranch_execnz .LBB6_5121
; %bb.4548:                             ;   in Loop: Header=BB6_3759 Depth=2
	s_or_saveexec_b32 s28, s28
	v_mov_b32_e32 v50, s27
	s_xor_b32 exec_lo, exec_lo, s28
	s_cbranch_execnz .LBB6_5124
.LBB6_4549:                             ;   in Loop: Header=BB6_3759 Depth=2
	s_or_b32 exec_lo, exec_lo, s28
	s_and_saveexec_b32 s27, s11
	s_cbranch_execz .LBB6_4551
.LBB6_4550:                             ;   in Loop: Header=BB6_3759 Depth=2
	v_and_b32_e32 v50, 7, v35
	v_lshrrev_b16 v147, 3, v35
	v_lshlrev_b32_e32 v150, 24, v35
	s_delay_alu instid0(VALU_DEP_3) | instskip(NEXT) | instid1(VALU_DEP_3)
	v_clz_i32_u32_e32 v98, v50
	v_and_b32_e32 v147, 15, v147
	s_delay_alu instid0(VALU_DEP_2) | instskip(NEXT) | instid1(VALU_DEP_2)
	v_min_u32_e32 v98, 32, v98
	v_cmp_eq_u32_e32 vcc_lo, 0, v147
	s_delay_alu instid0(VALU_DEP_2) | instskip(SKIP_1) | instid1(VALU_DEP_1)
	v_subrev_nc_u32_e32 v101, 28, v98
	v_sub_nc_u32_e32 v98, 29, v98
	v_dual_cndmask_b32 v98, v147, v98 :: v_dual_lshlrev_b32 v101, v101, v35
	s_delay_alu instid0(VALU_DEP_1) | instskip(NEXT) | instid1(VALU_DEP_2)
	v_and_b32_e32 v101, 7, v101
	v_lshl_add_u32 v98, v98, 23, 0x3b800000
	s_delay_alu instid0(VALU_DEP_2) | instskip(NEXT) | instid1(VALU_DEP_1)
	v_dual_cndmask_b32 v50, v50, v101 :: v_dual_and_b32 v101, 0x80000000, v150
	v_lshlrev_b32_e32 v50, 20, v50
	s_delay_alu instid0(VALU_DEP_1)
	v_or3_b32 v50, v101, v98, v50
.LBB6_4551:                             ;   in Loop: Header=BB6_3759 Depth=2
	s_or_b32 exec_lo, exec_lo, s27
	s_delay_alu instid0(VALU_DEP_1) | instskip(SKIP_1) | instid1(VALU_DEP_1)
	v_dual_max_f32 v50, v50, v50 :: v_dual_max_f32 v39, v39, v39
	s_mov_b32 s11, 0
	v_max_f32_e32 v39, v39, v50
	s_branch .LBB6_4553
.LBB6_4552:                             ;   in Loop: Header=BB6_3759 Depth=2
	s_mov_b32 s11, -1
                                        ; implicit-def: $vgpr39
.LBB6_4553:                             ;   in Loop: Header=BB6_3759 Depth=2
	s_delay_alu instid0(SALU_CYCLE_1)
	s_and_b32 vcc_lo, exec_lo, s11
	s_cbranch_vccz .LBB6_4563
; %bb.4554:                             ;   in Loop: Header=BB6_3759 Depth=2
	v_and_b32_e32 v50, 0xff, v36
	s_mov_b32 s11, 0
	s_mov_b32 s28, exec_lo
                                        ; implicit-def: $sgpr27
	s_delay_alu instid0(VALU_DEP_1)
	v_cmpx_lt_i16_e32 0x7f, v50
	s_xor_b32 s28, exec_lo, s28
	s_cbranch_execnz .LBB6_5125
; %bb.4555:                             ;   in Loop: Header=BB6_3759 Depth=2
	s_or_saveexec_b32 s28, s28
	v_mov_b32_e32 v39, s27
	s_xor_b32 exec_lo, exec_lo, s28
	s_cbranch_execnz .LBB6_5128
.LBB6_4556:                             ;   in Loop: Header=BB6_3759 Depth=2
	s_or_b32 exec_lo, exec_lo, s28
	s_and_saveexec_b32 s27, s11
	s_cbranch_execz .LBB6_4558
.LBB6_4557:                             ;   in Loop: Header=BB6_3759 Depth=2
	v_lshrrev_b16 v101, 3, v36
	s_delay_alu instid0(VALU_DEP_1) | instskip(NEXT) | instid1(VALU_DEP_1)
	v_and_b32_e32 v101, 15, v101
	v_cmp_eq_u32_e32 vcc_lo, 0, v101
	v_and_b32_e32 v39, 7, v36
	s_delay_alu instid0(VALU_DEP_1) | instskip(NEXT) | instid1(VALU_DEP_1)
	v_clz_i32_u32_e32 v50, v39
	v_min_u32_e32 v50, 32, v50
	s_delay_alu instid0(VALU_DEP_1) | instskip(SKIP_1) | instid1(VALU_DEP_2)
	v_subrev_nc_u32_e32 v98, 28, v50
	v_sub_nc_u32_e32 v50, 29, v50
	v_lshlrev_b32_e32 v98, v98, v36
	s_delay_alu instid0(VALU_DEP_2) | instskip(NEXT) | instid1(VALU_DEP_2)
	v_cndmask_b32_e32 v50, v101, v50, vcc_lo
	v_and_b32_e32 v98, 7, v98
	v_lshlrev_b32_e32 v36, 24, v36
	s_delay_alu instid0(VALU_DEP_3) | instskip(NEXT) | instid1(VALU_DEP_2)
	v_lshl_add_u32 v50, v50, 23, 0x3b800000
	v_dual_cndmask_b32 v39, v39, v98 :: v_dual_and_b32 v36, 0x80000000, v36
	s_delay_alu instid0(VALU_DEP_1) | instskip(NEXT) | instid1(VALU_DEP_1)
	v_lshlrev_b32_e32 v39, 20, v39
	v_or3_b32 v39, v36, v50, v39
.LBB6_4558:                             ;   in Loop: Header=BB6_3759 Depth=2
	s_or_b32 exec_lo, exec_lo, s27
	s_waitcnt vmcnt(4) lgkmcnt(4)
	v_and_b32_e32 v50, 0xff, v35
	s_mov_b32 s11, 0
	s_mov_b32 s28, exec_lo
                                        ; implicit-def: $sgpr27
	s_delay_alu instid0(VALU_DEP_1)
	v_cmpx_lt_i16_e32 0x7f, v50
	s_xor_b32 s28, exec_lo, s28
	s_cbranch_execnz .LBB6_5129
; %bb.4559:                             ;   in Loop: Header=BB6_3759 Depth=2
	s_or_saveexec_b32 s28, s28
	v_mov_b32_e32 v36, s27
	s_xor_b32 exec_lo, exec_lo, s28
	s_cbranch_execnz .LBB6_5132
.LBB6_4560:                             ;   in Loop: Header=BB6_3759 Depth=2
	s_or_b32 exec_lo, exec_lo, s28
	s_and_saveexec_b32 s27, s11
	s_cbranch_execz .LBB6_4562
.LBB6_4561:                             ;   in Loop: Header=BB6_3759 Depth=2
	v_and_b32_e32 v36, 7, v35
	v_lshrrev_b16 v101, 3, v35
	s_delay_alu instid0(VALU_DEP_2) | instskip(NEXT) | instid1(VALU_DEP_1)
	v_clz_i32_u32_e32 v50, v36
	v_min_u32_e32 v50, 32, v50
	s_delay_alu instid0(VALU_DEP_1) | instskip(SKIP_1) | instid1(VALU_DEP_2)
	v_subrev_nc_u32_e32 v98, 28, v50
	v_sub_nc_u32_e32 v50, 29, v50
	v_lshlrev_b32_e32 v98, v98, v35
	s_delay_alu instid0(VALU_DEP_1) | instskip(SKIP_1) | instid1(VALU_DEP_1)
	v_and_b32_e32 v98, 7, v98
	v_and_b32_e32 v101, 15, v101
	v_cmp_eq_u32_e32 vcc_lo, 0, v101
	s_delay_alu instid0(VALU_DEP_3) | instskip(SKIP_1) | instid1(VALU_DEP_2)
	v_dual_cndmask_b32 v36, v36, v98 :: v_dual_lshlrev_b32 v35, 24, v35
	v_cndmask_b32_e32 v50, v101, v50, vcc_lo
	v_lshlrev_b32_e32 v36, 20, v36
	s_delay_alu instid0(VALU_DEP_3) | instskip(NEXT) | instid1(VALU_DEP_3)
	v_and_b32_e32 v35, 0x80000000, v35
	v_lshl_add_u32 v50, v50, 23, 0x3b800000
	s_delay_alu instid0(VALU_DEP_1)
	v_or3_b32 v36, v35, v50, v36
.LBB6_4562:                             ;   in Loop: Header=BB6_3759 Depth=2
	s_or_b32 exec_lo, exec_lo, s27
	s_delay_alu instid0(VALU_DEP_1) | instskip(NEXT) | instid1(VALU_DEP_1)
	v_dual_max_f32 v35, v36, v36 :: v_dual_max_f32 v36, v39, v39
	v_min_f32_e32 v39, v36, v35
.LBB6_4563:                             ;   in Loop: Header=BB6_3759 Depth=2
	s_waitcnt vmcnt(4) lgkmcnt(4)
	s_delay_alu instid0(VALU_DEP_1) | instskip(NEXT) | instid1(VALU_DEP_1)
	v_and_b32_e32 v35, 0x7f800000, v39
	v_cmp_ne_u32_e32 vcc_lo, 0x7f800000, v35
	v_mov_b32_e32 v35, 0x80
	s_and_saveexec_b32 s27, vcc_lo
	s_cbranch_execz .LBB6_4571
; %bb.4564:                             ;   in Loop: Header=BB6_3759 Depth=2
	v_mov_b32_e32 v35, 0
	s_mov_b32 s28, exec_lo
	v_cmpx_ne_u32_e32 0, v39
	s_cbranch_execz .LBB6_4570
; %bb.4565:                             ;   in Loop: Header=BB6_3759 Depth=2
	v_bfe_u32 v35, v39, 23, 8
	v_and_b32_e32 v36, 0x7fffff, v39
	s_delay_alu instid0(VALU_DEP_2) | instskip(SKIP_1) | instid1(VALU_DEP_3)
	v_sub_nc_u32_e32 v50, 0x78, v35
	v_cmp_gt_u32_e32 vcc_lo, 0x79, v35
	v_or_b32_e32 v98, 0x800000, v36
	s_delay_alu instid0(VALU_DEP_3) | instskip(SKIP_2) | instid1(VALU_DEP_3)
	v_cndmask_b32_e32 v50, 0, v50, vcc_lo
	v_cmp_eq_u32_e32 vcc_lo, 0, v35
	v_add_nc_u32_e32 v35, 0xffffff89, v35
	v_cndmask_b32_e64 v50, v50, 0x77, vcc_lo
	v_cndmask_b32_e32 v36, v98, v36, vcc_lo
	s_delay_alu instid0(VALU_DEP_3) | instskip(NEXT) | instid1(VALU_DEP_3)
	v_cndmask_b32_e64 v35, v35, 0xffffff8a, vcc_lo
	v_lshl_add_u32 v98, 0x100000, v50, -1
	s_delay_alu instid0(VALU_DEP_3) | instskip(SKIP_1) | instid1(VALU_DEP_4)
	v_lshrrev_b32_e32 v101, v50, v36
	v_lshlrev_b32_e64 v150, v50, 0x80000
	v_add_nc_u32_e32 v50, v50, v35
	s_delay_alu instid0(VALU_DEP_4) | instskip(NEXT) | instid1(VALU_DEP_4)
	v_and_b32_e32 v36, v98, v36
	v_bfe_u32 v147, v101, 20, 1
	s_delay_alu instid0(VALU_DEP_2) | instskip(NEXT) | instid1(VALU_DEP_2)
	v_cmp_eq_u32_e64 s11, v36, v150
	v_add_nc_u32_e32 v98, -1, v147
	s_delay_alu instid0(VALU_DEP_1) | instskip(SKIP_2) | instid1(VALU_DEP_2)
	v_cndmask_b32_e64 v36, 0, v98, s11
	v_lshrrev_b32_e32 v98, 23, v101
	s_mov_b32 s11, exec_lo
	v_add_nc_u32_e32 v36, v36, v101
	s_delay_alu instid0(VALU_DEP_2) | instskip(NEXT) | instid1(VALU_DEP_2)
	v_xor_b32_e32 v98, 1, v98
	v_and_b32_e32 v35, 0xfffff, v36
	s_delay_alu instid0(VALU_DEP_1) | instskip(NEXT) | instid1(VALU_DEP_3)
	v_add_nc_u32_e32 v36, v35, v101
                                        ; implicit-def: $vgpr35
	v_cmpx_ne_u32_e64 v50, v98
	s_xor_b32 s11, exec_lo, s11
; %bb.4566:                             ;   in Loop: Header=BB6_3759 Depth=2
	s_delay_alu instid0(VALU_DEP_2) | instskip(SKIP_2) | instid1(VALU_DEP_2)
	v_cmp_lt_u32_e32 vcc_lo, 0xffffff, v36
	v_sub_nc_u32_e32 v35, v50, v98
	v_cndmask_b32_e64 v50, 0, 1, vcc_lo
	v_add_co_ci_u32_e32 v35, vcc_lo, 0, v35, vcc_lo
	s_delay_alu instid0(VALU_DEP_2)
	v_lshrrev_b32_e32 v36, v50, v36
; %bb.4567:                             ;   in Loop: Header=BB6_3759 Depth=2
	s_and_not1_saveexec_b32 s11, s11
; %bb.4568:                             ;   in Loop: Header=BB6_3759 Depth=2
	s_delay_alu instid0(VALU_DEP_1)
	v_bfe_u32 v35, v36, 23, 1
; %bb.4569:                             ;   in Loop: Header=BB6_3759 Depth=2
	s_or_b32 exec_lo, exec_lo, s11
	v_lshrrev_b32_e32 v36, 20, v36
	s_delay_alu instid0(VALU_DEP_2) | instskip(SKIP_2) | instid1(VALU_DEP_2)
	v_cmp_gt_i32_e32 vcc_lo, 16, v35
	v_lshrrev_b32_e32 v39, 24, v39
	v_min_i32_e32 v50, 15, v35
	v_dual_cndmask_b32 v36, 7, v36 :: v_dual_and_b32 v39, 0x80, v39
	s_delay_alu instid0(VALU_DEP_1) | instskip(SKIP_1) | instid1(VALU_DEP_2)
	v_or_b32_e32 v35, v35, v36
	v_and_b32_e32 v98, 7, v36
	v_cmp_ne_u32_e32 vcc_lo, 0, v35
	v_lshlrev_b32_e32 v50, 3, v50
	s_delay_alu instid0(VALU_DEP_1) | instskip(NEXT) | instid1(VALU_DEP_1)
	v_or3_b32 v36, v50, v39, v98
	v_cndmask_b32_e32 v35, 0, v36, vcc_lo
.LBB6_4570:                             ;   in Loop: Header=BB6_3759 Depth=2
	s_or_b32 exec_lo, exec_lo, s28
.LBB6_4571:                             ;   in Loop: Header=BB6_3759 Depth=2
	s_delay_alu instid0(SALU_CYCLE_1) | instskip(NEXT) | instid1(SALU_CYCLE_1)
	s_or_b32 exec_lo, exec_lo, s27
	s_and_not1_b32 vcc_lo, exec_lo, s25
	s_cbranch_vccnz .LBB6_4581
; %bb.4572:                             ;   in Loop: Header=BB6_3759 Depth=2
	v_and_b32_e32 v39, 0xff, v33
	s_mov_b32 s11, 0
	s_mov_b32 s28, exec_lo
                                        ; implicit-def: $sgpr27
	s_delay_alu instid0(VALU_DEP_1)
	v_cmpx_lt_i16_e32 0x7f, v39
	s_xor_b32 s28, exec_lo, s28
	s_cbranch_execnz .LBB6_5133
; %bb.4573:                             ;   in Loop: Header=BB6_3759 Depth=2
	s_or_saveexec_b32 s28, s28
	v_mov_b32_e32 v36, s27
	s_xor_b32 exec_lo, exec_lo, s28
	s_cbranch_execnz .LBB6_5136
.LBB6_4574:                             ;   in Loop: Header=BB6_3759 Depth=2
	s_or_b32 exec_lo, exec_lo, s28
	s_and_saveexec_b32 s27, s11
	s_cbranch_execz .LBB6_4576
.LBB6_4575:                             ;   in Loop: Header=BB6_3759 Depth=2
	v_lshrrev_b16 v98, 3, v33
	s_delay_alu instid0(VALU_DEP_1) | instskip(NEXT) | instid1(VALU_DEP_1)
	v_and_b32_e32 v98, 15, v98
	v_cmp_eq_u32_e32 vcc_lo, 0, v98
	v_and_b32_e32 v36, 7, v33
	s_delay_alu instid0(VALU_DEP_1) | instskip(NEXT) | instid1(VALU_DEP_1)
	v_clz_i32_u32_e32 v39, v36
	v_min_u32_e32 v39, 32, v39
	s_delay_alu instid0(VALU_DEP_1) | instskip(SKIP_1) | instid1(VALU_DEP_2)
	v_subrev_nc_u32_e32 v50, 28, v39
	v_sub_nc_u32_e32 v39, 29, v39
	v_lshlrev_b32_e32 v50, v50, v33
	s_delay_alu instid0(VALU_DEP_1) | instskip(SKIP_1) | instid1(VALU_DEP_2)
	v_dual_cndmask_b32 v39, v98, v39 :: v_dual_and_b32 v50, 7, v50
	v_lshlrev_b32_e32 v101, 24, v33
	v_lshl_add_u32 v39, v39, 23, 0x3b800000
	s_delay_alu instid0(VALU_DEP_3) | instskip(NEXT) | instid1(VALU_DEP_3)
	v_cndmask_b32_e32 v36, v36, v50, vcc_lo
	v_and_b32_e32 v50, 0x80000000, v101
	s_delay_alu instid0(VALU_DEP_2) | instskip(NEXT) | instid1(VALU_DEP_1)
	v_lshlrev_b32_e32 v36, 20, v36
	v_or3_b32 v36, v50, v39, v36
.LBB6_4576:                             ;   in Loop: Header=BB6_3759 Depth=2
	s_or_b32 exec_lo, exec_lo, s27
	s_waitcnt vmcnt(3) lgkmcnt(3)
	v_and_b32_e32 v50, 0xff, v32
	s_mov_b32 s11, 0
	s_mov_b32 s28, exec_lo
                                        ; implicit-def: $sgpr27
	s_delay_alu instid0(VALU_DEP_1)
	v_cmpx_lt_i16_e32 0x7f, v50
	s_xor_b32 s28, exec_lo, s28
	s_cbranch_execnz .LBB6_5137
; %bb.4577:                             ;   in Loop: Header=BB6_3759 Depth=2
	s_or_saveexec_b32 s28, s28
	v_mov_b32_e32 v39, s27
	s_xor_b32 exec_lo, exec_lo, s28
	s_cbranch_execnz .LBB6_5140
.LBB6_4578:                             ;   in Loop: Header=BB6_3759 Depth=2
	s_or_b32 exec_lo, exec_lo, s28
	s_and_saveexec_b32 s27, s11
	s_cbranch_execz .LBB6_4580
.LBB6_4579:                             ;   in Loop: Header=BB6_3759 Depth=2
	v_lshrrev_b16 v101, 3, v32
	v_lshlrev_b32_e32 v147, 24, v32
	s_delay_alu instid0(VALU_DEP_2) | instskip(NEXT) | instid1(VALU_DEP_1)
	v_and_b32_e32 v101, 15, v101
	v_cmp_eq_u32_e32 vcc_lo, 0, v101
	v_and_b32_e32 v39, 7, v32
	s_delay_alu instid0(VALU_DEP_1) | instskip(NEXT) | instid1(VALU_DEP_1)
	v_clz_i32_u32_e32 v50, v39
	v_min_u32_e32 v50, 32, v50
	s_delay_alu instid0(VALU_DEP_1) | instskip(SKIP_1) | instid1(VALU_DEP_2)
	v_subrev_nc_u32_e32 v98, 28, v50
	v_sub_nc_u32_e32 v50, 29, v50
	v_lshlrev_b32_e32 v98, v98, v32
	s_delay_alu instid0(VALU_DEP_2) | instskip(NEXT) | instid1(VALU_DEP_2)
	v_cndmask_b32_e32 v50, v101, v50, vcc_lo
	v_and_b32_e32 v98, 7, v98
	s_delay_alu instid0(VALU_DEP_2) | instskip(NEXT) | instid1(VALU_DEP_2)
	v_lshl_add_u32 v50, v50, 23, 0x3b800000
	v_dual_cndmask_b32 v39, v39, v98 :: v_dual_and_b32 v98, 0x80000000, v147
	s_delay_alu instid0(VALU_DEP_1) | instskip(NEXT) | instid1(VALU_DEP_1)
	v_lshlrev_b32_e32 v39, 20, v39
	v_or3_b32 v39, v98, v50, v39
.LBB6_4580:                             ;   in Loop: Header=BB6_3759 Depth=2
	s_or_b32 exec_lo, exec_lo, s27
	s_delay_alu instid0(VALU_DEP_1) | instskip(SKIP_1) | instid1(VALU_DEP_1)
	v_dual_max_f32 v39, v39, v39 :: v_dual_max_f32 v36, v36, v36
	s_mov_b32 s11, 0
	v_max_f32_e32 v36, v36, v39
	s_branch .LBB6_4582
.LBB6_4581:                             ;   in Loop: Header=BB6_3759 Depth=2
	s_mov_b32 s11, -1
                                        ; implicit-def: $vgpr36
.LBB6_4582:                             ;   in Loop: Header=BB6_3759 Depth=2
	s_delay_alu instid0(SALU_CYCLE_1)
	s_and_b32 vcc_lo, exec_lo, s11
	s_cbranch_vccz .LBB6_4592
; %bb.4583:                             ;   in Loop: Header=BB6_3759 Depth=2
	v_and_b32_e32 v39, 0xff, v33
	s_mov_b32 s11, 0
	s_mov_b32 s28, exec_lo
                                        ; implicit-def: $sgpr27
	s_delay_alu instid0(VALU_DEP_1)
	v_cmpx_lt_i16_e32 0x7f, v39
	s_xor_b32 s28, exec_lo, s28
	s_cbranch_execnz .LBB6_5141
; %bb.4584:                             ;   in Loop: Header=BB6_3759 Depth=2
	s_or_saveexec_b32 s28, s28
	v_mov_b32_e32 v36, s27
	s_xor_b32 exec_lo, exec_lo, s28
	s_cbranch_execnz .LBB6_5144
.LBB6_4585:                             ;   in Loop: Header=BB6_3759 Depth=2
	s_or_b32 exec_lo, exec_lo, s28
	s_and_saveexec_b32 s27, s11
	s_cbranch_execz .LBB6_4587
.LBB6_4586:                             ;   in Loop: Header=BB6_3759 Depth=2
	v_lshrrev_b16 v98, 3, v33
	s_delay_alu instid0(VALU_DEP_1) | instskip(NEXT) | instid1(VALU_DEP_1)
	v_and_b32_e32 v98, 15, v98
	v_cmp_eq_u32_e32 vcc_lo, 0, v98
	v_and_b32_e32 v36, 7, v33
	s_delay_alu instid0(VALU_DEP_1) | instskip(NEXT) | instid1(VALU_DEP_1)
	v_clz_i32_u32_e32 v39, v36
	v_min_u32_e32 v39, 32, v39
	s_delay_alu instid0(VALU_DEP_1) | instskip(SKIP_1) | instid1(VALU_DEP_2)
	v_subrev_nc_u32_e32 v50, 28, v39
	v_sub_nc_u32_e32 v39, 29, v39
	v_lshlrev_b32_e32 v50, v50, v33
	s_delay_alu instid0(VALU_DEP_1) | instskip(SKIP_1) | instid1(VALU_DEP_2)
	v_dual_cndmask_b32 v39, v98, v39 :: v_dual_and_b32 v50, 7, v50
	v_lshlrev_b32_e32 v33, 24, v33
	v_lshl_add_u32 v39, v39, 23, 0x3b800000
	s_delay_alu instid0(VALU_DEP_2) | instskip(NEXT) | instid1(VALU_DEP_1)
	v_dual_cndmask_b32 v36, v36, v50 :: v_dual_and_b32 v33, 0x80000000, v33
	v_lshlrev_b32_e32 v36, 20, v36
	s_delay_alu instid0(VALU_DEP_1)
	v_or3_b32 v36, v33, v39, v36
.LBB6_4587:                             ;   in Loop: Header=BB6_3759 Depth=2
	s_or_b32 exec_lo, exec_lo, s27
	s_waitcnt vmcnt(3) lgkmcnt(3)
	v_and_b32_e32 v39, 0xff, v32
	s_mov_b32 s11, 0
	s_mov_b32 s28, exec_lo
                                        ; implicit-def: $sgpr27
	s_delay_alu instid0(VALU_DEP_1)
	v_cmpx_lt_i16_e32 0x7f, v39
	s_xor_b32 s28, exec_lo, s28
	s_cbranch_execnz .LBB6_5145
; %bb.4588:                             ;   in Loop: Header=BB6_3759 Depth=2
	s_or_saveexec_b32 s28, s28
	v_mov_b32_e32 v33, s27
	s_xor_b32 exec_lo, exec_lo, s28
	s_cbranch_execnz .LBB6_5148
.LBB6_4589:                             ;   in Loop: Header=BB6_3759 Depth=2
	s_or_b32 exec_lo, exec_lo, s28
	s_and_saveexec_b32 s27, s11
	s_cbranch_execz .LBB6_4591
.LBB6_4590:                             ;   in Loop: Header=BB6_3759 Depth=2
	v_and_b32_e32 v33, 7, v32
	v_lshrrev_b16 v98, 3, v32
	s_delay_alu instid0(VALU_DEP_2) | instskip(NEXT) | instid1(VALU_DEP_2)
	v_clz_i32_u32_e32 v39, v33
	v_and_b32_e32 v98, 15, v98
	s_delay_alu instid0(VALU_DEP_2) | instskip(NEXT) | instid1(VALU_DEP_2)
	v_min_u32_e32 v39, 32, v39
	v_cmp_eq_u32_e32 vcc_lo, 0, v98
	s_delay_alu instid0(VALU_DEP_2) | instskip(SKIP_1) | instid1(VALU_DEP_2)
	v_subrev_nc_u32_e32 v50, 28, v39
	v_sub_nc_u32_e32 v39, 29, v39
	v_lshlrev_b32_e32 v50, v50, v32
	s_delay_alu instid0(VALU_DEP_1) | instskip(SKIP_1) | instid1(VALU_DEP_2)
	v_dual_cndmask_b32 v39, v98, v39 :: v_dual_and_b32 v50, 7, v50
	v_lshlrev_b32_e32 v32, 24, v32
	v_lshl_add_u32 v39, v39, 23, 0x3b800000
	s_delay_alu instid0(VALU_DEP_2) | instskip(NEXT) | instid1(VALU_DEP_1)
	v_dual_cndmask_b32 v33, v33, v50 :: v_dual_and_b32 v32, 0x80000000, v32
	v_lshlrev_b32_e32 v33, 20, v33
	s_delay_alu instid0(VALU_DEP_1)
	v_or3_b32 v33, v32, v39, v33
.LBB6_4591:                             ;   in Loop: Header=BB6_3759 Depth=2
	s_or_b32 exec_lo, exec_lo, s27
	s_delay_alu instid0(VALU_DEP_1) | instskip(NEXT) | instid1(VALU_DEP_1)
	v_dual_max_f32 v32, v33, v33 :: v_dual_max_f32 v33, v36, v36
	v_min_f32_e32 v36, v33, v32
.LBB6_4592:                             ;   in Loop: Header=BB6_3759 Depth=2
	s_waitcnt vmcnt(3) lgkmcnt(3)
	s_delay_alu instid0(VALU_DEP_1) | instskip(NEXT) | instid1(VALU_DEP_1)
	v_and_b32_e32 v32, 0x7f800000, v36
	v_cmp_ne_u32_e32 vcc_lo, 0x7f800000, v32
	v_mov_b32_e32 v32, 0x80
	s_and_saveexec_b32 s27, vcc_lo
	s_cbranch_execz .LBB6_4600
; %bb.4593:                             ;   in Loop: Header=BB6_3759 Depth=2
	v_mov_b32_e32 v32, 0
	s_mov_b32 s28, exec_lo
	v_cmpx_ne_u32_e32 0, v36
	s_cbranch_execz .LBB6_4599
; %bb.4594:                             ;   in Loop: Header=BB6_3759 Depth=2
	v_bfe_u32 v32, v36, 23, 8
	v_and_b32_e32 v33, 0x7fffff, v36
	s_delay_alu instid0(VALU_DEP_2) | instskip(SKIP_1) | instid1(VALU_DEP_3)
	v_sub_nc_u32_e32 v39, 0x78, v32
	v_cmp_gt_u32_e32 vcc_lo, 0x79, v32
	v_or_b32_e32 v50, 0x800000, v33
	s_delay_alu instid0(VALU_DEP_3) | instskip(SKIP_2) | instid1(VALU_DEP_3)
	v_cndmask_b32_e32 v39, 0, v39, vcc_lo
	v_cmp_eq_u32_e32 vcc_lo, 0, v32
	v_add_nc_u32_e32 v32, 0xffffff89, v32
	v_cndmask_b32_e64 v39, v39, 0x77, vcc_lo
	v_cndmask_b32_e32 v33, v50, v33, vcc_lo
	s_delay_alu instid0(VALU_DEP_3) | instskip(NEXT) | instid1(VALU_DEP_3)
	v_cndmask_b32_e64 v32, v32, 0xffffff8a, vcc_lo
	v_lshl_add_u32 v50, 0x100000, v39, -1
	s_delay_alu instid0(VALU_DEP_3) | instskip(SKIP_1) | instid1(VALU_DEP_4)
	v_lshrrev_b32_e32 v98, v39, v33
	v_lshlrev_b32_e64 v147, v39, 0x80000
	v_add_nc_u32_e32 v39, v39, v32
	s_delay_alu instid0(VALU_DEP_4) | instskip(NEXT) | instid1(VALU_DEP_4)
	v_and_b32_e32 v33, v50, v33
	v_bfe_u32 v101, v98, 20, 1
	s_delay_alu instid0(VALU_DEP_2) | instskip(NEXT) | instid1(VALU_DEP_2)
	v_cmp_eq_u32_e64 s11, v33, v147
	v_add_nc_u32_e32 v50, -1, v101
	s_delay_alu instid0(VALU_DEP_1) | instskip(SKIP_2) | instid1(VALU_DEP_2)
	v_cndmask_b32_e64 v33, 0, v50, s11
	v_lshrrev_b32_e32 v50, 23, v98
	s_mov_b32 s11, exec_lo
	v_add_nc_u32_e32 v33, v33, v98
	s_delay_alu instid0(VALU_DEP_2) | instskip(NEXT) | instid1(VALU_DEP_2)
	v_xor_b32_e32 v50, 1, v50
	v_and_b32_e32 v32, 0xfffff, v33
	s_delay_alu instid0(VALU_DEP_1) | instskip(NEXT) | instid1(VALU_DEP_3)
	v_add_nc_u32_e32 v33, v32, v98
                                        ; implicit-def: $vgpr32
	v_cmpx_ne_u32_e64 v39, v50
	s_xor_b32 s11, exec_lo, s11
; %bb.4595:                             ;   in Loop: Header=BB6_3759 Depth=2
	s_delay_alu instid0(VALU_DEP_2) | instskip(SKIP_2) | instid1(VALU_DEP_2)
	v_cmp_lt_u32_e32 vcc_lo, 0xffffff, v33
	v_sub_nc_u32_e32 v32, v39, v50
	v_cndmask_b32_e64 v39, 0, 1, vcc_lo
	v_add_co_ci_u32_e32 v32, vcc_lo, 0, v32, vcc_lo
	s_delay_alu instid0(VALU_DEP_2)
	v_lshrrev_b32_e32 v33, v39, v33
; %bb.4596:                             ;   in Loop: Header=BB6_3759 Depth=2
	s_and_not1_saveexec_b32 s11, s11
; %bb.4597:                             ;   in Loop: Header=BB6_3759 Depth=2
	s_delay_alu instid0(VALU_DEP_1)
	v_bfe_u32 v32, v33, 23, 1
; %bb.4598:                             ;   in Loop: Header=BB6_3759 Depth=2
	s_or_b32 exec_lo, exec_lo, s11
	v_lshrrev_b32_e32 v33, 20, v33
	s_delay_alu instid0(VALU_DEP_2) | instskip(SKIP_2) | instid1(VALU_DEP_2)
	v_cmp_gt_i32_e32 vcc_lo, 16, v32
	v_lshrrev_b32_e32 v36, 24, v36
	v_min_i32_e32 v39, 15, v32
	v_dual_cndmask_b32 v33, 7, v33 :: v_dual_and_b32 v36, 0x80, v36
	s_delay_alu instid0(VALU_DEP_1) | instskip(SKIP_1) | instid1(VALU_DEP_2)
	v_or_b32_e32 v32, v32, v33
	v_and_b32_e32 v50, 7, v33
	v_cmp_ne_u32_e32 vcc_lo, 0, v32
	v_lshlrev_b32_e32 v39, 3, v39
	s_delay_alu instid0(VALU_DEP_1) | instskip(NEXT) | instid1(VALU_DEP_1)
	v_or3_b32 v33, v39, v36, v50
	v_cndmask_b32_e32 v32, 0, v33, vcc_lo
.LBB6_4599:                             ;   in Loop: Header=BB6_3759 Depth=2
	s_or_b32 exec_lo, exec_lo, s28
.LBB6_4600:                             ;   in Loop: Header=BB6_3759 Depth=2
	s_delay_alu instid0(SALU_CYCLE_1) | instskip(NEXT) | instid1(SALU_CYCLE_1)
	s_or_b32 exec_lo, exec_lo, s27
	s_and_not1_b32 vcc_lo, exec_lo, s25
	s_cbranch_vccnz .LBB6_4610
; %bb.4601:                             ;   in Loop: Header=BB6_3759 Depth=2
	v_and_b32_e32 v36, 0xff, v28
	s_mov_b32 s11, 0
	s_mov_b32 s28, exec_lo
                                        ; implicit-def: $sgpr27
	s_delay_alu instid0(VALU_DEP_1)
	v_cmpx_lt_i16_e32 0x7f, v36
	s_xor_b32 s28, exec_lo, s28
	s_cbranch_execnz .LBB6_5149
; %bb.4602:                             ;   in Loop: Header=BB6_3759 Depth=2
	s_or_saveexec_b32 s28, s28
	v_mov_b32_e32 v33, s27
	s_xor_b32 exec_lo, exec_lo, s28
	s_cbranch_execnz .LBB6_5152
.LBB6_4603:                             ;   in Loop: Header=BB6_3759 Depth=2
	s_or_b32 exec_lo, exec_lo, s28
	s_and_saveexec_b32 s27, s11
	s_cbranch_execz .LBB6_4605
.LBB6_4604:                             ;   in Loop: Header=BB6_3759 Depth=2
	v_and_b32_e32 v33, 7, v28
	v_lshrrev_b16 v50, 3, v28
	v_lshlrev_b32_e32 v98, 24, v28
	s_delay_alu instid0(VALU_DEP_3) | instskip(NEXT) | instid1(VALU_DEP_1)
	v_clz_i32_u32_e32 v36, v33
	v_min_u32_e32 v36, 32, v36
	s_delay_alu instid0(VALU_DEP_1) | instskip(SKIP_1) | instid1(VALU_DEP_2)
	v_subrev_nc_u32_e32 v39, 28, v36
	v_sub_nc_u32_e32 v36, 29, v36
	v_lshlrev_b32_e32 v39, v39, v28
	s_delay_alu instid0(VALU_DEP_1) | instskip(SKIP_1) | instid1(VALU_DEP_1)
	v_and_b32_e32 v39, 7, v39
	v_and_b32_e32 v50, 15, v50
	v_cmp_eq_u32_e32 vcc_lo, 0, v50
	s_delay_alu instid0(VALU_DEP_3) | instskip(SKIP_1) | instid1(VALU_DEP_2)
	v_dual_cndmask_b32 v33, v33, v39 :: v_dual_cndmask_b32 v36, v50, v36
	v_and_b32_e32 v39, 0x80000000, v98
	v_lshlrev_b32_e32 v33, 20, v33
	s_delay_alu instid0(VALU_DEP_3) | instskip(NEXT) | instid1(VALU_DEP_1)
	v_lshl_add_u32 v36, v36, 23, 0x3b800000
	v_or3_b32 v33, v39, v36, v33
.LBB6_4605:                             ;   in Loop: Header=BB6_3759 Depth=2
	s_or_b32 exec_lo, exec_lo, s27
	s_waitcnt vmcnt(2) lgkmcnt(2)
	v_and_b32_e32 v39, 0xff, v27
	s_mov_b32 s11, 0
	s_mov_b32 s28, exec_lo
                                        ; implicit-def: $sgpr27
	s_delay_alu instid0(VALU_DEP_1)
	v_cmpx_lt_i16_e32 0x7f, v39
	s_xor_b32 s28, exec_lo, s28
	s_cbranch_execnz .LBB6_5153
; %bb.4606:                             ;   in Loop: Header=BB6_3759 Depth=2
	s_or_saveexec_b32 s28, s28
	v_mov_b32_e32 v36, s27
	s_xor_b32 exec_lo, exec_lo, s28
	s_cbranch_execnz .LBB6_5156
.LBB6_4607:                             ;   in Loop: Header=BB6_3759 Depth=2
	s_or_b32 exec_lo, exec_lo, s28
	s_and_saveexec_b32 s27, s11
	s_cbranch_execz .LBB6_4609
.LBB6_4608:                             ;   in Loop: Header=BB6_3759 Depth=2
	v_and_b32_e32 v36, 7, v27
	v_lshrrev_b16 v98, 3, v27
	s_delay_alu instid0(VALU_DEP_2) | instskip(NEXT) | instid1(VALU_DEP_2)
	v_clz_i32_u32_e32 v39, v36
	v_and_b32_e32 v98, 15, v98
	s_delay_alu instid0(VALU_DEP_2) | instskip(NEXT) | instid1(VALU_DEP_2)
	v_min_u32_e32 v39, 32, v39
	v_cmp_eq_u32_e32 vcc_lo, 0, v98
	s_delay_alu instid0(VALU_DEP_2) | instskip(SKIP_1) | instid1(VALU_DEP_2)
	v_subrev_nc_u32_e32 v50, 28, v39
	v_sub_nc_u32_e32 v39, 29, v39
	v_lshlrev_b32_e32 v50, v50, v27
	s_delay_alu instid0(VALU_DEP_1) | instskip(SKIP_1) | instid1(VALU_DEP_2)
	v_dual_cndmask_b32 v39, v98, v39 :: v_dual_and_b32 v50, 7, v50
	v_lshlrev_b32_e32 v101, 24, v27
	v_lshl_add_u32 v39, v39, 23, 0x3b800000
	s_delay_alu instid0(VALU_DEP_3) | instskip(NEXT) | instid1(VALU_DEP_3)
	v_cndmask_b32_e32 v36, v36, v50, vcc_lo
	v_and_b32_e32 v50, 0x80000000, v101
	s_delay_alu instid0(VALU_DEP_2) | instskip(NEXT) | instid1(VALU_DEP_1)
	v_lshlrev_b32_e32 v36, 20, v36
	v_or3_b32 v36, v50, v39, v36
.LBB6_4609:                             ;   in Loop: Header=BB6_3759 Depth=2
	s_or_b32 exec_lo, exec_lo, s27
	s_delay_alu instid0(VALU_DEP_1) | instskip(SKIP_1) | instid1(VALU_DEP_1)
	v_dual_max_f32 v36, v36, v36 :: v_dual_max_f32 v33, v33, v33
	s_mov_b32 s11, 0
	v_max_f32_e32 v33, v33, v36
	s_branch .LBB6_4611
.LBB6_4610:                             ;   in Loop: Header=BB6_3759 Depth=2
	s_mov_b32 s11, -1
                                        ; implicit-def: $vgpr33
.LBB6_4611:                             ;   in Loop: Header=BB6_3759 Depth=2
	s_delay_alu instid0(SALU_CYCLE_1)
	s_and_b32 vcc_lo, exec_lo, s11
	s_cbranch_vccz .LBB6_4621
; %bb.4612:                             ;   in Loop: Header=BB6_3759 Depth=2
	v_and_b32_e32 v36, 0xff, v28
	s_mov_b32 s11, 0
	s_mov_b32 s28, exec_lo
                                        ; implicit-def: $sgpr27
	s_delay_alu instid0(VALU_DEP_1)
	v_cmpx_lt_i16_e32 0x7f, v36
	s_xor_b32 s28, exec_lo, s28
	s_cbranch_execnz .LBB6_5157
; %bb.4613:                             ;   in Loop: Header=BB6_3759 Depth=2
	s_or_saveexec_b32 s28, s28
	v_mov_b32_e32 v33, s27
	s_xor_b32 exec_lo, exec_lo, s28
	s_cbranch_execnz .LBB6_5160
.LBB6_4614:                             ;   in Loop: Header=BB6_3759 Depth=2
	s_or_b32 exec_lo, exec_lo, s28
	s_and_saveexec_b32 s27, s11
	s_cbranch_execz .LBB6_4616
.LBB6_4615:                             ;   in Loop: Header=BB6_3759 Depth=2
	v_and_b32_e32 v33, 7, v28
	v_lshrrev_b16 v50, 3, v28
	s_delay_alu instid0(VALU_DEP_2) | instskip(NEXT) | instid1(VALU_DEP_1)
	v_clz_i32_u32_e32 v36, v33
	v_min_u32_e32 v36, 32, v36
	s_delay_alu instid0(VALU_DEP_1) | instskip(SKIP_1) | instid1(VALU_DEP_2)
	v_subrev_nc_u32_e32 v39, 28, v36
	v_sub_nc_u32_e32 v36, 29, v36
	v_lshlrev_b32_e32 v39, v39, v28
	v_lshlrev_b32_e32 v28, 24, v28
	s_delay_alu instid0(VALU_DEP_2) | instskip(SKIP_1) | instid1(VALU_DEP_3)
	v_and_b32_e32 v39, 7, v39
	v_and_b32_e32 v50, 15, v50
	;; [unrolled: 1-line block ×3, first 2 shown]
	s_delay_alu instid0(VALU_DEP_2) | instskip(NEXT) | instid1(VALU_DEP_4)
	v_cmp_eq_u32_e32 vcc_lo, 0, v50
	v_dual_cndmask_b32 v33, v33, v39 :: v_dual_cndmask_b32 v36, v50, v36
	s_delay_alu instid0(VALU_DEP_1) | instskip(NEXT) | instid1(VALU_DEP_2)
	v_lshlrev_b32_e32 v33, 20, v33
	v_lshl_add_u32 v36, v36, 23, 0x3b800000
	s_delay_alu instid0(VALU_DEP_1)
	v_or3_b32 v33, v28, v36, v33
.LBB6_4616:                             ;   in Loop: Header=BB6_3759 Depth=2
	s_or_b32 exec_lo, exec_lo, s27
	s_waitcnt vmcnt(2) lgkmcnt(2)
	v_and_b32_e32 v36, 0xff, v27
	s_mov_b32 s11, 0
	s_mov_b32 s28, exec_lo
                                        ; implicit-def: $sgpr27
	s_delay_alu instid0(VALU_DEP_1)
	v_cmpx_lt_i16_e32 0x7f, v36
	s_xor_b32 s28, exec_lo, s28
	s_cbranch_execnz .LBB6_5161
; %bb.4617:                             ;   in Loop: Header=BB6_3759 Depth=2
	s_or_saveexec_b32 s28, s28
	v_mov_b32_e32 v28, s27
	s_xor_b32 exec_lo, exec_lo, s28
	s_cbranch_execnz .LBB6_5164
.LBB6_4618:                             ;   in Loop: Header=BB6_3759 Depth=2
	s_or_b32 exec_lo, exec_lo, s28
	s_and_saveexec_b32 s27, s11
	s_cbranch_execz .LBB6_4620
.LBB6_4619:                             ;   in Loop: Header=BB6_3759 Depth=2
	v_and_b32_e32 v28, 7, v27
	v_lshrrev_b16 v50, 3, v27
	s_delay_alu instid0(VALU_DEP_2) | instskip(NEXT) | instid1(VALU_DEP_2)
	v_clz_i32_u32_e32 v36, v28
	v_and_b32_e32 v50, 15, v50
	s_delay_alu instid0(VALU_DEP_2) | instskip(NEXT) | instid1(VALU_DEP_2)
	v_min_u32_e32 v36, 32, v36
	v_cmp_eq_u32_e32 vcc_lo, 0, v50
	s_delay_alu instid0(VALU_DEP_2) | instskip(SKIP_1) | instid1(VALU_DEP_1)
	v_subrev_nc_u32_e32 v39, 28, v36
	v_sub_nc_u32_e32 v36, 29, v36
	v_dual_cndmask_b32 v36, v50, v36 :: v_dual_lshlrev_b32 v39, v39, v27
	v_lshlrev_b32_e32 v27, 24, v27
	s_delay_alu instid0(VALU_DEP_2) | instskip(NEXT) | instid1(VALU_DEP_3)
	v_and_b32_e32 v39, 7, v39
	v_lshl_add_u32 v36, v36, 23, 0x3b800000
	s_delay_alu instid0(VALU_DEP_3) | instskip(NEXT) | instid1(VALU_DEP_3)
	v_and_b32_e32 v27, 0x80000000, v27
	v_cndmask_b32_e32 v28, v28, v39, vcc_lo
	s_delay_alu instid0(VALU_DEP_1) | instskip(NEXT) | instid1(VALU_DEP_1)
	v_lshlrev_b32_e32 v28, 20, v28
	v_or3_b32 v28, v27, v36, v28
.LBB6_4620:                             ;   in Loop: Header=BB6_3759 Depth=2
	s_or_b32 exec_lo, exec_lo, s27
	s_delay_alu instid0(VALU_DEP_1) | instskip(NEXT) | instid1(VALU_DEP_1)
	v_dual_max_f32 v27, v28, v28 :: v_dual_max_f32 v28, v33, v33
	v_min_f32_e32 v33, v28, v27
.LBB6_4621:                             ;   in Loop: Header=BB6_3759 Depth=2
	s_waitcnt vmcnt(2) lgkmcnt(2)
	s_delay_alu instid0(VALU_DEP_1) | instskip(NEXT) | instid1(VALU_DEP_1)
	v_and_b32_e32 v27, 0x7f800000, v33
	v_cmp_ne_u32_e32 vcc_lo, 0x7f800000, v27
	v_mov_b32_e32 v27, 0x80
	s_and_saveexec_b32 s27, vcc_lo
	s_cbranch_execz .LBB6_4629
; %bb.4622:                             ;   in Loop: Header=BB6_3759 Depth=2
	v_mov_b32_e32 v27, 0
	s_mov_b32 s28, exec_lo
	v_cmpx_ne_u32_e32 0, v33
	s_cbranch_execz .LBB6_4628
; %bb.4623:                             ;   in Loop: Header=BB6_3759 Depth=2
	v_bfe_u32 v27, v33, 23, 8
	v_and_b32_e32 v28, 0x7fffff, v33
	s_delay_alu instid0(VALU_DEP_2) | instskip(SKIP_1) | instid1(VALU_DEP_3)
	v_sub_nc_u32_e32 v36, 0x78, v27
	v_cmp_gt_u32_e32 vcc_lo, 0x79, v27
	v_or_b32_e32 v39, 0x800000, v28
	s_delay_alu instid0(VALU_DEP_3) | instskip(SKIP_2) | instid1(VALU_DEP_3)
	v_cndmask_b32_e32 v36, 0, v36, vcc_lo
	v_cmp_eq_u32_e32 vcc_lo, 0, v27
	v_add_nc_u32_e32 v27, 0xffffff89, v27
	v_cndmask_b32_e64 v36, v36, 0x77, vcc_lo
	v_cndmask_b32_e32 v28, v39, v28, vcc_lo
	s_delay_alu instid0(VALU_DEP_3) | instskip(NEXT) | instid1(VALU_DEP_3)
	v_cndmask_b32_e64 v27, v27, 0xffffff8a, vcc_lo
	v_lshl_add_u32 v39, 0x100000, v36, -1
	s_delay_alu instid0(VALU_DEP_3) | instskip(SKIP_1) | instid1(VALU_DEP_4)
	v_lshrrev_b32_e32 v50, v36, v28
	v_lshlrev_b32_e64 v101, v36, 0x80000
	v_add_nc_u32_e32 v36, v36, v27
	s_delay_alu instid0(VALU_DEP_4) | instskip(NEXT) | instid1(VALU_DEP_4)
	v_and_b32_e32 v28, v39, v28
	v_bfe_u32 v98, v50, 20, 1
	s_delay_alu instid0(VALU_DEP_2) | instskip(NEXT) | instid1(VALU_DEP_2)
	v_cmp_eq_u32_e64 s11, v28, v101
	v_add_nc_u32_e32 v39, -1, v98
	s_delay_alu instid0(VALU_DEP_1) | instskip(SKIP_2) | instid1(VALU_DEP_2)
	v_cndmask_b32_e64 v28, 0, v39, s11
	v_lshrrev_b32_e32 v39, 23, v50
	s_mov_b32 s11, exec_lo
	v_add_nc_u32_e32 v28, v28, v50
	s_delay_alu instid0(VALU_DEP_2) | instskip(NEXT) | instid1(VALU_DEP_2)
	v_xor_b32_e32 v39, 1, v39
	v_and_b32_e32 v27, 0xfffff, v28
	s_delay_alu instid0(VALU_DEP_1) | instskip(NEXT) | instid1(VALU_DEP_3)
	v_add_nc_u32_e32 v28, v27, v50
                                        ; implicit-def: $vgpr27
	v_cmpx_ne_u32_e64 v36, v39
	s_xor_b32 s11, exec_lo, s11
; %bb.4624:                             ;   in Loop: Header=BB6_3759 Depth=2
	s_delay_alu instid0(VALU_DEP_2) | instskip(SKIP_2) | instid1(VALU_DEP_2)
	v_cmp_lt_u32_e32 vcc_lo, 0xffffff, v28
	v_sub_nc_u32_e32 v27, v36, v39
	v_cndmask_b32_e64 v36, 0, 1, vcc_lo
	v_add_co_ci_u32_e32 v27, vcc_lo, 0, v27, vcc_lo
	s_delay_alu instid0(VALU_DEP_2)
	v_lshrrev_b32_e32 v28, v36, v28
; %bb.4625:                             ;   in Loop: Header=BB6_3759 Depth=2
	s_and_not1_saveexec_b32 s11, s11
; %bb.4626:                             ;   in Loop: Header=BB6_3759 Depth=2
	s_delay_alu instid0(VALU_DEP_1)
	v_bfe_u32 v27, v28, 23, 1
; %bb.4627:                             ;   in Loop: Header=BB6_3759 Depth=2
	s_or_b32 exec_lo, exec_lo, s11
	v_lshrrev_b32_e32 v28, 20, v28
	s_delay_alu instid0(VALU_DEP_2) | instskip(SKIP_2) | instid1(VALU_DEP_2)
	v_cmp_gt_i32_e32 vcc_lo, 16, v27
	v_lshrrev_b32_e32 v33, 24, v33
	v_min_i32_e32 v36, 15, v27
	v_dual_cndmask_b32 v28, 7, v28 :: v_dual_and_b32 v33, 0x80, v33
	s_delay_alu instid0(VALU_DEP_2) | instskip(NEXT) | instid1(VALU_DEP_2)
	v_lshlrev_b32_e32 v36, 3, v36
	v_and_b32_e32 v39, 7, v28
	v_or_b32_e32 v27, v27, v28
	s_delay_alu instid0(VALU_DEP_2) | instskip(NEXT) | instid1(VALU_DEP_2)
	v_or3_b32 v28, v36, v33, v39
	v_cmp_ne_u32_e32 vcc_lo, 0, v27
	s_delay_alu instid0(VALU_DEP_2)
	v_cndmask_b32_e32 v27, 0, v28, vcc_lo
.LBB6_4628:                             ;   in Loop: Header=BB6_3759 Depth=2
	s_or_b32 exec_lo, exec_lo, s28
.LBB6_4629:                             ;   in Loop: Header=BB6_3759 Depth=2
	s_delay_alu instid0(SALU_CYCLE_1) | instskip(NEXT) | instid1(SALU_CYCLE_1)
	s_or_b32 exec_lo, exec_lo, s27
	s_and_not1_b32 vcc_lo, exec_lo, s25
	s_cbranch_vccnz .LBB6_4639
; %bb.4630:                             ;   in Loop: Header=BB6_3759 Depth=2
	v_and_b32_e32 v33, 0xff, v25
	s_mov_b32 s11, 0
	s_mov_b32 s28, exec_lo
                                        ; implicit-def: $sgpr27
	s_delay_alu instid0(VALU_DEP_1)
	v_cmpx_lt_i16_e32 0x7f, v33
	s_xor_b32 s28, exec_lo, s28
	s_cbranch_execnz .LBB6_5165
; %bb.4631:                             ;   in Loop: Header=BB6_3759 Depth=2
	s_or_saveexec_b32 s28, s28
	v_mov_b32_e32 v28, s27
	s_xor_b32 exec_lo, exec_lo, s28
	s_cbranch_execnz .LBB6_5168
.LBB6_4632:                             ;   in Loop: Header=BB6_3759 Depth=2
	s_or_b32 exec_lo, exec_lo, s28
	s_and_saveexec_b32 s27, s11
	s_cbranch_execz .LBB6_4634
.LBB6_4633:                             ;   in Loop: Header=BB6_3759 Depth=2
	v_and_b32_e32 v28, 7, v25
	v_lshrrev_b16 v39, 3, v25
	v_lshlrev_b32_e32 v50, 24, v25
	s_delay_alu instid0(VALU_DEP_3) | instskip(NEXT) | instid1(VALU_DEP_1)
	v_clz_i32_u32_e32 v33, v28
	v_min_u32_e32 v33, 32, v33
	s_delay_alu instid0(VALU_DEP_1) | instskip(SKIP_1) | instid1(VALU_DEP_2)
	v_subrev_nc_u32_e32 v36, 28, v33
	v_sub_nc_u32_e32 v33, 29, v33
	v_lshlrev_b32_e32 v36, v36, v25
	s_delay_alu instid0(VALU_DEP_1) | instskip(SKIP_1) | instid1(VALU_DEP_1)
	v_and_b32_e32 v36, 7, v36
	v_and_b32_e32 v39, 15, v39
	v_cmp_eq_u32_e32 vcc_lo, 0, v39
	s_delay_alu instid0(VALU_DEP_3) | instskip(SKIP_1) | instid1(VALU_DEP_2)
	v_dual_cndmask_b32 v28, v28, v36 :: v_dual_cndmask_b32 v33, v39, v33
	v_and_b32_e32 v36, 0x80000000, v50
	v_lshlrev_b32_e32 v28, 20, v28
	s_delay_alu instid0(VALU_DEP_3) | instskip(NEXT) | instid1(VALU_DEP_1)
	v_lshl_add_u32 v33, v33, 23, 0x3b800000
	v_or3_b32 v28, v36, v33, v28
.LBB6_4634:                             ;   in Loop: Header=BB6_3759 Depth=2
	s_or_b32 exec_lo, exec_lo, s27
	s_waitcnt vmcnt(1) lgkmcnt(1)
	v_and_b32_e32 v36, 0xff, v24
	s_mov_b32 s11, 0
	s_mov_b32 s28, exec_lo
                                        ; implicit-def: $sgpr27
	s_delay_alu instid0(VALU_DEP_1)
	v_cmpx_lt_i16_e32 0x7f, v36
	s_xor_b32 s28, exec_lo, s28
	s_cbranch_execnz .LBB6_5169
; %bb.4635:                             ;   in Loop: Header=BB6_3759 Depth=2
	s_or_saveexec_b32 s28, s28
	v_mov_b32_e32 v33, s27
	s_xor_b32 exec_lo, exec_lo, s28
	s_cbranch_execnz .LBB6_5172
.LBB6_4636:                             ;   in Loop: Header=BB6_3759 Depth=2
	s_or_b32 exec_lo, exec_lo, s28
	s_and_saveexec_b32 s27, s11
	s_cbranch_execz .LBB6_4638
.LBB6_4637:                             ;   in Loop: Header=BB6_3759 Depth=2
	v_and_b32_e32 v33, 7, v24
	v_lshrrev_b16 v50, 3, v24
	v_lshlrev_b32_e32 v98, 24, v24
	s_delay_alu instid0(VALU_DEP_3) | instskip(NEXT) | instid1(VALU_DEP_1)
	v_clz_i32_u32_e32 v36, v33
	v_min_u32_e32 v36, 32, v36
	s_delay_alu instid0(VALU_DEP_1) | instskip(SKIP_1) | instid1(VALU_DEP_2)
	v_subrev_nc_u32_e32 v39, 28, v36
	v_sub_nc_u32_e32 v36, 29, v36
	v_lshlrev_b32_e32 v39, v39, v24
	s_delay_alu instid0(VALU_DEP_1) | instskip(SKIP_1) | instid1(VALU_DEP_1)
	v_and_b32_e32 v39, 7, v39
	v_and_b32_e32 v50, 15, v50
	v_cmp_eq_u32_e32 vcc_lo, 0, v50
	s_delay_alu instid0(VALU_DEP_3) | instskip(SKIP_1) | instid1(VALU_DEP_2)
	v_dual_cndmask_b32 v33, v33, v39 :: v_dual_cndmask_b32 v36, v50, v36
	v_and_b32_e32 v39, 0x80000000, v98
	v_lshlrev_b32_e32 v33, 20, v33
	s_delay_alu instid0(VALU_DEP_3) | instskip(NEXT) | instid1(VALU_DEP_1)
	v_lshl_add_u32 v36, v36, 23, 0x3b800000
	v_or3_b32 v33, v39, v36, v33
.LBB6_4638:                             ;   in Loop: Header=BB6_3759 Depth=2
	s_or_b32 exec_lo, exec_lo, s27
	s_delay_alu instid0(VALU_DEP_1) | instskip(SKIP_1) | instid1(VALU_DEP_1)
	v_dual_max_f32 v33, v33, v33 :: v_dual_max_f32 v28, v28, v28
	s_mov_b32 s11, 0
	v_max_f32_e32 v28, v28, v33
	s_branch .LBB6_4640
.LBB6_4639:                             ;   in Loop: Header=BB6_3759 Depth=2
	s_mov_b32 s11, -1
                                        ; implicit-def: $vgpr28
.LBB6_4640:                             ;   in Loop: Header=BB6_3759 Depth=2
	s_delay_alu instid0(SALU_CYCLE_1)
	s_and_b32 vcc_lo, exec_lo, s11
	s_cbranch_vccz .LBB6_4650
; %bb.4641:                             ;   in Loop: Header=BB6_3759 Depth=2
	v_and_b32_e32 v33, 0xff, v25
	s_mov_b32 s11, 0
	s_mov_b32 s28, exec_lo
                                        ; implicit-def: $sgpr27
	s_delay_alu instid0(VALU_DEP_1)
	v_cmpx_lt_i16_e32 0x7f, v33
	s_xor_b32 s28, exec_lo, s28
	s_cbranch_execnz .LBB6_5173
; %bb.4642:                             ;   in Loop: Header=BB6_3759 Depth=2
	s_or_saveexec_b32 s28, s28
	v_mov_b32_e32 v28, s27
	s_xor_b32 exec_lo, exec_lo, s28
	s_cbranch_execnz .LBB6_5176
.LBB6_4643:                             ;   in Loop: Header=BB6_3759 Depth=2
	s_or_b32 exec_lo, exec_lo, s28
	s_and_saveexec_b32 s27, s11
	s_cbranch_execz .LBB6_4645
.LBB6_4644:                             ;   in Loop: Header=BB6_3759 Depth=2
	v_and_b32_e32 v28, 7, v25
	v_lshrrev_b16 v39, 3, v25
	s_delay_alu instid0(VALU_DEP_2) | instskip(NEXT) | instid1(VALU_DEP_1)
	v_clz_i32_u32_e32 v33, v28
	v_min_u32_e32 v33, 32, v33
	s_delay_alu instid0(VALU_DEP_1) | instskip(SKIP_1) | instid1(VALU_DEP_2)
	v_subrev_nc_u32_e32 v36, 28, v33
	v_sub_nc_u32_e32 v33, 29, v33
	v_lshlrev_b32_e32 v36, v36, v25
	v_lshlrev_b32_e32 v25, 24, v25
	s_delay_alu instid0(VALU_DEP_2) | instskip(SKIP_1) | instid1(VALU_DEP_3)
	v_and_b32_e32 v36, 7, v36
	v_and_b32_e32 v39, 15, v39
	v_and_b32_e32 v25, 0x80000000, v25
	s_delay_alu instid0(VALU_DEP_2) | instskip(NEXT) | instid1(VALU_DEP_4)
	v_cmp_eq_u32_e32 vcc_lo, 0, v39
	v_dual_cndmask_b32 v28, v28, v36 :: v_dual_cndmask_b32 v33, v39, v33
	s_delay_alu instid0(VALU_DEP_1) | instskip(NEXT) | instid1(VALU_DEP_2)
	v_lshlrev_b32_e32 v28, 20, v28
	v_lshl_add_u32 v33, v33, 23, 0x3b800000
	s_delay_alu instid0(VALU_DEP_1)
	v_or3_b32 v28, v25, v33, v28
.LBB6_4645:                             ;   in Loop: Header=BB6_3759 Depth=2
	s_or_b32 exec_lo, exec_lo, s27
	s_waitcnt vmcnt(1) lgkmcnt(1)
	v_and_b32_e32 v33, 0xff, v24
	s_mov_b32 s11, 0
	s_mov_b32 s28, exec_lo
                                        ; implicit-def: $sgpr27
	s_delay_alu instid0(VALU_DEP_1)
	v_cmpx_lt_i16_e32 0x7f, v33
	s_xor_b32 s28, exec_lo, s28
	s_cbranch_execnz .LBB6_5177
; %bb.4646:                             ;   in Loop: Header=BB6_3759 Depth=2
	s_or_saveexec_b32 s28, s28
	v_mov_b32_e32 v25, s27
	s_xor_b32 exec_lo, exec_lo, s28
	s_cbranch_execnz .LBB6_5180
.LBB6_4647:                             ;   in Loop: Header=BB6_3759 Depth=2
	s_or_b32 exec_lo, exec_lo, s28
	s_and_saveexec_b32 s27, s11
	s_cbranch_execz .LBB6_4649
.LBB6_4648:                             ;   in Loop: Header=BB6_3759 Depth=2
	v_and_b32_e32 v25, 7, v24
	v_lshrrev_b16 v39, 3, v24
	s_delay_alu instid0(VALU_DEP_2) | instskip(NEXT) | instid1(VALU_DEP_2)
	v_clz_i32_u32_e32 v33, v25
	v_and_b32_e32 v39, 15, v39
	s_delay_alu instid0(VALU_DEP_2) | instskip(NEXT) | instid1(VALU_DEP_2)
	v_min_u32_e32 v33, 32, v33
	v_cmp_eq_u32_e32 vcc_lo, 0, v39
	s_delay_alu instid0(VALU_DEP_2) | instskip(SKIP_1) | instid1(VALU_DEP_1)
	v_subrev_nc_u32_e32 v36, 28, v33
	v_sub_nc_u32_e32 v33, 29, v33
	v_dual_cndmask_b32 v33, v39, v33 :: v_dual_lshlrev_b32 v36, v36, v24
	v_lshlrev_b32_e32 v24, 24, v24
	s_delay_alu instid0(VALU_DEP_2) | instskip(NEXT) | instid1(VALU_DEP_3)
	v_and_b32_e32 v36, 7, v36
	v_lshl_add_u32 v33, v33, 23, 0x3b800000
	s_delay_alu instid0(VALU_DEP_3) | instskip(NEXT) | instid1(VALU_DEP_3)
	v_and_b32_e32 v24, 0x80000000, v24
	v_cndmask_b32_e32 v25, v25, v36, vcc_lo
	s_delay_alu instid0(VALU_DEP_1) | instskip(NEXT) | instid1(VALU_DEP_1)
	v_lshlrev_b32_e32 v25, 20, v25
	v_or3_b32 v25, v24, v33, v25
.LBB6_4649:                             ;   in Loop: Header=BB6_3759 Depth=2
	s_or_b32 exec_lo, exec_lo, s27
	s_delay_alu instid0(VALU_DEP_1) | instskip(NEXT) | instid1(VALU_DEP_1)
	v_dual_max_f32 v24, v25, v25 :: v_dual_max_f32 v25, v28, v28
	v_min_f32_e32 v28, v25, v24
.LBB6_4650:                             ;   in Loop: Header=BB6_3759 Depth=2
	s_waitcnt vmcnt(1) lgkmcnt(1)
	s_delay_alu instid0(VALU_DEP_1) | instskip(NEXT) | instid1(VALU_DEP_1)
	v_and_b32_e32 v24, 0x7f800000, v28
	v_cmp_ne_u32_e32 vcc_lo, 0x7f800000, v24
	v_mov_b32_e32 v24, 0x80
	s_and_saveexec_b32 s27, vcc_lo
	s_cbranch_execz .LBB6_4658
; %bb.4651:                             ;   in Loop: Header=BB6_3759 Depth=2
	v_mov_b32_e32 v24, 0
	s_mov_b32 s28, exec_lo
	v_cmpx_ne_u32_e32 0, v28
	s_cbranch_execz .LBB6_4657
; %bb.4652:                             ;   in Loop: Header=BB6_3759 Depth=2
	v_bfe_u32 v24, v28, 23, 8
	v_and_b32_e32 v25, 0x7fffff, v28
	s_delay_alu instid0(VALU_DEP_2) | instskip(SKIP_1) | instid1(VALU_DEP_3)
	v_sub_nc_u32_e32 v33, 0x78, v24
	v_cmp_gt_u32_e32 vcc_lo, 0x79, v24
	v_or_b32_e32 v36, 0x800000, v25
	s_delay_alu instid0(VALU_DEP_3) | instskip(SKIP_2) | instid1(VALU_DEP_3)
	v_cndmask_b32_e32 v33, 0, v33, vcc_lo
	v_cmp_eq_u32_e32 vcc_lo, 0, v24
	v_add_nc_u32_e32 v24, 0xffffff89, v24
	v_cndmask_b32_e64 v33, v33, 0x77, vcc_lo
	v_cndmask_b32_e32 v25, v36, v25, vcc_lo
	s_delay_alu instid0(VALU_DEP_3) | instskip(NEXT) | instid1(VALU_DEP_3)
	v_cndmask_b32_e64 v24, v24, 0xffffff8a, vcc_lo
	v_lshl_add_u32 v36, 0x100000, v33, -1
	s_delay_alu instid0(VALU_DEP_3) | instskip(SKIP_1) | instid1(VALU_DEP_4)
	v_lshrrev_b32_e32 v39, v33, v25
	v_lshlrev_b32_e64 v98, v33, 0x80000
	v_add_nc_u32_e32 v33, v33, v24
	s_delay_alu instid0(VALU_DEP_4) | instskip(NEXT) | instid1(VALU_DEP_4)
	v_and_b32_e32 v25, v36, v25
	v_bfe_u32 v50, v39, 20, 1
	s_delay_alu instid0(VALU_DEP_2) | instskip(NEXT) | instid1(VALU_DEP_2)
	v_cmp_eq_u32_e64 s11, v25, v98
	v_add_nc_u32_e32 v36, -1, v50
	s_delay_alu instid0(VALU_DEP_1) | instskip(SKIP_2) | instid1(VALU_DEP_2)
	v_cndmask_b32_e64 v25, 0, v36, s11
	v_lshrrev_b32_e32 v36, 23, v39
	s_mov_b32 s11, exec_lo
	v_add_nc_u32_e32 v25, v25, v39
	s_delay_alu instid0(VALU_DEP_2) | instskip(NEXT) | instid1(VALU_DEP_2)
	v_xor_b32_e32 v36, 1, v36
	v_and_b32_e32 v24, 0xfffff, v25
	s_delay_alu instid0(VALU_DEP_1) | instskip(NEXT) | instid1(VALU_DEP_3)
	v_add_nc_u32_e32 v25, v24, v39
                                        ; implicit-def: $vgpr24
	v_cmpx_ne_u32_e64 v33, v36
	s_xor_b32 s11, exec_lo, s11
; %bb.4653:                             ;   in Loop: Header=BB6_3759 Depth=2
	s_delay_alu instid0(VALU_DEP_2) | instskip(SKIP_2) | instid1(VALU_DEP_2)
	v_cmp_lt_u32_e32 vcc_lo, 0xffffff, v25
	v_sub_nc_u32_e32 v24, v33, v36
	v_cndmask_b32_e64 v33, 0, 1, vcc_lo
	v_add_co_ci_u32_e32 v24, vcc_lo, 0, v24, vcc_lo
	s_delay_alu instid0(VALU_DEP_2)
	v_lshrrev_b32_e32 v25, v33, v25
; %bb.4654:                             ;   in Loop: Header=BB6_3759 Depth=2
	s_and_not1_saveexec_b32 s11, s11
; %bb.4655:                             ;   in Loop: Header=BB6_3759 Depth=2
	s_delay_alu instid0(VALU_DEP_1)
	v_bfe_u32 v24, v25, 23, 1
; %bb.4656:                             ;   in Loop: Header=BB6_3759 Depth=2
	s_or_b32 exec_lo, exec_lo, s11
	v_lshrrev_b32_e32 v25, 20, v25
	s_delay_alu instid0(VALU_DEP_2) | instskip(SKIP_2) | instid1(VALU_DEP_2)
	v_cmp_gt_i32_e32 vcc_lo, 16, v24
	v_lshrrev_b32_e32 v28, 24, v28
	v_min_i32_e32 v33, 15, v24
	v_dual_cndmask_b32 v25, 7, v25 :: v_dual_and_b32 v28, 0x80, v28
	s_delay_alu instid0(VALU_DEP_2) | instskip(NEXT) | instid1(VALU_DEP_2)
	v_lshlrev_b32_e32 v33, 3, v33
	v_and_b32_e32 v36, 7, v25
	v_or_b32_e32 v24, v24, v25
	s_delay_alu instid0(VALU_DEP_2) | instskip(NEXT) | instid1(VALU_DEP_2)
	v_or3_b32 v25, v33, v28, v36
	v_cmp_ne_u32_e32 vcc_lo, 0, v24
	s_delay_alu instid0(VALU_DEP_2)
	v_cndmask_b32_e32 v24, 0, v25, vcc_lo
.LBB6_4657:                             ;   in Loop: Header=BB6_3759 Depth=2
	s_or_b32 exec_lo, exec_lo, s28
.LBB6_4658:                             ;   in Loop: Header=BB6_3759 Depth=2
	s_delay_alu instid0(SALU_CYCLE_1) | instskip(NEXT) | instid1(SALU_CYCLE_1)
	s_or_b32 exec_lo, exec_lo, s27
	s_and_not1_b32 vcc_lo, exec_lo, s25
	s_cbranch_vccnz .LBB6_4668
; %bb.4659:                             ;   in Loop: Header=BB6_3759 Depth=2
	v_and_b32_e32 v28, 0xff, v22
	s_mov_b32 s11, 0
	s_mov_b32 s28, exec_lo
                                        ; implicit-def: $sgpr27
	s_delay_alu instid0(VALU_DEP_1)
	v_cmpx_lt_i16_e32 0x7f, v28
	s_xor_b32 s28, exec_lo, s28
	s_cbranch_execnz .LBB6_5181
; %bb.4660:                             ;   in Loop: Header=BB6_3759 Depth=2
	s_or_saveexec_b32 s28, s28
	v_mov_b32_e32 v25, s27
	s_xor_b32 exec_lo, exec_lo, s28
	s_cbranch_execnz .LBB6_5184
.LBB6_4661:                             ;   in Loop: Header=BB6_3759 Depth=2
	s_or_b32 exec_lo, exec_lo, s28
	s_and_saveexec_b32 s27, s11
	s_cbranch_execz .LBB6_4663
.LBB6_4662:                             ;   in Loop: Header=BB6_3759 Depth=2
	v_lshrrev_b16 v36, 3, v22
	v_lshlrev_b32_e32 v39, 24, v22
	s_delay_alu instid0(VALU_DEP_2) | instskip(NEXT) | instid1(VALU_DEP_1)
	v_and_b32_e32 v36, 15, v36
	v_cmp_eq_u32_e32 vcc_lo, 0, v36
	v_and_b32_e32 v25, 7, v22
	s_delay_alu instid0(VALU_DEP_1) | instskip(NEXT) | instid1(VALU_DEP_1)
	v_clz_i32_u32_e32 v28, v25
	v_min_u32_e32 v28, 32, v28
	s_delay_alu instid0(VALU_DEP_1) | instskip(SKIP_1) | instid1(VALU_DEP_1)
	v_subrev_nc_u32_e32 v33, 28, v28
	v_sub_nc_u32_e32 v28, 29, v28
	v_dual_cndmask_b32 v28, v36, v28 :: v_dual_lshlrev_b32 v33, v33, v22
	s_delay_alu instid0(VALU_DEP_1) | instskip(NEXT) | instid1(VALU_DEP_2)
	v_and_b32_e32 v33, 7, v33
	v_lshl_add_u32 v28, v28, 23, 0x3b800000
	s_delay_alu instid0(VALU_DEP_2) | instskip(SKIP_1) | instid1(VALU_DEP_2)
	v_cndmask_b32_e32 v25, v25, v33, vcc_lo
	v_and_b32_e32 v33, 0x80000000, v39
	v_lshlrev_b32_e32 v25, 20, v25
	s_delay_alu instid0(VALU_DEP_1)
	v_or3_b32 v25, v33, v28, v25
.LBB6_4663:                             ;   in Loop: Header=BB6_3759 Depth=2
	s_or_b32 exec_lo, exec_lo, s27
	s_waitcnt vmcnt(0) lgkmcnt(0)
	v_and_b32_e32 v33, 0xff, v21
	s_mov_b32 s11, 0
	s_mov_b32 s28, exec_lo
                                        ; implicit-def: $sgpr27
	s_delay_alu instid0(VALU_DEP_1)
	v_cmpx_lt_i16_e32 0x7f, v33
	s_xor_b32 s28, exec_lo, s28
	s_cbranch_execnz .LBB6_5185
; %bb.4664:                             ;   in Loop: Header=BB6_3759 Depth=2
	s_or_saveexec_b32 s28, s28
	v_mov_b32_e32 v28, s27
	s_xor_b32 exec_lo, exec_lo, s28
	s_cbranch_execnz .LBB6_5188
.LBB6_4665:                             ;   in Loop: Header=BB6_3759 Depth=2
	s_or_b32 exec_lo, exec_lo, s28
	s_and_saveexec_b32 s27, s11
	s_cbranch_execz .LBB6_4667
.LBB6_4666:                             ;   in Loop: Header=BB6_3759 Depth=2
	v_and_b32_e32 v28, 7, v21
	v_lshrrev_b16 v39, 3, v21
	v_lshlrev_b32_e32 v50, 24, v21
	s_delay_alu instid0(VALU_DEP_3) | instskip(NEXT) | instid1(VALU_DEP_1)
	v_clz_i32_u32_e32 v33, v28
	v_min_u32_e32 v33, 32, v33
	s_delay_alu instid0(VALU_DEP_1) | instskip(SKIP_1) | instid1(VALU_DEP_2)
	v_subrev_nc_u32_e32 v36, 28, v33
	v_sub_nc_u32_e32 v33, 29, v33
	v_lshlrev_b32_e32 v36, v36, v21
	s_delay_alu instid0(VALU_DEP_1) | instskip(SKIP_1) | instid1(VALU_DEP_1)
	v_and_b32_e32 v36, 7, v36
	v_and_b32_e32 v39, 15, v39
	v_cmp_eq_u32_e32 vcc_lo, 0, v39
	s_delay_alu instid0(VALU_DEP_3) | instskip(SKIP_1) | instid1(VALU_DEP_2)
	v_dual_cndmask_b32 v28, v28, v36 :: v_dual_cndmask_b32 v33, v39, v33
	v_and_b32_e32 v36, 0x80000000, v50
	v_lshlrev_b32_e32 v28, 20, v28
	s_delay_alu instid0(VALU_DEP_3) | instskip(NEXT) | instid1(VALU_DEP_1)
	v_lshl_add_u32 v33, v33, 23, 0x3b800000
	v_or3_b32 v28, v36, v33, v28
.LBB6_4667:                             ;   in Loop: Header=BB6_3759 Depth=2
	s_or_b32 exec_lo, exec_lo, s27
	s_delay_alu instid0(VALU_DEP_1) | instskip(SKIP_1) | instid1(VALU_DEP_1)
	v_dual_max_f32 v28, v28, v28 :: v_dual_max_f32 v25, v25, v25
	s_mov_b32 s11, 0
	v_max_f32_e32 v25, v25, v28
	s_branch .LBB6_4669
.LBB6_4668:                             ;   in Loop: Header=BB6_3759 Depth=2
	s_mov_b32 s11, -1
                                        ; implicit-def: $vgpr25
.LBB6_4669:                             ;   in Loop: Header=BB6_3759 Depth=2
	s_delay_alu instid0(SALU_CYCLE_1)
	s_and_b32 vcc_lo, exec_lo, s11
	s_cbranch_vccz .LBB6_4679
; %bb.4670:                             ;   in Loop: Header=BB6_3759 Depth=2
	v_and_b32_e32 v28, 0xff, v22
	s_mov_b32 s11, 0
	s_mov_b32 s28, exec_lo
                                        ; implicit-def: $sgpr27
	s_delay_alu instid0(VALU_DEP_1)
	v_cmpx_lt_i16_e32 0x7f, v28
	s_xor_b32 s28, exec_lo, s28
	s_cbranch_execnz .LBB6_5189
; %bb.4671:                             ;   in Loop: Header=BB6_3759 Depth=2
	s_or_saveexec_b32 s28, s28
	v_mov_b32_e32 v25, s27
	s_xor_b32 exec_lo, exec_lo, s28
	s_cbranch_execnz .LBB6_5192
.LBB6_4672:                             ;   in Loop: Header=BB6_3759 Depth=2
	s_or_b32 exec_lo, exec_lo, s28
	s_and_saveexec_b32 s27, s11
	s_cbranch_execz .LBB6_4674
.LBB6_4673:                             ;   in Loop: Header=BB6_3759 Depth=2
	v_lshrrev_b16 v36, 3, v22
	s_delay_alu instid0(VALU_DEP_1) | instskip(NEXT) | instid1(VALU_DEP_1)
	v_and_b32_e32 v36, 15, v36
	v_cmp_eq_u32_e32 vcc_lo, 0, v36
	v_and_b32_e32 v25, 7, v22
	s_delay_alu instid0(VALU_DEP_1) | instskip(NEXT) | instid1(VALU_DEP_1)
	v_clz_i32_u32_e32 v28, v25
	v_min_u32_e32 v28, 32, v28
	s_delay_alu instid0(VALU_DEP_1) | instskip(SKIP_1) | instid1(VALU_DEP_1)
	v_subrev_nc_u32_e32 v33, 28, v28
	v_sub_nc_u32_e32 v28, 29, v28
	v_dual_cndmask_b32 v28, v36, v28 :: v_dual_lshlrev_b32 v33, v33, v22
	v_lshlrev_b32_e32 v22, 24, v22
	s_delay_alu instid0(VALU_DEP_2) | instskip(NEXT) | instid1(VALU_DEP_3)
	v_and_b32_e32 v33, 7, v33
	v_lshl_add_u32 v28, v28, 23, 0x3b800000
	s_delay_alu instid0(VALU_DEP_2) | instskip(NEXT) | instid1(VALU_DEP_1)
	v_dual_cndmask_b32 v25, v25, v33 :: v_dual_and_b32 v22, 0x80000000, v22
	v_lshlrev_b32_e32 v25, 20, v25
	s_delay_alu instid0(VALU_DEP_1)
	v_or3_b32 v25, v22, v28, v25
.LBB6_4674:                             ;   in Loop: Header=BB6_3759 Depth=2
	s_or_b32 exec_lo, exec_lo, s27
	s_waitcnt vmcnt(0) lgkmcnt(0)
	v_and_b32_e32 v28, 0xff, v21
	s_mov_b32 s11, 0
	s_mov_b32 s28, exec_lo
                                        ; implicit-def: $sgpr27
	s_delay_alu instid0(VALU_DEP_1)
	v_cmpx_lt_i16_e32 0x7f, v28
	s_xor_b32 s28, exec_lo, s28
	s_cbranch_execnz .LBB6_5193
; %bb.4675:                             ;   in Loop: Header=BB6_3759 Depth=2
	s_or_saveexec_b32 s28, s28
	v_mov_b32_e32 v22, s27
	s_xor_b32 exec_lo, exec_lo, s28
	s_cbranch_execnz .LBB6_5196
.LBB6_4676:                             ;   in Loop: Header=BB6_3759 Depth=2
	s_or_b32 exec_lo, exec_lo, s28
	s_and_saveexec_b32 s27, s11
	s_cbranch_execz .LBB6_4678
.LBB6_4677:                             ;   in Loop: Header=BB6_3759 Depth=2
	v_and_b32_e32 v22, 7, v21
	v_lshrrev_b16 v36, 3, v21
	s_delay_alu instid0(VALU_DEP_2) | instskip(NEXT) | instid1(VALU_DEP_2)
	v_clz_i32_u32_e32 v28, v22
	v_and_b32_e32 v36, 15, v36
	s_delay_alu instid0(VALU_DEP_2) | instskip(NEXT) | instid1(VALU_DEP_2)
	v_min_u32_e32 v28, 32, v28
	v_cmp_eq_u32_e32 vcc_lo, 0, v36
	s_delay_alu instid0(VALU_DEP_2) | instskip(SKIP_1) | instid1(VALU_DEP_1)
	v_subrev_nc_u32_e32 v33, 28, v28
	v_sub_nc_u32_e32 v28, 29, v28
	v_dual_cndmask_b32 v28, v36, v28 :: v_dual_lshlrev_b32 v33, v33, v21
	v_lshlrev_b32_e32 v21, 24, v21
	s_delay_alu instid0(VALU_DEP_2) | instskip(NEXT) | instid1(VALU_DEP_3)
	v_and_b32_e32 v33, 7, v33
	v_lshl_add_u32 v28, v28, 23, 0x3b800000
	s_delay_alu instid0(VALU_DEP_3) | instskip(NEXT) | instid1(VALU_DEP_3)
	v_and_b32_e32 v21, 0x80000000, v21
	v_cndmask_b32_e32 v22, v22, v33, vcc_lo
	s_delay_alu instid0(VALU_DEP_1) | instskip(NEXT) | instid1(VALU_DEP_1)
	v_lshlrev_b32_e32 v22, 20, v22
	v_or3_b32 v22, v21, v28, v22
.LBB6_4678:                             ;   in Loop: Header=BB6_3759 Depth=2
	s_or_b32 exec_lo, exec_lo, s27
	s_delay_alu instid0(VALU_DEP_1) | instskip(NEXT) | instid1(VALU_DEP_1)
	v_dual_max_f32 v21, v22, v22 :: v_dual_max_f32 v22, v25, v25
	v_min_f32_e32 v25, v22, v21
.LBB6_4679:                             ;   in Loop: Header=BB6_3759 Depth=2
	s_waitcnt vmcnt(0) lgkmcnt(0)
	s_delay_alu instid0(VALU_DEP_1) | instskip(NEXT) | instid1(VALU_DEP_1)
	v_and_b32_e32 v21, 0x7f800000, v25
	v_cmp_ne_u32_e32 vcc_lo, 0x7f800000, v21
	v_mov_b32_e32 v21, 0x80
	s_and_saveexec_b32 s27, vcc_lo
	s_cbranch_execz .LBB6_3758
; %bb.4680:                             ;   in Loop: Header=BB6_3759 Depth=2
	v_mov_b32_e32 v21, 0
	s_mov_b32 s28, exec_lo
	v_cmpx_ne_u32_e32 0, v25
	s_cbranch_execz .LBB6_3757
; %bb.4681:                             ;   in Loop: Header=BB6_3759 Depth=2
	v_bfe_u32 v21, v25, 23, 8
	v_and_b32_e32 v22, 0x7fffff, v25
	s_delay_alu instid0(VALU_DEP_2) | instskip(SKIP_1) | instid1(VALU_DEP_3)
	v_sub_nc_u32_e32 v28, 0x78, v21
	v_cmp_gt_u32_e32 vcc_lo, 0x79, v21
	v_or_b32_e32 v33, 0x800000, v22
	s_delay_alu instid0(VALU_DEP_3) | instskip(SKIP_2) | instid1(VALU_DEP_3)
	v_cndmask_b32_e32 v28, 0, v28, vcc_lo
	v_cmp_eq_u32_e32 vcc_lo, 0, v21
	v_add_nc_u32_e32 v21, 0xffffff89, v21
	v_cndmask_b32_e64 v28, v28, 0x77, vcc_lo
	v_cndmask_b32_e32 v22, v33, v22, vcc_lo
	s_delay_alu instid0(VALU_DEP_3) | instskip(NEXT) | instid1(VALU_DEP_3)
	v_cndmask_b32_e64 v21, v21, 0xffffff8a, vcc_lo
	v_lshl_add_u32 v33, 0x100000, v28, -1
	s_delay_alu instid0(VALU_DEP_3) | instskip(SKIP_1) | instid1(VALU_DEP_4)
	v_lshrrev_b32_e32 v36, v28, v22
	v_lshlrev_b32_e64 v50, v28, 0x80000
	v_add_nc_u32_e32 v28, v28, v21
	s_delay_alu instid0(VALU_DEP_4) | instskip(NEXT) | instid1(VALU_DEP_4)
	v_and_b32_e32 v22, v33, v22
	v_bfe_u32 v39, v36, 20, 1
	s_delay_alu instid0(VALU_DEP_2) | instskip(NEXT) | instid1(VALU_DEP_2)
	v_cmp_eq_u32_e64 s11, v22, v50
	v_add_nc_u32_e32 v33, -1, v39
	s_delay_alu instid0(VALU_DEP_1) | instskip(SKIP_2) | instid1(VALU_DEP_2)
	v_cndmask_b32_e64 v22, 0, v33, s11
	v_lshrrev_b32_e32 v33, 23, v36
	s_mov_b32 s11, exec_lo
	v_add_nc_u32_e32 v22, v22, v36
	s_delay_alu instid0(VALU_DEP_2) | instskip(NEXT) | instid1(VALU_DEP_2)
	v_xor_b32_e32 v33, 1, v33
	v_and_b32_e32 v21, 0xfffff, v22
	s_delay_alu instid0(VALU_DEP_1) | instskip(NEXT) | instid1(VALU_DEP_3)
	v_add_nc_u32_e32 v22, v21, v36
                                        ; implicit-def: $vgpr21
	v_cmpx_ne_u32_e64 v28, v33
	s_xor_b32 s11, exec_lo, s11
; %bb.4682:                             ;   in Loop: Header=BB6_3759 Depth=2
	s_delay_alu instid0(VALU_DEP_2) | instskip(SKIP_2) | instid1(VALU_DEP_2)
	v_cmp_lt_u32_e32 vcc_lo, 0xffffff, v22
	v_sub_nc_u32_e32 v21, v28, v33
	v_cndmask_b32_e64 v28, 0, 1, vcc_lo
	v_add_co_ci_u32_e32 v21, vcc_lo, 0, v21, vcc_lo
	s_delay_alu instid0(VALU_DEP_2)
	v_lshrrev_b32_e32 v22, v28, v22
; %bb.4683:                             ;   in Loop: Header=BB6_3759 Depth=2
	s_and_not1_saveexec_b32 s11, s11
	s_cbranch_execz .LBB6_3756
; %bb.4684:                             ;   in Loop: Header=BB6_3759 Depth=2
	s_delay_alu instid0(VALU_DEP_1)
	v_bfe_u32 v21, v22, 23, 1
	s_branch .LBB6_3756
.LBB6_4685:                             ;   in Loop: Header=BB6_3759 Depth=2
	s_mov_b32 s11, -1
	s_mov_b32 s29, exec_lo
                                        ; implicit-def: $sgpr27
	v_cmpx_eq_u16_e32 0x80, v72
; %bb.4686:                             ;   in Loop: Header=BB6_3759 Depth=2
	s_mov_b32 s27, 0x7f800001
	s_xor_b32 s11, exec_lo, -1
; %bb.4687:                             ;   in Loop: Header=BB6_3759 Depth=2
	s_or_b32 exec_lo, exec_lo, s29
	s_delay_alu instid0(SALU_CYCLE_1)
	s_and_b32 s11, s11, exec_lo
                                        ; implicit-def: $vgpr72
	s_or_saveexec_b32 s28, s28
	v_mov_b32_e32 v63, s27
	s_xor_b32 exec_lo, exec_lo, s28
	s_cbranch_execz .LBB6_3762
.LBB6_4688:                             ;   in Loop: Header=BB6_3759 Depth=2
	v_cmp_ne_u16_e32 vcc_lo, 0, v72
	v_mov_b32_e32 v63, 0
	s_and_not1_b32 s11, s11, exec_lo
	s_and_b32 s27, vcc_lo, exec_lo
	s_delay_alu instid0(SALU_CYCLE_1)
	s_or_b32 s11, s11, s27
	s_or_b32 exec_lo, exec_lo, s28
	s_and_saveexec_b32 s27, s11
	s_cbranch_execnz .LBB6_3763
	s_branch .LBB6_3764
.LBB6_4689:                             ;   in Loop: Header=BB6_3759 Depth=2
	s_mov_b32 s11, -1
	s_mov_b32 s29, exec_lo
                                        ; implicit-def: $sgpr27
	v_cmpx_eq_u16_e32 0x80, v73
; %bb.4690:                             ;   in Loop: Header=BB6_3759 Depth=2
	s_mov_b32 s27, 0x7f800001
	s_xor_b32 s11, exec_lo, -1
; %bb.4691:                             ;   in Loop: Header=BB6_3759 Depth=2
	s_or_b32 exec_lo, exec_lo, s29
	s_delay_alu instid0(SALU_CYCLE_1)
	s_and_b32 s11, s11, exec_lo
                                        ; implicit-def: $vgpr73
	s_or_saveexec_b32 s28, s28
	v_mov_b32_e32 v72, s27
	s_xor_b32 exec_lo, exec_lo, s28
	s_cbranch_execz .LBB6_3766
.LBB6_4692:                             ;   in Loop: Header=BB6_3759 Depth=2
	v_cmp_ne_u16_e32 vcc_lo, 0, v73
	v_mov_b32_e32 v72, 0
	s_and_not1_b32 s11, s11, exec_lo
	s_and_b32 s27, vcc_lo, exec_lo
	s_delay_alu instid0(SALU_CYCLE_1)
	s_or_b32 s11, s11, s27
	s_or_b32 exec_lo, exec_lo, s28
	s_and_saveexec_b32 s27, s11
	s_cbranch_execnz .LBB6_3767
	s_branch .LBB6_3768
.LBB6_4693:                             ;   in Loop: Header=BB6_3759 Depth=2
	s_mov_b32 s11, -1
	s_mov_b32 s29, exec_lo
                                        ; implicit-def: $sgpr27
	v_cmpx_eq_u16_e32 0x80, v72
; %bb.4694:                             ;   in Loop: Header=BB6_3759 Depth=2
	s_mov_b32 s27, 0x7f800001
	s_xor_b32 s11, exec_lo, -1
; %bb.4695:                             ;   in Loop: Header=BB6_3759 Depth=2
	s_or_b32 exec_lo, exec_lo, s29
	s_delay_alu instid0(SALU_CYCLE_1)
	s_and_b32 s11, s11, exec_lo
                                        ; implicit-def: $vgpr72
	s_or_saveexec_b32 s28, s28
	v_mov_b32_e32 v63, s27
	s_xor_b32 exec_lo, exec_lo, s28
	s_cbranch_execz .LBB6_3773
.LBB6_4696:                             ;   in Loop: Header=BB6_3759 Depth=2
	v_cmp_ne_u16_e32 vcc_lo, 0, v72
	v_mov_b32_e32 v63, 0
	s_and_not1_b32 s11, s11, exec_lo
	s_and_b32 s27, vcc_lo, exec_lo
	s_delay_alu instid0(SALU_CYCLE_1)
	s_or_b32 s11, s11, s27
	s_or_b32 exec_lo, exec_lo, s28
	s_and_saveexec_b32 s27, s11
	s_cbranch_execnz .LBB6_3774
	s_branch .LBB6_3775
.LBB6_4697:                             ;   in Loop: Header=BB6_3759 Depth=2
	s_mov_b32 s11, -1
	s_mov_b32 s29, exec_lo
                                        ; implicit-def: $sgpr27
	v_cmpx_eq_u16_e32 0x80, v72
; %bb.4698:                             ;   in Loop: Header=BB6_3759 Depth=2
	s_mov_b32 s27, 0x7f800001
	s_xor_b32 s11, exec_lo, -1
; %bb.4699:                             ;   in Loop: Header=BB6_3759 Depth=2
	s_or_b32 exec_lo, exec_lo, s29
	s_delay_alu instid0(SALU_CYCLE_1)
	s_and_b32 s11, s11, exec_lo
                                        ; implicit-def: $vgpr72
	s_or_saveexec_b32 s28, s28
	v_mov_b32_e32 v62, s27
	s_xor_b32 exec_lo, exec_lo, s28
	s_cbranch_execz .LBB6_3777
.LBB6_4700:                             ;   in Loop: Header=BB6_3759 Depth=2
	v_cmp_ne_u16_e32 vcc_lo, 0, v72
	v_mov_b32_e32 v62, 0
	s_and_not1_b32 s11, s11, exec_lo
	s_and_b32 s27, vcc_lo, exec_lo
	s_delay_alu instid0(SALU_CYCLE_1)
	s_or_b32 s11, s11, s27
	s_or_b32 exec_lo, exec_lo, s28
	s_and_saveexec_b32 s27, s11
	s_cbranch_execnz .LBB6_3778
	s_branch .LBB6_3779
.LBB6_4701:                             ;   in Loop: Header=BB6_3759 Depth=2
	s_mov_b32 s11, -1
	s_mov_b32 s29, exec_lo
                                        ; implicit-def: $sgpr27
	v_cmpx_eq_u16_e32 0x80, v63
; %bb.4702:                             ;   in Loop: Header=BB6_3759 Depth=2
	s_mov_b32 s27, 0x7f800001
	s_xor_b32 s11, exec_lo, -1
; %bb.4703:                             ;   in Loop: Header=BB6_3759 Depth=2
	s_or_b32 exec_lo, exec_lo, s29
	s_delay_alu instid0(SALU_CYCLE_1)
	s_and_b32 s11, s11, exec_lo
                                        ; implicit-def: $vgpr63
	s_or_saveexec_b32 s28, s28
	v_mov_b32_e32 v62, s27
	s_xor_b32 exec_lo, exec_lo, s28
	s_cbranch_execz .LBB6_3791
.LBB6_4704:                             ;   in Loop: Header=BB6_3759 Depth=2
	v_cmp_ne_u16_e32 vcc_lo, 0, v63
	v_mov_b32_e32 v62, 0
	s_and_not1_b32 s11, s11, exec_lo
	s_and_b32 s27, vcc_lo, exec_lo
	s_delay_alu instid0(SALU_CYCLE_1)
	s_or_b32 s11, s11, s27
	s_or_b32 exec_lo, exec_lo, s28
	s_and_saveexec_b32 s27, s11
	s_cbranch_execnz .LBB6_3792
	s_branch .LBB6_3793
.LBB6_4705:                             ;   in Loop: Header=BB6_3759 Depth=2
	s_mov_b32 s11, -1
	s_mov_b32 s29, exec_lo
                                        ; implicit-def: $sgpr27
	v_cmpx_eq_u16_e32 0x80, v72
; %bb.4706:                             ;   in Loop: Header=BB6_3759 Depth=2
	s_mov_b32 s27, 0x7f800001
	s_xor_b32 s11, exec_lo, -1
; %bb.4707:                             ;   in Loop: Header=BB6_3759 Depth=2
	s_or_b32 exec_lo, exec_lo, s29
	s_delay_alu instid0(SALU_CYCLE_1)
	s_and_b32 s11, s11, exec_lo
                                        ; implicit-def: $vgpr72
	s_or_saveexec_b32 s28, s28
	v_mov_b32_e32 v63, s27
	s_xor_b32 exec_lo, exec_lo, s28
	s_cbranch_execz .LBB6_3795
.LBB6_4708:                             ;   in Loop: Header=BB6_3759 Depth=2
	v_cmp_ne_u16_e32 vcc_lo, 0, v72
	v_mov_b32_e32 v63, 0
	s_and_not1_b32 s11, s11, exec_lo
	s_and_b32 s27, vcc_lo, exec_lo
	s_delay_alu instid0(SALU_CYCLE_1)
	s_or_b32 s11, s11, s27
	s_or_b32 exec_lo, exec_lo, s28
	s_and_saveexec_b32 s27, s11
	s_cbranch_execnz .LBB6_3796
	s_branch .LBB6_3797
.LBB6_4709:                             ;   in Loop: Header=BB6_3759 Depth=2
	s_mov_b32 s11, -1
	s_mov_b32 s29, exec_lo
                                        ; implicit-def: $sgpr27
	v_cmpx_eq_u16_e32 0x80, v63
; %bb.4710:                             ;   in Loop: Header=BB6_3759 Depth=2
	s_mov_b32 s27, 0x7f800001
	s_xor_b32 s11, exec_lo, -1
; %bb.4711:                             ;   in Loop: Header=BB6_3759 Depth=2
	s_or_b32 exec_lo, exec_lo, s29
	s_delay_alu instid0(SALU_CYCLE_1)
	s_and_b32 s11, s11, exec_lo
                                        ; implicit-def: $vgpr63
	s_or_saveexec_b32 s28, s28
	v_mov_b32_e32 v62, s27
	s_xor_b32 exec_lo, exec_lo, s28
	s_cbranch_execz .LBB6_3802
.LBB6_4712:                             ;   in Loop: Header=BB6_3759 Depth=2
	v_cmp_ne_u16_e32 vcc_lo, 0, v63
	v_mov_b32_e32 v62, 0
	s_and_not1_b32 s11, s11, exec_lo
	s_and_b32 s27, vcc_lo, exec_lo
	s_delay_alu instid0(SALU_CYCLE_1)
	s_or_b32 s11, s11, s27
	s_or_b32 exec_lo, exec_lo, s28
	s_and_saveexec_b32 s27, s11
	s_cbranch_execnz .LBB6_3803
	s_branch .LBB6_3804
.LBB6_4713:                             ;   in Loop: Header=BB6_3759 Depth=2
	s_mov_b32 s11, -1
	s_mov_b32 s29, exec_lo
                                        ; implicit-def: $sgpr27
	v_cmpx_eq_u16_e32 0x80, v63
; %bb.4714:                             ;   in Loop: Header=BB6_3759 Depth=2
	s_mov_b32 s27, 0x7f800001
	s_xor_b32 s11, exec_lo, -1
; %bb.4715:                             ;   in Loop: Header=BB6_3759 Depth=2
	s_or_b32 exec_lo, exec_lo, s29
	s_delay_alu instid0(SALU_CYCLE_1)
	s_and_b32 s11, s11, exec_lo
                                        ; implicit-def: $vgpr63
	s_or_saveexec_b32 s28, s28
	v_mov_b32_e32 v61, s27
	s_xor_b32 exec_lo, exec_lo, s28
	s_cbranch_execz .LBB6_3806
.LBB6_4716:                             ;   in Loop: Header=BB6_3759 Depth=2
	v_cmp_ne_u16_e32 vcc_lo, 0, v63
	v_mov_b32_e32 v61, 0
	s_and_not1_b32 s11, s11, exec_lo
	s_and_b32 s27, vcc_lo, exec_lo
	s_delay_alu instid0(SALU_CYCLE_1)
	s_or_b32 s11, s11, s27
	s_or_b32 exec_lo, exec_lo, s28
	s_and_saveexec_b32 s27, s11
	s_cbranch_execnz .LBB6_3807
	s_branch .LBB6_3808
.LBB6_4717:                             ;   in Loop: Header=BB6_3759 Depth=2
	s_mov_b32 s11, -1
	s_mov_b32 s29, exec_lo
                                        ; implicit-def: $sgpr27
	v_cmpx_eq_u16_e32 0x80, v62
; %bb.4718:                             ;   in Loop: Header=BB6_3759 Depth=2
	s_mov_b32 s27, 0x7f800001
	s_xor_b32 s11, exec_lo, -1
; %bb.4719:                             ;   in Loop: Header=BB6_3759 Depth=2
	s_or_b32 exec_lo, exec_lo, s29
	s_delay_alu instid0(SALU_CYCLE_1)
	s_and_b32 s11, s11, exec_lo
                                        ; implicit-def: $vgpr62
	s_or_saveexec_b32 s28, s28
	v_mov_b32_e32 v61, s27
	s_xor_b32 exec_lo, exec_lo, s28
	s_cbranch_execz .LBB6_3820
.LBB6_4720:                             ;   in Loop: Header=BB6_3759 Depth=2
	v_cmp_ne_u16_e32 vcc_lo, 0, v62
	v_mov_b32_e32 v61, 0
	s_and_not1_b32 s11, s11, exec_lo
	s_and_b32 s27, vcc_lo, exec_lo
	s_delay_alu instid0(SALU_CYCLE_1)
	s_or_b32 s11, s11, s27
	s_or_b32 exec_lo, exec_lo, s28
	s_and_saveexec_b32 s27, s11
	s_cbranch_execnz .LBB6_3821
	s_branch .LBB6_3822
.LBB6_4721:                             ;   in Loop: Header=BB6_3759 Depth=2
	s_mov_b32 s11, -1
	s_mov_b32 s29, exec_lo
                                        ; implicit-def: $sgpr27
	v_cmpx_eq_u16_e32 0x80, v63
; %bb.4722:                             ;   in Loop: Header=BB6_3759 Depth=2
	s_mov_b32 s27, 0x7f800001
	s_xor_b32 s11, exec_lo, -1
; %bb.4723:                             ;   in Loop: Header=BB6_3759 Depth=2
	s_or_b32 exec_lo, exec_lo, s29
	s_delay_alu instid0(SALU_CYCLE_1)
	s_and_b32 s11, s11, exec_lo
                                        ; implicit-def: $vgpr63
	s_or_saveexec_b32 s28, s28
	v_mov_b32_e32 v62, s27
	s_xor_b32 exec_lo, exec_lo, s28
	s_cbranch_execz .LBB6_3824
.LBB6_4724:                             ;   in Loop: Header=BB6_3759 Depth=2
	v_cmp_ne_u16_e32 vcc_lo, 0, v63
	v_mov_b32_e32 v62, 0
	s_and_not1_b32 s11, s11, exec_lo
	s_and_b32 s27, vcc_lo, exec_lo
	s_delay_alu instid0(SALU_CYCLE_1)
	s_or_b32 s11, s11, s27
	s_or_b32 exec_lo, exec_lo, s28
	s_and_saveexec_b32 s27, s11
	s_cbranch_execnz .LBB6_3825
	s_branch .LBB6_3826
.LBB6_4725:                             ;   in Loop: Header=BB6_3759 Depth=2
	s_mov_b32 s11, -1
	s_mov_b32 s29, exec_lo
                                        ; implicit-def: $sgpr27
	v_cmpx_eq_u16_e32 0x80, v62
; %bb.4726:                             ;   in Loop: Header=BB6_3759 Depth=2
	s_mov_b32 s27, 0x7f800001
	s_xor_b32 s11, exec_lo, -1
; %bb.4727:                             ;   in Loop: Header=BB6_3759 Depth=2
	s_or_b32 exec_lo, exec_lo, s29
	s_delay_alu instid0(SALU_CYCLE_1)
	s_and_b32 s11, s11, exec_lo
                                        ; implicit-def: $vgpr62
	s_or_saveexec_b32 s28, s28
	v_mov_b32_e32 v61, s27
	s_xor_b32 exec_lo, exec_lo, s28
	s_cbranch_execz .LBB6_3831
.LBB6_4728:                             ;   in Loop: Header=BB6_3759 Depth=2
	v_cmp_ne_u16_e32 vcc_lo, 0, v62
	v_mov_b32_e32 v61, 0
	s_and_not1_b32 s11, s11, exec_lo
	s_and_b32 s27, vcc_lo, exec_lo
	s_delay_alu instid0(SALU_CYCLE_1)
	s_or_b32 s11, s11, s27
	s_or_b32 exec_lo, exec_lo, s28
	s_and_saveexec_b32 s27, s11
	s_cbranch_execnz .LBB6_3832
	s_branch .LBB6_3833
.LBB6_4729:                             ;   in Loop: Header=BB6_3759 Depth=2
	s_mov_b32 s11, -1
	s_mov_b32 s29, exec_lo
                                        ; implicit-def: $sgpr27
	v_cmpx_eq_u16_e32 0x80, v62
; %bb.4730:                             ;   in Loop: Header=BB6_3759 Depth=2
	s_mov_b32 s27, 0x7f800001
	s_xor_b32 s11, exec_lo, -1
; %bb.4731:                             ;   in Loop: Header=BB6_3759 Depth=2
	s_or_b32 exec_lo, exec_lo, s29
	s_delay_alu instid0(SALU_CYCLE_1)
	s_and_b32 s11, s11, exec_lo
                                        ; implicit-def: $vgpr62
	s_or_saveexec_b32 s28, s28
	v_mov_b32_e32 v60, s27
	s_xor_b32 exec_lo, exec_lo, s28
	s_cbranch_execz .LBB6_3835
.LBB6_4732:                             ;   in Loop: Header=BB6_3759 Depth=2
	v_cmp_ne_u16_e32 vcc_lo, 0, v62
	v_mov_b32_e32 v60, 0
	s_and_not1_b32 s11, s11, exec_lo
	s_and_b32 s27, vcc_lo, exec_lo
	s_delay_alu instid0(SALU_CYCLE_1)
	s_or_b32 s11, s11, s27
	s_or_b32 exec_lo, exec_lo, s28
	s_and_saveexec_b32 s27, s11
	s_cbranch_execnz .LBB6_3836
	s_branch .LBB6_3837
.LBB6_4733:                             ;   in Loop: Header=BB6_3759 Depth=2
	s_mov_b32 s11, -1
	s_mov_b32 s29, exec_lo
                                        ; implicit-def: $sgpr27
	v_cmpx_eq_u16_e32 0x80, v61
; %bb.4734:                             ;   in Loop: Header=BB6_3759 Depth=2
	s_mov_b32 s27, 0x7f800001
	s_xor_b32 s11, exec_lo, -1
; %bb.4735:                             ;   in Loop: Header=BB6_3759 Depth=2
	s_or_b32 exec_lo, exec_lo, s29
	s_delay_alu instid0(SALU_CYCLE_1)
	s_and_b32 s11, s11, exec_lo
                                        ; implicit-def: $vgpr61
	s_or_saveexec_b32 s28, s28
	v_mov_b32_e32 v60, s27
	s_xor_b32 exec_lo, exec_lo, s28
	s_cbranch_execz .LBB6_3849
.LBB6_4736:                             ;   in Loop: Header=BB6_3759 Depth=2
	v_cmp_ne_u16_e32 vcc_lo, 0, v61
	v_mov_b32_e32 v60, 0
	s_and_not1_b32 s11, s11, exec_lo
	s_and_b32 s27, vcc_lo, exec_lo
	s_delay_alu instid0(SALU_CYCLE_1)
	s_or_b32 s11, s11, s27
	s_or_b32 exec_lo, exec_lo, s28
	s_and_saveexec_b32 s27, s11
	s_cbranch_execnz .LBB6_3850
	s_branch .LBB6_3851
.LBB6_4737:                             ;   in Loop: Header=BB6_3759 Depth=2
	s_mov_b32 s11, -1
	s_mov_b32 s29, exec_lo
                                        ; implicit-def: $sgpr27
	v_cmpx_eq_u16_e32 0x80, v62
; %bb.4738:                             ;   in Loop: Header=BB6_3759 Depth=2
	s_mov_b32 s27, 0x7f800001
	s_xor_b32 s11, exec_lo, -1
; %bb.4739:                             ;   in Loop: Header=BB6_3759 Depth=2
	s_or_b32 exec_lo, exec_lo, s29
	s_delay_alu instid0(SALU_CYCLE_1)
	s_and_b32 s11, s11, exec_lo
                                        ; implicit-def: $vgpr62
	s_or_saveexec_b32 s28, s28
	v_mov_b32_e32 v61, s27
	s_xor_b32 exec_lo, exec_lo, s28
	s_cbranch_execz .LBB6_3853
.LBB6_4740:                             ;   in Loop: Header=BB6_3759 Depth=2
	v_cmp_ne_u16_e32 vcc_lo, 0, v62
	v_mov_b32_e32 v61, 0
	s_and_not1_b32 s11, s11, exec_lo
	s_and_b32 s27, vcc_lo, exec_lo
	s_delay_alu instid0(SALU_CYCLE_1)
	s_or_b32 s11, s11, s27
	s_or_b32 exec_lo, exec_lo, s28
	s_and_saveexec_b32 s27, s11
	s_cbranch_execnz .LBB6_3854
	s_branch .LBB6_3855
.LBB6_4741:                             ;   in Loop: Header=BB6_3759 Depth=2
	s_mov_b32 s11, -1
	s_mov_b32 s29, exec_lo
                                        ; implicit-def: $sgpr27
	v_cmpx_eq_u16_e32 0x80, v61
; %bb.4742:                             ;   in Loop: Header=BB6_3759 Depth=2
	s_mov_b32 s27, 0x7f800001
	s_xor_b32 s11, exec_lo, -1
; %bb.4743:                             ;   in Loop: Header=BB6_3759 Depth=2
	s_or_b32 exec_lo, exec_lo, s29
	s_delay_alu instid0(SALU_CYCLE_1)
	s_and_b32 s11, s11, exec_lo
                                        ; implicit-def: $vgpr61
	s_or_saveexec_b32 s28, s28
	v_mov_b32_e32 v60, s27
	s_xor_b32 exec_lo, exec_lo, s28
	s_cbranch_execz .LBB6_3860
.LBB6_4744:                             ;   in Loop: Header=BB6_3759 Depth=2
	v_cmp_ne_u16_e32 vcc_lo, 0, v61
	v_mov_b32_e32 v60, 0
	s_and_not1_b32 s11, s11, exec_lo
	s_and_b32 s27, vcc_lo, exec_lo
	s_delay_alu instid0(SALU_CYCLE_1)
	s_or_b32 s11, s11, s27
	s_or_b32 exec_lo, exec_lo, s28
	s_and_saveexec_b32 s27, s11
	s_cbranch_execnz .LBB6_3861
	s_branch .LBB6_3862
.LBB6_4745:                             ;   in Loop: Header=BB6_3759 Depth=2
	s_mov_b32 s11, -1
	s_mov_b32 s29, exec_lo
                                        ; implicit-def: $sgpr27
	v_cmpx_eq_u16_e32 0x80, v61
; %bb.4746:                             ;   in Loop: Header=BB6_3759 Depth=2
	s_mov_b32 s27, 0x7f800001
	s_xor_b32 s11, exec_lo, -1
; %bb.4747:                             ;   in Loop: Header=BB6_3759 Depth=2
	s_or_b32 exec_lo, exec_lo, s29
	s_delay_alu instid0(SALU_CYCLE_1)
	s_and_b32 s11, s11, exec_lo
                                        ; implicit-def: $vgpr61
	s_or_saveexec_b32 s28, s28
	v_mov_b32_e32 v59, s27
	s_xor_b32 exec_lo, exec_lo, s28
	s_cbranch_execz .LBB6_3864
.LBB6_4748:                             ;   in Loop: Header=BB6_3759 Depth=2
	v_cmp_ne_u16_e32 vcc_lo, 0, v61
	v_mov_b32_e32 v59, 0
	s_and_not1_b32 s11, s11, exec_lo
	s_and_b32 s27, vcc_lo, exec_lo
	s_delay_alu instid0(SALU_CYCLE_1)
	s_or_b32 s11, s11, s27
	s_or_b32 exec_lo, exec_lo, s28
	s_and_saveexec_b32 s27, s11
	s_cbranch_execnz .LBB6_3865
	s_branch .LBB6_3866
.LBB6_4749:                             ;   in Loop: Header=BB6_3759 Depth=2
	s_mov_b32 s11, -1
	s_mov_b32 s29, exec_lo
                                        ; implicit-def: $sgpr27
	v_cmpx_eq_u16_e32 0x80, v60
; %bb.4750:                             ;   in Loop: Header=BB6_3759 Depth=2
	s_mov_b32 s27, 0x7f800001
	s_xor_b32 s11, exec_lo, -1
; %bb.4751:                             ;   in Loop: Header=BB6_3759 Depth=2
	s_or_b32 exec_lo, exec_lo, s29
	s_delay_alu instid0(SALU_CYCLE_1)
	s_and_b32 s11, s11, exec_lo
                                        ; implicit-def: $vgpr60
	s_or_saveexec_b32 s28, s28
	v_mov_b32_e32 v59, s27
	s_xor_b32 exec_lo, exec_lo, s28
	s_cbranch_execz .LBB6_3878
.LBB6_4752:                             ;   in Loop: Header=BB6_3759 Depth=2
	v_cmp_ne_u16_e32 vcc_lo, 0, v60
	v_mov_b32_e32 v59, 0
	s_and_not1_b32 s11, s11, exec_lo
	s_and_b32 s27, vcc_lo, exec_lo
	s_delay_alu instid0(SALU_CYCLE_1)
	s_or_b32 s11, s11, s27
	s_or_b32 exec_lo, exec_lo, s28
	s_and_saveexec_b32 s27, s11
	s_cbranch_execnz .LBB6_3879
	s_branch .LBB6_3880
.LBB6_4753:                             ;   in Loop: Header=BB6_3759 Depth=2
	s_mov_b32 s11, -1
	s_mov_b32 s29, exec_lo
                                        ; implicit-def: $sgpr27
	v_cmpx_eq_u16_e32 0x80, v61
; %bb.4754:                             ;   in Loop: Header=BB6_3759 Depth=2
	s_mov_b32 s27, 0x7f800001
	s_xor_b32 s11, exec_lo, -1
; %bb.4755:                             ;   in Loop: Header=BB6_3759 Depth=2
	s_or_b32 exec_lo, exec_lo, s29
	s_delay_alu instid0(SALU_CYCLE_1)
	s_and_b32 s11, s11, exec_lo
                                        ; implicit-def: $vgpr61
	s_or_saveexec_b32 s28, s28
	v_mov_b32_e32 v60, s27
	s_xor_b32 exec_lo, exec_lo, s28
	s_cbranch_execz .LBB6_3882
.LBB6_4756:                             ;   in Loop: Header=BB6_3759 Depth=2
	v_cmp_ne_u16_e32 vcc_lo, 0, v61
	v_mov_b32_e32 v60, 0
	s_and_not1_b32 s11, s11, exec_lo
	s_and_b32 s27, vcc_lo, exec_lo
	s_delay_alu instid0(SALU_CYCLE_1)
	s_or_b32 s11, s11, s27
	s_or_b32 exec_lo, exec_lo, s28
	s_and_saveexec_b32 s27, s11
	s_cbranch_execnz .LBB6_3883
	s_branch .LBB6_3884
.LBB6_4757:                             ;   in Loop: Header=BB6_3759 Depth=2
	s_mov_b32 s11, -1
	s_mov_b32 s29, exec_lo
                                        ; implicit-def: $sgpr27
	v_cmpx_eq_u16_e32 0x80, v60
; %bb.4758:                             ;   in Loop: Header=BB6_3759 Depth=2
	s_mov_b32 s27, 0x7f800001
	s_xor_b32 s11, exec_lo, -1
; %bb.4759:                             ;   in Loop: Header=BB6_3759 Depth=2
	s_or_b32 exec_lo, exec_lo, s29
	s_delay_alu instid0(SALU_CYCLE_1)
	s_and_b32 s11, s11, exec_lo
                                        ; implicit-def: $vgpr60
	s_or_saveexec_b32 s28, s28
	v_mov_b32_e32 v59, s27
	s_xor_b32 exec_lo, exec_lo, s28
	s_cbranch_execz .LBB6_3889
.LBB6_4760:                             ;   in Loop: Header=BB6_3759 Depth=2
	v_cmp_ne_u16_e32 vcc_lo, 0, v60
	v_mov_b32_e32 v59, 0
	s_and_not1_b32 s11, s11, exec_lo
	s_and_b32 s27, vcc_lo, exec_lo
	s_delay_alu instid0(SALU_CYCLE_1)
	s_or_b32 s11, s11, s27
	s_or_b32 exec_lo, exec_lo, s28
	s_and_saveexec_b32 s27, s11
	s_cbranch_execnz .LBB6_3890
	s_branch .LBB6_3891
.LBB6_4761:                             ;   in Loop: Header=BB6_3759 Depth=2
	s_mov_b32 s11, -1
	s_mov_b32 s29, exec_lo
                                        ; implicit-def: $sgpr27
	v_cmpx_eq_u16_e32 0x80, v60
; %bb.4762:                             ;   in Loop: Header=BB6_3759 Depth=2
	s_mov_b32 s27, 0x7f800001
	s_xor_b32 s11, exec_lo, -1
; %bb.4763:                             ;   in Loop: Header=BB6_3759 Depth=2
	s_or_b32 exec_lo, exec_lo, s29
	s_delay_alu instid0(SALU_CYCLE_1)
	s_and_b32 s11, s11, exec_lo
                                        ; implicit-def: $vgpr60
	s_or_saveexec_b32 s28, s28
	v_mov_b32_e32 v58, s27
	s_xor_b32 exec_lo, exec_lo, s28
	s_cbranch_execz .LBB6_3893
.LBB6_4764:                             ;   in Loop: Header=BB6_3759 Depth=2
	v_cmp_ne_u16_e32 vcc_lo, 0, v60
	v_mov_b32_e32 v58, 0
	s_and_not1_b32 s11, s11, exec_lo
	s_and_b32 s27, vcc_lo, exec_lo
	s_delay_alu instid0(SALU_CYCLE_1)
	s_or_b32 s11, s11, s27
	s_or_b32 exec_lo, exec_lo, s28
	s_and_saveexec_b32 s27, s11
	s_cbranch_execnz .LBB6_3894
	s_branch .LBB6_3895
.LBB6_4765:                             ;   in Loop: Header=BB6_3759 Depth=2
	s_mov_b32 s11, -1
	s_mov_b32 s29, exec_lo
                                        ; implicit-def: $sgpr27
	v_cmpx_eq_u16_e32 0x80, v59
; %bb.4766:                             ;   in Loop: Header=BB6_3759 Depth=2
	s_mov_b32 s27, 0x7f800001
	s_xor_b32 s11, exec_lo, -1
; %bb.4767:                             ;   in Loop: Header=BB6_3759 Depth=2
	s_or_b32 exec_lo, exec_lo, s29
	s_delay_alu instid0(SALU_CYCLE_1)
	s_and_b32 s11, s11, exec_lo
                                        ; implicit-def: $vgpr59
	s_or_saveexec_b32 s28, s28
	v_mov_b32_e32 v58, s27
	s_xor_b32 exec_lo, exec_lo, s28
	s_cbranch_execz .LBB6_3907
.LBB6_4768:                             ;   in Loop: Header=BB6_3759 Depth=2
	v_cmp_ne_u16_e32 vcc_lo, 0, v59
	v_mov_b32_e32 v58, 0
	s_and_not1_b32 s11, s11, exec_lo
	s_and_b32 s27, vcc_lo, exec_lo
	s_delay_alu instid0(SALU_CYCLE_1)
	s_or_b32 s11, s11, s27
	s_or_b32 exec_lo, exec_lo, s28
	s_and_saveexec_b32 s27, s11
	s_cbranch_execnz .LBB6_3908
	s_branch .LBB6_3909
.LBB6_4769:                             ;   in Loop: Header=BB6_3759 Depth=2
	s_mov_b32 s11, -1
	s_mov_b32 s29, exec_lo
                                        ; implicit-def: $sgpr27
	v_cmpx_eq_u16_e32 0x80, v60
; %bb.4770:                             ;   in Loop: Header=BB6_3759 Depth=2
	s_mov_b32 s27, 0x7f800001
	s_xor_b32 s11, exec_lo, -1
; %bb.4771:                             ;   in Loop: Header=BB6_3759 Depth=2
	s_or_b32 exec_lo, exec_lo, s29
	s_delay_alu instid0(SALU_CYCLE_1)
	s_and_b32 s11, s11, exec_lo
                                        ; implicit-def: $vgpr60
	s_or_saveexec_b32 s28, s28
	v_mov_b32_e32 v59, s27
	s_xor_b32 exec_lo, exec_lo, s28
	s_cbranch_execz .LBB6_3911
.LBB6_4772:                             ;   in Loop: Header=BB6_3759 Depth=2
	v_cmp_ne_u16_e32 vcc_lo, 0, v60
	v_mov_b32_e32 v59, 0
	s_and_not1_b32 s11, s11, exec_lo
	s_and_b32 s27, vcc_lo, exec_lo
	s_delay_alu instid0(SALU_CYCLE_1)
	s_or_b32 s11, s11, s27
	s_or_b32 exec_lo, exec_lo, s28
	s_and_saveexec_b32 s27, s11
	s_cbranch_execnz .LBB6_3912
	s_branch .LBB6_3913
.LBB6_4773:                             ;   in Loop: Header=BB6_3759 Depth=2
	s_mov_b32 s11, -1
	s_mov_b32 s29, exec_lo
                                        ; implicit-def: $sgpr27
	v_cmpx_eq_u16_e32 0x80, v59
; %bb.4774:                             ;   in Loop: Header=BB6_3759 Depth=2
	s_mov_b32 s27, 0x7f800001
	s_xor_b32 s11, exec_lo, -1
; %bb.4775:                             ;   in Loop: Header=BB6_3759 Depth=2
	s_or_b32 exec_lo, exec_lo, s29
	s_delay_alu instid0(SALU_CYCLE_1)
	s_and_b32 s11, s11, exec_lo
                                        ; implicit-def: $vgpr59
	s_or_saveexec_b32 s28, s28
	v_mov_b32_e32 v58, s27
	s_xor_b32 exec_lo, exec_lo, s28
	s_cbranch_execz .LBB6_3918
.LBB6_4776:                             ;   in Loop: Header=BB6_3759 Depth=2
	v_cmp_ne_u16_e32 vcc_lo, 0, v59
	v_mov_b32_e32 v58, 0
	s_and_not1_b32 s11, s11, exec_lo
	s_and_b32 s27, vcc_lo, exec_lo
	s_delay_alu instid0(SALU_CYCLE_1)
	s_or_b32 s11, s11, s27
	s_or_b32 exec_lo, exec_lo, s28
	s_and_saveexec_b32 s27, s11
	s_cbranch_execnz .LBB6_3919
	s_branch .LBB6_3920
.LBB6_4777:                             ;   in Loop: Header=BB6_3759 Depth=2
	s_mov_b32 s11, -1
	s_mov_b32 s29, exec_lo
                                        ; implicit-def: $sgpr27
	v_cmpx_eq_u16_e32 0x80, v59
; %bb.4778:                             ;   in Loop: Header=BB6_3759 Depth=2
	s_mov_b32 s27, 0x7f800001
	s_xor_b32 s11, exec_lo, -1
; %bb.4779:                             ;   in Loop: Header=BB6_3759 Depth=2
	s_or_b32 exec_lo, exec_lo, s29
	s_delay_alu instid0(SALU_CYCLE_1)
	s_and_b32 s11, s11, exec_lo
                                        ; implicit-def: $vgpr59
	s_or_saveexec_b32 s28, s28
	v_mov_b32_e32 v57, s27
	s_xor_b32 exec_lo, exec_lo, s28
	s_cbranch_execz .LBB6_3922
.LBB6_4780:                             ;   in Loop: Header=BB6_3759 Depth=2
	v_cmp_ne_u16_e32 vcc_lo, 0, v59
	v_mov_b32_e32 v57, 0
	s_and_not1_b32 s11, s11, exec_lo
	s_and_b32 s27, vcc_lo, exec_lo
	s_delay_alu instid0(SALU_CYCLE_1)
	s_or_b32 s11, s11, s27
	s_or_b32 exec_lo, exec_lo, s28
	s_and_saveexec_b32 s27, s11
	s_cbranch_execnz .LBB6_3923
	s_branch .LBB6_3924
.LBB6_4781:                             ;   in Loop: Header=BB6_3759 Depth=2
	s_mov_b32 s11, -1
	s_mov_b32 s29, exec_lo
                                        ; implicit-def: $sgpr27
	v_cmpx_eq_u16_e32 0x80, v58
; %bb.4782:                             ;   in Loop: Header=BB6_3759 Depth=2
	s_mov_b32 s27, 0x7f800001
	s_xor_b32 s11, exec_lo, -1
; %bb.4783:                             ;   in Loop: Header=BB6_3759 Depth=2
	s_or_b32 exec_lo, exec_lo, s29
	s_delay_alu instid0(SALU_CYCLE_1)
	s_and_b32 s11, s11, exec_lo
                                        ; implicit-def: $vgpr58
	s_or_saveexec_b32 s28, s28
	v_mov_b32_e32 v57, s27
	s_xor_b32 exec_lo, exec_lo, s28
	s_cbranch_execz .LBB6_3936
.LBB6_4784:                             ;   in Loop: Header=BB6_3759 Depth=2
	v_cmp_ne_u16_e32 vcc_lo, 0, v58
	v_mov_b32_e32 v57, 0
	s_and_not1_b32 s11, s11, exec_lo
	s_and_b32 s27, vcc_lo, exec_lo
	s_delay_alu instid0(SALU_CYCLE_1)
	s_or_b32 s11, s11, s27
	s_or_b32 exec_lo, exec_lo, s28
	s_and_saveexec_b32 s27, s11
	s_cbranch_execnz .LBB6_3937
	s_branch .LBB6_3938
.LBB6_4785:                             ;   in Loop: Header=BB6_3759 Depth=2
	s_mov_b32 s11, -1
	s_mov_b32 s29, exec_lo
                                        ; implicit-def: $sgpr27
	v_cmpx_eq_u16_e32 0x80, v59
; %bb.4786:                             ;   in Loop: Header=BB6_3759 Depth=2
	s_mov_b32 s27, 0x7f800001
	s_xor_b32 s11, exec_lo, -1
; %bb.4787:                             ;   in Loop: Header=BB6_3759 Depth=2
	s_or_b32 exec_lo, exec_lo, s29
	s_delay_alu instid0(SALU_CYCLE_1)
	s_and_b32 s11, s11, exec_lo
                                        ; implicit-def: $vgpr59
	s_or_saveexec_b32 s28, s28
	v_mov_b32_e32 v58, s27
	s_xor_b32 exec_lo, exec_lo, s28
	s_cbranch_execz .LBB6_3940
.LBB6_4788:                             ;   in Loop: Header=BB6_3759 Depth=2
	v_cmp_ne_u16_e32 vcc_lo, 0, v59
	v_mov_b32_e32 v58, 0
	s_and_not1_b32 s11, s11, exec_lo
	s_and_b32 s27, vcc_lo, exec_lo
	s_delay_alu instid0(SALU_CYCLE_1)
	s_or_b32 s11, s11, s27
	s_or_b32 exec_lo, exec_lo, s28
	s_and_saveexec_b32 s27, s11
	s_cbranch_execnz .LBB6_3941
	s_branch .LBB6_3942
.LBB6_4789:                             ;   in Loop: Header=BB6_3759 Depth=2
	s_mov_b32 s11, -1
	s_mov_b32 s29, exec_lo
                                        ; implicit-def: $sgpr27
	v_cmpx_eq_u16_e32 0x80, v58
; %bb.4790:                             ;   in Loop: Header=BB6_3759 Depth=2
	s_mov_b32 s27, 0x7f800001
	s_xor_b32 s11, exec_lo, -1
; %bb.4791:                             ;   in Loop: Header=BB6_3759 Depth=2
	s_or_b32 exec_lo, exec_lo, s29
	s_delay_alu instid0(SALU_CYCLE_1)
	s_and_b32 s11, s11, exec_lo
                                        ; implicit-def: $vgpr58
	s_or_saveexec_b32 s28, s28
	v_mov_b32_e32 v57, s27
	s_xor_b32 exec_lo, exec_lo, s28
	s_cbranch_execz .LBB6_3947
.LBB6_4792:                             ;   in Loop: Header=BB6_3759 Depth=2
	v_cmp_ne_u16_e32 vcc_lo, 0, v58
	v_mov_b32_e32 v57, 0
	s_and_not1_b32 s11, s11, exec_lo
	s_and_b32 s27, vcc_lo, exec_lo
	s_delay_alu instid0(SALU_CYCLE_1)
	s_or_b32 s11, s11, s27
	s_or_b32 exec_lo, exec_lo, s28
	s_and_saveexec_b32 s27, s11
	s_cbranch_execnz .LBB6_3948
	s_branch .LBB6_3949
.LBB6_4793:                             ;   in Loop: Header=BB6_3759 Depth=2
	s_mov_b32 s11, -1
	s_mov_b32 s29, exec_lo
                                        ; implicit-def: $sgpr27
	v_cmpx_eq_u16_e32 0x80, v58
; %bb.4794:                             ;   in Loop: Header=BB6_3759 Depth=2
	s_mov_b32 s27, 0x7f800001
	s_xor_b32 s11, exec_lo, -1
; %bb.4795:                             ;   in Loop: Header=BB6_3759 Depth=2
	s_or_b32 exec_lo, exec_lo, s29
	s_delay_alu instid0(SALU_CYCLE_1)
	s_and_b32 s11, s11, exec_lo
                                        ; implicit-def: $vgpr58
	s_or_saveexec_b32 s28, s28
	v_mov_b32_e32 v56, s27
	s_xor_b32 exec_lo, exec_lo, s28
	s_cbranch_execz .LBB6_3951
.LBB6_4796:                             ;   in Loop: Header=BB6_3759 Depth=2
	v_cmp_ne_u16_e32 vcc_lo, 0, v58
	v_mov_b32_e32 v56, 0
	s_and_not1_b32 s11, s11, exec_lo
	s_and_b32 s27, vcc_lo, exec_lo
	s_delay_alu instid0(SALU_CYCLE_1)
	s_or_b32 s11, s11, s27
	s_or_b32 exec_lo, exec_lo, s28
	s_and_saveexec_b32 s27, s11
	s_cbranch_execnz .LBB6_3952
	s_branch .LBB6_3953
.LBB6_4797:                             ;   in Loop: Header=BB6_3759 Depth=2
	s_mov_b32 s11, -1
	s_mov_b32 s29, exec_lo
                                        ; implicit-def: $sgpr27
	v_cmpx_eq_u16_e32 0x80, v57
; %bb.4798:                             ;   in Loop: Header=BB6_3759 Depth=2
	s_mov_b32 s27, 0x7f800001
	s_xor_b32 s11, exec_lo, -1
; %bb.4799:                             ;   in Loop: Header=BB6_3759 Depth=2
	s_or_b32 exec_lo, exec_lo, s29
	s_delay_alu instid0(SALU_CYCLE_1)
	s_and_b32 s11, s11, exec_lo
                                        ; implicit-def: $vgpr57
	s_or_saveexec_b32 s28, s28
	v_mov_b32_e32 v56, s27
	s_xor_b32 exec_lo, exec_lo, s28
	s_cbranch_execz .LBB6_3965
.LBB6_4800:                             ;   in Loop: Header=BB6_3759 Depth=2
	v_cmp_ne_u16_e32 vcc_lo, 0, v57
	v_mov_b32_e32 v56, 0
	s_and_not1_b32 s11, s11, exec_lo
	s_and_b32 s27, vcc_lo, exec_lo
	s_delay_alu instid0(SALU_CYCLE_1)
	s_or_b32 s11, s11, s27
	s_or_b32 exec_lo, exec_lo, s28
	s_and_saveexec_b32 s27, s11
	s_cbranch_execnz .LBB6_3966
	s_branch .LBB6_3967
.LBB6_4801:                             ;   in Loop: Header=BB6_3759 Depth=2
	s_mov_b32 s11, -1
	s_mov_b32 s29, exec_lo
                                        ; implicit-def: $sgpr27
	v_cmpx_eq_u16_e32 0x80, v58
; %bb.4802:                             ;   in Loop: Header=BB6_3759 Depth=2
	s_mov_b32 s27, 0x7f800001
	s_xor_b32 s11, exec_lo, -1
; %bb.4803:                             ;   in Loop: Header=BB6_3759 Depth=2
	s_or_b32 exec_lo, exec_lo, s29
	s_delay_alu instid0(SALU_CYCLE_1)
	s_and_b32 s11, s11, exec_lo
                                        ; implicit-def: $vgpr58
	s_or_saveexec_b32 s28, s28
	v_mov_b32_e32 v57, s27
	s_xor_b32 exec_lo, exec_lo, s28
	s_cbranch_execz .LBB6_3969
.LBB6_4804:                             ;   in Loop: Header=BB6_3759 Depth=2
	v_cmp_ne_u16_e32 vcc_lo, 0, v58
	v_mov_b32_e32 v57, 0
	s_and_not1_b32 s11, s11, exec_lo
	s_and_b32 s27, vcc_lo, exec_lo
	s_delay_alu instid0(SALU_CYCLE_1)
	s_or_b32 s11, s11, s27
	s_or_b32 exec_lo, exec_lo, s28
	s_and_saveexec_b32 s27, s11
	s_cbranch_execnz .LBB6_3970
	s_branch .LBB6_3971
.LBB6_4805:                             ;   in Loop: Header=BB6_3759 Depth=2
	s_mov_b32 s11, -1
	s_mov_b32 s29, exec_lo
                                        ; implicit-def: $sgpr27
	v_cmpx_eq_u16_e32 0x80, v57
; %bb.4806:                             ;   in Loop: Header=BB6_3759 Depth=2
	s_mov_b32 s27, 0x7f800001
	s_xor_b32 s11, exec_lo, -1
; %bb.4807:                             ;   in Loop: Header=BB6_3759 Depth=2
	s_or_b32 exec_lo, exec_lo, s29
	s_delay_alu instid0(SALU_CYCLE_1)
	s_and_b32 s11, s11, exec_lo
                                        ; implicit-def: $vgpr57
	s_or_saveexec_b32 s28, s28
	v_mov_b32_e32 v56, s27
	s_xor_b32 exec_lo, exec_lo, s28
	s_cbranch_execz .LBB6_3976
.LBB6_4808:                             ;   in Loop: Header=BB6_3759 Depth=2
	v_cmp_ne_u16_e32 vcc_lo, 0, v57
	v_mov_b32_e32 v56, 0
	s_and_not1_b32 s11, s11, exec_lo
	s_and_b32 s27, vcc_lo, exec_lo
	s_delay_alu instid0(SALU_CYCLE_1)
	s_or_b32 s11, s11, s27
	s_or_b32 exec_lo, exec_lo, s28
	s_and_saveexec_b32 s27, s11
	s_cbranch_execnz .LBB6_3977
	s_branch .LBB6_3978
.LBB6_4809:                             ;   in Loop: Header=BB6_3759 Depth=2
	s_mov_b32 s11, -1
	s_mov_b32 s29, exec_lo
                                        ; implicit-def: $sgpr27
	v_cmpx_eq_u16_e32 0x80, v57
; %bb.4810:                             ;   in Loop: Header=BB6_3759 Depth=2
	s_mov_b32 s27, 0x7f800001
	s_xor_b32 s11, exec_lo, -1
; %bb.4811:                             ;   in Loop: Header=BB6_3759 Depth=2
	s_or_b32 exec_lo, exec_lo, s29
	s_delay_alu instid0(SALU_CYCLE_1)
	s_and_b32 s11, s11, exec_lo
                                        ; implicit-def: $vgpr57
	s_or_saveexec_b32 s28, s28
	v_mov_b32_e32 v47, s27
	s_xor_b32 exec_lo, exec_lo, s28
	s_cbranch_execz .LBB6_3980
.LBB6_4812:                             ;   in Loop: Header=BB6_3759 Depth=2
	v_cmp_ne_u16_e32 vcc_lo, 0, v57
	v_mov_b32_e32 v47, 0
	s_and_not1_b32 s11, s11, exec_lo
	s_and_b32 s27, vcc_lo, exec_lo
	s_delay_alu instid0(SALU_CYCLE_1)
	s_or_b32 s11, s11, s27
	s_or_b32 exec_lo, exec_lo, s28
	s_and_saveexec_b32 s27, s11
	s_cbranch_execnz .LBB6_3981
	s_branch .LBB6_3982
.LBB6_4813:                             ;   in Loop: Header=BB6_3759 Depth=2
	s_mov_b32 s11, -1
	s_mov_b32 s29, exec_lo
                                        ; implicit-def: $sgpr27
	v_cmpx_eq_u16_e32 0x80, v56
; %bb.4814:                             ;   in Loop: Header=BB6_3759 Depth=2
	s_mov_b32 s27, 0x7f800001
	s_xor_b32 s11, exec_lo, -1
; %bb.4815:                             ;   in Loop: Header=BB6_3759 Depth=2
	s_or_b32 exec_lo, exec_lo, s29
	s_delay_alu instid0(SALU_CYCLE_1)
	s_and_b32 s11, s11, exec_lo
                                        ; implicit-def: $vgpr56
	s_or_saveexec_b32 s28, s28
	v_mov_b32_e32 v47, s27
	s_xor_b32 exec_lo, exec_lo, s28
	s_cbranch_execz .LBB6_3994
.LBB6_4816:                             ;   in Loop: Header=BB6_3759 Depth=2
	v_cmp_ne_u16_e32 vcc_lo, 0, v56
	v_mov_b32_e32 v47, 0
	s_and_not1_b32 s11, s11, exec_lo
	s_and_b32 s27, vcc_lo, exec_lo
	s_delay_alu instid0(SALU_CYCLE_1)
	s_or_b32 s11, s11, s27
	s_or_b32 exec_lo, exec_lo, s28
	s_and_saveexec_b32 s27, s11
	s_cbranch_execnz .LBB6_3995
	s_branch .LBB6_3996
.LBB6_4817:                             ;   in Loop: Header=BB6_3759 Depth=2
	s_mov_b32 s11, -1
	s_mov_b32 s29, exec_lo
                                        ; implicit-def: $sgpr27
	v_cmpx_eq_u16_e32 0x80, v57
; %bb.4818:                             ;   in Loop: Header=BB6_3759 Depth=2
	s_mov_b32 s27, 0x7f800001
	s_xor_b32 s11, exec_lo, -1
; %bb.4819:                             ;   in Loop: Header=BB6_3759 Depth=2
	s_or_b32 exec_lo, exec_lo, s29
	s_delay_alu instid0(SALU_CYCLE_1)
	s_and_b32 s11, s11, exec_lo
                                        ; implicit-def: $vgpr57
	s_or_saveexec_b32 s28, s28
	v_mov_b32_e32 v56, s27
	s_xor_b32 exec_lo, exec_lo, s28
	s_cbranch_execz .LBB6_3998
.LBB6_4820:                             ;   in Loop: Header=BB6_3759 Depth=2
	v_cmp_ne_u16_e32 vcc_lo, 0, v57
	v_mov_b32_e32 v56, 0
	s_and_not1_b32 s11, s11, exec_lo
	s_and_b32 s27, vcc_lo, exec_lo
	s_delay_alu instid0(SALU_CYCLE_1)
	s_or_b32 s11, s11, s27
	s_or_b32 exec_lo, exec_lo, s28
	s_and_saveexec_b32 s27, s11
	s_cbranch_execnz .LBB6_3999
	s_branch .LBB6_4000
.LBB6_4821:                             ;   in Loop: Header=BB6_3759 Depth=2
	s_mov_b32 s11, -1
	s_mov_b32 s29, exec_lo
                                        ; implicit-def: $sgpr27
	v_cmpx_eq_u16_e32 0x80, v56
; %bb.4822:                             ;   in Loop: Header=BB6_3759 Depth=2
	s_mov_b32 s27, 0x7f800001
	s_xor_b32 s11, exec_lo, -1
; %bb.4823:                             ;   in Loop: Header=BB6_3759 Depth=2
	s_or_b32 exec_lo, exec_lo, s29
	s_delay_alu instid0(SALU_CYCLE_1)
	s_and_b32 s11, s11, exec_lo
                                        ; implicit-def: $vgpr56
	s_or_saveexec_b32 s28, s28
	v_mov_b32_e32 v47, s27
	s_xor_b32 exec_lo, exec_lo, s28
	s_cbranch_execz .LBB6_4005
.LBB6_4824:                             ;   in Loop: Header=BB6_3759 Depth=2
	v_cmp_ne_u16_e32 vcc_lo, 0, v56
	v_mov_b32_e32 v47, 0
	s_and_not1_b32 s11, s11, exec_lo
	s_and_b32 s27, vcc_lo, exec_lo
	s_delay_alu instid0(SALU_CYCLE_1)
	s_or_b32 s11, s11, s27
	s_or_b32 exec_lo, exec_lo, s28
	s_and_saveexec_b32 s27, s11
	s_cbranch_execnz .LBB6_4006
	s_branch .LBB6_4007
.LBB6_4825:                             ;   in Loop: Header=BB6_3759 Depth=2
	s_mov_b32 s11, -1
	s_mov_b32 s29, exec_lo
                                        ; implicit-def: $sgpr27
	v_cmpx_eq_u16_e32 0x80, v56
; %bb.4826:                             ;   in Loop: Header=BB6_3759 Depth=2
	s_mov_b32 s27, 0x7f800001
	s_xor_b32 s11, exec_lo, -1
; %bb.4827:                             ;   in Loop: Header=BB6_3759 Depth=2
	s_or_b32 exec_lo, exec_lo, s29
	s_delay_alu instid0(SALU_CYCLE_1)
	s_and_b32 s11, s11, exec_lo
                                        ; implicit-def: $vgpr56
	s_or_saveexec_b32 s28, s28
	v_mov_b32_e32 v46, s27
	s_xor_b32 exec_lo, exec_lo, s28
	s_cbranch_execz .LBB6_4009
.LBB6_4828:                             ;   in Loop: Header=BB6_3759 Depth=2
	v_cmp_ne_u16_e32 vcc_lo, 0, v56
	v_mov_b32_e32 v46, 0
	s_and_not1_b32 s11, s11, exec_lo
	s_and_b32 s27, vcc_lo, exec_lo
	s_delay_alu instid0(SALU_CYCLE_1)
	s_or_b32 s11, s11, s27
	s_or_b32 exec_lo, exec_lo, s28
	s_and_saveexec_b32 s27, s11
	s_cbranch_execnz .LBB6_4010
	s_branch .LBB6_4011
.LBB6_4829:                             ;   in Loop: Header=BB6_3759 Depth=2
	s_mov_b32 s11, -1
	s_mov_b32 s29, exec_lo
                                        ; implicit-def: $sgpr27
	v_cmpx_eq_u16_e32 0x80, v47
; %bb.4830:                             ;   in Loop: Header=BB6_3759 Depth=2
	s_mov_b32 s27, 0x7f800001
	s_xor_b32 s11, exec_lo, -1
; %bb.4831:                             ;   in Loop: Header=BB6_3759 Depth=2
	s_or_b32 exec_lo, exec_lo, s29
	s_delay_alu instid0(SALU_CYCLE_1)
	s_and_b32 s11, s11, exec_lo
                                        ; implicit-def: $vgpr47
	s_or_saveexec_b32 s28, s28
	v_mov_b32_e32 v46, s27
	s_xor_b32 exec_lo, exec_lo, s28
	s_cbranch_execz .LBB6_4023
.LBB6_4832:                             ;   in Loop: Header=BB6_3759 Depth=2
	v_cmp_ne_u16_e32 vcc_lo, 0, v47
	v_mov_b32_e32 v46, 0
	s_and_not1_b32 s11, s11, exec_lo
	s_and_b32 s27, vcc_lo, exec_lo
	s_delay_alu instid0(SALU_CYCLE_1)
	s_or_b32 s11, s11, s27
	s_or_b32 exec_lo, exec_lo, s28
	s_and_saveexec_b32 s27, s11
	s_cbranch_execnz .LBB6_4024
	s_branch .LBB6_4025
.LBB6_4833:                             ;   in Loop: Header=BB6_3759 Depth=2
	s_mov_b32 s11, -1
	s_mov_b32 s29, exec_lo
                                        ; implicit-def: $sgpr27
	v_cmpx_eq_u16_e32 0x80, v56
; %bb.4834:                             ;   in Loop: Header=BB6_3759 Depth=2
	s_mov_b32 s27, 0x7f800001
	s_xor_b32 s11, exec_lo, -1
; %bb.4835:                             ;   in Loop: Header=BB6_3759 Depth=2
	s_or_b32 exec_lo, exec_lo, s29
	s_delay_alu instid0(SALU_CYCLE_1)
	s_and_b32 s11, s11, exec_lo
                                        ; implicit-def: $vgpr56
	s_or_saveexec_b32 s28, s28
	v_mov_b32_e32 v47, s27
	s_xor_b32 exec_lo, exec_lo, s28
	s_cbranch_execz .LBB6_4027
.LBB6_4836:                             ;   in Loop: Header=BB6_3759 Depth=2
	v_cmp_ne_u16_e32 vcc_lo, 0, v56
	v_mov_b32_e32 v47, 0
	s_and_not1_b32 s11, s11, exec_lo
	s_and_b32 s27, vcc_lo, exec_lo
	s_delay_alu instid0(SALU_CYCLE_1)
	s_or_b32 s11, s11, s27
	s_or_b32 exec_lo, exec_lo, s28
	s_and_saveexec_b32 s27, s11
	s_cbranch_execnz .LBB6_4028
	s_branch .LBB6_4029
.LBB6_4837:                             ;   in Loop: Header=BB6_3759 Depth=2
	s_mov_b32 s11, -1
	s_mov_b32 s29, exec_lo
                                        ; implicit-def: $sgpr27
	v_cmpx_eq_u16_e32 0x80, v47
; %bb.4838:                             ;   in Loop: Header=BB6_3759 Depth=2
	s_mov_b32 s27, 0x7f800001
	s_xor_b32 s11, exec_lo, -1
; %bb.4839:                             ;   in Loop: Header=BB6_3759 Depth=2
	s_or_b32 exec_lo, exec_lo, s29
	s_delay_alu instid0(SALU_CYCLE_1)
	s_and_b32 s11, s11, exec_lo
                                        ; implicit-def: $vgpr47
	s_or_saveexec_b32 s28, s28
	v_mov_b32_e32 v46, s27
	s_xor_b32 exec_lo, exec_lo, s28
	s_cbranch_execz .LBB6_4034
.LBB6_4840:                             ;   in Loop: Header=BB6_3759 Depth=2
	v_cmp_ne_u16_e32 vcc_lo, 0, v47
	v_mov_b32_e32 v46, 0
	s_and_not1_b32 s11, s11, exec_lo
	s_and_b32 s27, vcc_lo, exec_lo
	s_delay_alu instid0(SALU_CYCLE_1)
	s_or_b32 s11, s11, s27
	s_or_b32 exec_lo, exec_lo, s28
	s_and_saveexec_b32 s27, s11
	s_cbranch_execnz .LBB6_4035
	s_branch .LBB6_4036
.LBB6_4841:                             ;   in Loop: Header=BB6_3759 Depth=2
	s_mov_b32 s11, -1
	s_mov_b32 s29, exec_lo
                                        ; implicit-def: $sgpr27
	v_cmpx_eq_u16_e32 0x80, v47
; %bb.4842:                             ;   in Loop: Header=BB6_3759 Depth=2
	s_mov_b32 s27, 0x7f800001
	s_xor_b32 s11, exec_lo, -1
; %bb.4843:                             ;   in Loop: Header=BB6_3759 Depth=2
	s_or_b32 exec_lo, exec_lo, s29
	s_delay_alu instid0(SALU_CYCLE_1)
	s_and_b32 s11, s11, exec_lo
                                        ; implicit-def: $vgpr47
	s_or_saveexec_b32 s28, s28
	v_mov_b32_e32 v45, s27
	s_xor_b32 exec_lo, exec_lo, s28
	s_cbranch_execz .LBB6_4038
.LBB6_4844:                             ;   in Loop: Header=BB6_3759 Depth=2
	v_cmp_ne_u16_e32 vcc_lo, 0, v47
	v_mov_b32_e32 v45, 0
	s_and_not1_b32 s11, s11, exec_lo
	s_and_b32 s27, vcc_lo, exec_lo
	s_delay_alu instid0(SALU_CYCLE_1)
	s_or_b32 s11, s11, s27
	s_or_b32 exec_lo, exec_lo, s28
	s_and_saveexec_b32 s27, s11
	s_cbranch_execnz .LBB6_4039
	s_branch .LBB6_4040
.LBB6_4845:                             ;   in Loop: Header=BB6_3759 Depth=2
	s_mov_b32 s11, -1
	s_mov_b32 s29, exec_lo
                                        ; implicit-def: $sgpr27
	v_cmpx_eq_u16_e32 0x80, v46
; %bb.4846:                             ;   in Loop: Header=BB6_3759 Depth=2
	s_mov_b32 s27, 0x7f800001
	s_xor_b32 s11, exec_lo, -1
; %bb.4847:                             ;   in Loop: Header=BB6_3759 Depth=2
	s_or_b32 exec_lo, exec_lo, s29
	s_delay_alu instid0(SALU_CYCLE_1)
	s_and_b32 s11, s11, exec_lo
                                        ; implicit-def: $vgpr46
	s_or_saveexec_b32 s28, s28
	v_mov_b32_e32 v45, s27
	s_xor_b32 exec_lo, exec_lo, s28
	s_cbranch_execz .LBB6_4052
.LBB6_4848:                             ;   in Loop: Header=BB6_3759 Depth=2
	v_cmp_ne_u16_e32 vcc_lo, 0, v46
	v_mov_b32_e32 v45, 0
	s_and_not1_b32 s11, s11, exec_lo
	s_and_b32 s27, vcc_lo, exec_lo
	s_delay_alu instid0(SALU_CYCLE_1)
	s_or_b32 s11, s11, s27
	s_or_b32 exec_lo, exec_lo, s28
	s_and_saveexec_b32 s27, s11
	s_cbranch_execnz .LBB6_4053
	s_branch .LBB6_4054
.LBB6_4849:                             ;   in Loop: Header=BB6_3759 Depth=2
	s_mov_b32 s11, -1
	s_mov_b32 s29, exec_lo
                                        ; implicit-def: $sgpr27
	v_cmpx_eq_u16_e32 0x80, v47
; %bb.4850:                             ;   in Loop: Header=BB6_3759 Depth=2
	s_mov_b32 s27, 0x7f800001
	s_xor_b32 s11, exec_lo, -1
; %bb.4851:                             ;   in Loop: Header=BB6_3759 Depth=2
	s_or_b32 exec_lo, exec_lo, s29
	s_delay_alu instid0(SALU_CYCLE_1)
	s_and_b32 s11, s11, exec_lo
                                        ; implicit-def: $vgpr47
	s_or_saveexec_b32 s28, s28
	v_mov_b32_e32 v46, s27
	s_xor_b32 exec_lo, exec_lo, s28
	s_cbranch_execz .LBB6_4056
.LBB6_4852:                             ;   in Loop: Header=BB6_3759 Depth=2
	v_cmp_ne_u16_e32 vcc_lo, 0, v47
	v_mov_b32_e32 v46, 0
	s_and_not1_b32 s11, s11, exec_lo
	s_and_b32 s27, vcc_lo, exec_lo
	s_delay_alu instid0(SALU_CYCLE_1)
	s_or_b32 s11, s11, s27
	s_or_b32 exec_lo, exec_lo, s28
	s_and_saveexec_b32 s27, s11
	s_cbranch_execnz .LBB6_4057
	s_branch .LBB6_4058
.LBB6_4853:                             ;   in Loop: Header=BB6_3759 Depth=2
	s_mov_b32 s11, -1
	s_mov_b32 s29, exec_lo
                                        ; implicit-def: $sgpr27
	v_cmpx_eq_u16_e32 0x80, v46
; %bb.4854:                             ;   in Loop: Header=BB6_3759 Depth=2
	s_mov_b32 s27, 0x7f800001
	s_xor_b32 s11, exec_lo, -1
; %bb.4855:                             ;   in Loop: Header=BB6_3759 Depth=2
	s_or_b32 exec_lo, exec_lo, s29
	s_delay_alu instid0(SALU_CYCLE_1)
	s_and_b32 s11, s11, exec_lo
                                        ; implicit-def: $vgpr46
	s_or_saveexec_b32 s28, s28
	v_mov_b32_e32 v45, s27
	s_xor_b32 exec_lo, exec_lo, s28
	s_cbranch_execz .LBB6_4063
.LBB6_4856:                             ;   in Loop: Header=BB6_3759 Depth=2
	v_cmp_ne_u16_e32 vcc_lo, 0, v46
	v_mov_b32_e32 v45, 0
	s_and_not1_b32 s11, s11, exec_lo
	s_and_b32 s27, vcc_lo, exec_lo
	s_delay_alu instid0(SALU_CYCLE_1)
	s_or_b32 s11, s11, s27
	s_or_b32 exec_lo, exec_lo, s28
	s_and_saveexec_b32 s27, s11
	s_cbranch_execnz .LBB6_4064
	s_branch .LBB6_4065
.LBB6_4857:                             ;   in Loop: Header=BB6_3759 Depth=2
	s_mov_b32 s11, -1
	s_mov_b32 s29, exec_lo
                                        ; implicit-def: $sgpr27
	v_cmpx_eq_u16_e32 0x80, v46
; %bb.4858:                             ;   in Loop: Header=BB6_3759 Depth=2
	s_mov_b32 s27, 0x7f800001
	s_xor_b32 s11, exec_lo, -1
; %bb.4859:                             ;   in Loop: Header=BB6_3759 Depth=2
	s_or_b32 exec_lo, exec_lo, s29
	s_delay_alu instid0(SALU_CYCLE_1)
	s_and_b32 s11, s11, exec_lo
                                        ; implicit-def: $vgpr46
	s_or_saveexec_b32 s28, s28
	v_mov_b32_e32 v44, s27
	s_xor_b32 exec_lo, exec_lo, s28
	s_cbranch_execz .LBB6_4067
.LBB6_4860:                             ;   in Loop: Header=BB6_3759 Depth=2
	v_cmp_ne_u16_e32 vcc_lo, 0, v46
	v_mov_b32_e32 v44, 0
	s_and_not1_b32 s11, s11, exec_lo
	s_and_b32 s27, vcc_lo, exec_lo
	s_delay_alu instid0(SALU_CYCLE_1)
	s_or_b32 s11, s11, s27
	s_or_b32 exec_lo, exec_lo, s28
	s_and_saveexec_b32 s27, s11
	s_cbranch_execnz .LBB6_4068
	s_branch .LBB6_4069
.LBB6_4861:                             ;   in Loop: Header=BB6_3759 Depth=2
	s_mov_b32 s11, -1
	s_mov_b32 s29, exec_lo
                                        ; implicit-def: $sgpr27
	v_cmpx_eq_u16_e32 0x80, v45
; %bb.4862:                             ;   in Loop: Header=BB6_3759 Depth=2
	s_mov_b32 s27, 0x7f800001
	s_xor_b32 s11, exec_lo, -1
; %bb.4863:                             ;   in Loop: Header=BB6_3759 Depth=2
	s_or_b32 exec_lo, exec_lo, s29
	s_delay_alu instid0(SALU_CYCLE_1)
	s_and_b32 s11, s11, exec_lo
                                        ; implicit-def: $vgpr45
	s_or_saveexec_b32 s28, s28
	v_mov_b32_e32 v44, s27
	s_xor_b32 exec_lo, exec_lo, s28
	s_cbranch_execz .LBB6_4081
.LBB6_4864:                             ;   in Loop: Header=BB6_3759 Depth=2
	v_cmp_ne_u16_e32 vcc_lo, 0, v45
	v_mov_b32_e32 v44, 0
	s_and_not1_b32 s11, s11, exec_lo
	s_and_b32 s27, vcc_lo, exec_lo
	s_delay_alu instid0(SALU_CYCLE_1)
	s_or_b32 s11, s11, s27
	s_or_b32 exec_lo, exec_lo, s28
	s_and_saveexec_b32 s27, s11
	s_cbranch_execnz .LBB6_4082
	s_branch .LBB6_4083
.LBB6_4865:                             ;   in Loop: Header=BB6_3759 Depth=2
	s_mov_b32 s11, -1
	s_mov_b32 s29, exec_lo
                                        ; implicit-def: $sgpr27
	v_cmpx_eq_u16_e32 0x80, v46
; %bb.4866:                             ;   in Loop: Header=BB6_3759 Depth=2
	s_mov_b32 s27, 0x7f800001
	s_xor_b32 s11, exec_lo, -1
; %bb.4867:                             ;   in Loop: Header=BB6_3759 Depth=2
	s_or_b32 exec_lo, exec_lo, s29
	s_delay_alu instid0(SALU_CYCLE_1)
	s_and_b32 s11, s11, exec_lo
                                        ; implicit-def: $vgpr46
	s_or_saveexec_b32 s28, s28
	v_mov_b32_e32 v45, s27
	s_xor_b32 exec_lo, exec_lo, s28
	s_cbranch_execz .LBB6_4085
.LBB6_4868:                             ;   in Loop: Header=BB6_3759 Depth=2
	v_cmp_ne_u16_e32 vcc_lo, 0, v46
	v_mov_b32_e32 v45, 0
	s_and_not1_b32 s11, s11, exec_lo
	s_and_b32 s27, vcc_lo, exec_lo
	s_delay_alu instid0(SALU_CYCLE_1)
	s_or_b32 s11, s11, s27
	s_or_b32 exec_lo, exec_lo, s28
	s_and_saveexec_b32 s27, s11
	s_cbranch_execnz .LBB6_4086
	s_branch .LBB6_4087
.LBB6_4869:                             ;   in Loop: Header=BB6_3759 Depth=2
	s_mov_b32 s11, -1
	s_mov_b32 s29, exec_lo
                                        ; implicit-def: $sgpr27
	v_cmpx_eq_u16_e32 0x80, v45
; %bb.4870:                             ;   in Loop: Header=BB6_3759 Depth=2
	s_mov_b32 s27, 0x7f800001
	s_xor_b32 s11, exec_lo, -1
; %bb.4871:                             ;   in Loop: Header=BB6_3759 Depth=2
	s_or_b32 exec_lo, exec_lo, s29
	s_delay_alu instid0(SALU_CYCLE_1)
	s_and_b32 s11, s11, exec_lo
                                        ; implicit-def: $vgpr45
	s_or_saveexec_b32 s28, s28
	v_mov_b32_e32 v44, s27
	s_xor_b32 exec_lo, exec_lo, s28
	s_cbranch_execz .LBB6_4092
.LBB6_4872:                             ;   in Loop: Header=BB6_3759 Depth=2
	v_cmp_ne_u16_e32 vcc_lo, 0, v45
	v_mov_b32_e32 v44, 0
	s_and_not1_b32 s11, s11, exec_lo
	s_and_b32 s27, vcc_lo, exec_lo
	s_delay_alu instid0(SALU_CYCLE_1)
	s_or_b32 s11, s11, s27
	s_or_b32 exec_lo, exec_lo, s28
	s_and_saveexec_b32 s27, s11
	s_cbranch_execnz .LBB6_4093
	s_branch .LBB6_4094
.LBB6_4873:                             ;   in Loop: Header=BB6_3759 Depth=2
	s_mov_b32 s11, -1
	s_mov_b32 s29, exec_lo
                                        ; implicit-def: $sgpr27
	v_cmpx_eq_u16_e32 0x80, v45
; %bb.4874:                             ;   in Loop: Header=BB6_3759 Depth=2
	s_mov_b32 s27, 0x7f800001
	s_xor_b32 s11, exec_lo, -1
; %bb.4875:                             ;   in Loop: Header=BB6_3759 Depth=2
	s_or_b32 exec_lo, exec_lo, s29
	s_delay_alu instid0(SALU_CYCLE_1)
	s_and_b32 s11, s11, exec_lo
                                        ; implicit-def: $vgpr45
	s_or_saveexec_b32 s28, s28
	v_mov_b32_e32 v43, s27
	s_xor_b32 exec_lo, exec_lo, s28
	s_cbranch_execz .LBB6_4096
.LBB6_4876:                             ;   in Loop: Header=BB6_3759 Depth=2
	v_cmp_ne_u16_e32 vcc_lo, 0, v45
	v_mov_b32_e32 v43, 0
	s_and_not1_b32 s11, s11, exec_lo
	s_and_b32 s27, vcc_lo, exec_lo
	s_delay_alu instid0(SALU_CYCLE_1)
	s_or_b32 s11, s11, s27
	s_or_b32 exec_lo, exec_lo, s28
	s_and_saveexec_b32 s27, s11
	s_cbranch_execnz .LBB6_4097
	s_branch .LBB6_4098
.LBB6_4877:                             ;   in Loop: Header=BB6_3759 Depth=2
	s_mov_b32 s11, -1
	s_mov_b32 s29, exec_lo
                                        ; implicit-def: $sgpr27
	v_cmpx_eq_u16_e32 0x80, v44
; %bb.4878:                             ;   in Loop: Header=BB6_3759 Depth=2
	s_mov_b32 s27, 0x7f800001
	s_xor_b32 s11, exec_lo, -1
; %bb.4879:                             ;   in Loop: Header=BB6_3759 Depth=2
	s_or_b32 exec_lo, exec_lo, s29
	s_delay_alu instid0(SALU_CYCLE_1)
	s_and_b32 s11, s11, exec_lo
                                        ; implicit-def: $vgpr44
	s_or_saveexec_b32 s28, s28
	v_mov_b32_e32 v43, s27
	s_xor_b32 exec_lo, exec_lo, s28
	s_cbranch_execz .LBB6_4110
.LBB6_4880:                             ;   in Loop: Header=BB6_3759 Depth=2
	v_cmp_ne_u16_e32 vcc_lo, 0, v44
	v_mov_b32_e32 v43, 0
	s_and_not1_b32 s11, s11, exec_lo
	s_and_b32 s27, vcc_lo, exec_lo
	s_delay_alu instid0(SALU_CYCLE_1)
	s_or_b32 s11, s11, s27
	s_or_b32 exec_lo, exec_lo, s28
	s_and_saveexec_b32 s27, s11
	s_cbranch_execnz .LBB6_4111
	s_branch .LBB6_4112
.LBB6_4881:                             ;   in Loop: Header=BB6_3759 Depth=2
	s_mov_b32 s11, -1
	s_mov_b32 s29, exec_lo
                                        ; implicit-def: $sgpr27
	v_cmpx_eq_u16_e32 0x80, v45
; %bb.4882:                             ;   in Loop: Header=BB6_3759 Depth=2
	s_mov_b32 s27, 0x7f800001
	s_xor_b32 s11, exec_lo, -1
; %bb.4883:                             ;   in Loop: Header=BB6_3759 Depth=2
	s_or_b32 exec_lo, exec_lo, s29
	s_delay_alu instid0(SALU_CYCLE_1)
	s_and_b32 s11, s11, exec_lo
                                        ; implicit-def: $vgpr45
	s_or_saveexec_b32 s28, s28
	v_mov_b32_e32 v44, s27
	s_xor_b32 exec_lo, exec_lo, s28
	s_cbranch_execz .LBB6_4114
.LBB6_4884:                             ;   in Loop: Header=BB6_3759 Depth=2
	v_cmp_ne_u16_e32 vcc_lo, 0, v45
	v_mov_b32_e32 v44, 0
	s_and_not1_b32 s11, s11, exec_lo
	s_and_b32 s27, vcc_lo, exec_lo
	s_delay_alu instid0(SALU_CYCLE_1)
	s_or_b32 s11, s11, s27
	s_or_b32 exec_lo, exec_lo, s28
	s_and_saveexec_b32 s27, s11
	s_cbranch_execnz .LBB6_4115
	s_branch .LBB6_4116
.LBB6_4885:                             ;   in Loop: Header=BB6_3759 Depth=2
	s_mov_b32 s11, -1
	s_mov_b32 s29, exec_lo
                                        ; implicit-def: $sgpr27
	v_cmpx_eq_u16_e32 0x80, v44
; %bb.4886:                             ;   in Loop: Header=BB6_3759 Depth=2
	s_mov_b32 s27, 0x7f800001
	s_xor_b32 s11, exec_lo, -1
; %bb.4887:                             ;   in Loop: Header=BB6_3759 Depth=2
	s_or_b32 exec_lo, exec_lo, s29
	s_delay_alu instid0(SALU_CYCLE_1)
	s_and_b32 s11, s11, exec_lo
                                        ; implicit-def: $vgpr44
	s_or_saveexec_b32 s28, s28
	v_mov_b32_e32 v43, s27
	s_xor_b32 exec_lo, exec_lo, s28
	s_cbranch_execz .LBB6_4121
.LBB6_4888:                             ;   in Loop: Header=BB6_3759 Depth=2
	v_cmp_ne_u16_e32 vcc_lo, 0, v44
	v_mov_b32_e32 v43, 0
	s_and_not1_b32 s11, s11, exec_lo
	s_and_b32 s27, vcc_lo, exec_lo
	s_delay_alu instid0(SALU_CYCLE_1)
	s_or_b32 s11, s11, s27
	s_or_b32 exec_lo, exec_lo, s28
	s_and_saveexec_b32 s27, s11
	s_cbranch_execnz .LBB6_4122
	s_branch .LBB6_4123
.LBB6_4889:                             ;   in Loop: Header=BB6_3759 Depth=2
	s_mov_b32 s11, -1
	s_mov_b32 s29, exec_lo
                                        ; implicit-def: $sgpr27
	v_cmpx_eq_u16_e32 0x80, v44
; %bb.4890:                             ;   in Loop: Header=BB6_3759 Depth=2
	s_mov_b32 s27, 0x7f800001
	s_xor_b32 s11, exec_lo, -1
; %bb.4891:                             ;   in Loop: Header=BB6_3759 Depth=2
	s_or_b32 exec_lo, exec_lo, s29
	s_delay_alu instid0(SALU_CYCLE_1)
	s_and_b32 s11, s11, exec_lo
                                        ; implicit-def: $vgpr44
	s_or_saveexec_b32 s28, s28
	v_mov_b32_e32 v42, s27
	s_xor_b32 exec_lo, exec_lo, s28
	s_cbranch_execz .LBB6_4125
.LBB6_4892:                             ;   in Loop: Header=BB6_3759 Depth=2
	v_cmp_ne_u16_e32 vcc_lo, 0, v44
	v_mov_b32_e32 v42, 0
	s_and_not1_b32 s11, s11, exec_lo
	s_and_b32 s27, vcc_lo, exec_lo
	s_delay_alu instid0(SALU_CYCLE_1)
	s_or_b32 s11, s11, s27
	s_or_b32 exec_lo, exec_lo, s28
	s_and_saveexec_b32 s27, s11
	s_cbranch_execnz .LBB6_4126
	s_branch .LBB6_4127
.LBB6_4893:                             ;   in Loop: Header=BB6_3759 Depth=2
	s_mov_b32 s11, -1
	s_mov_b32 s29, exec_lo
                                        ; implicit-def: $sgpr27
	v_cmpx_eq_u16_e32 0x80, v43
; %bb.4894:                             ;   in Loop: Header=BB6_3759 Depth=2
	s_mov_b32 s27, 0x7f800001
	s_xor_b32 s11, exec_lo, -1
; %bb.4895:                             ;   in Loop: Header=BB6_3759 Depth=2
	s_or_b32 exec_lo, exec_lo, s29
	s_delay_alu instid0(SALU_CYCLE_1)
	s_and_b32 s11, s11, exec_lo
                                        ; implicit-def: $vgpr43
	s_or_saveexec_b32 s28, s28
	v_mov_b32_e32 v42, s27
	s_xor_b32 exec_lo, exec_lo, s28
	s_cbranch_execz .LBB6_4139
.LBB6_4896:                             ;   in Loop: Header=BB6_3759 Depth=2
	v_cmp_ne_u16_e32 vcc_lo, 0, v43
	v_mov_b32_e32 v42, 0
	s_and_not1_b32 s11, s11, exec_lo
	s_and_b32 s27, vcc_lo, exec_lo
	s_delay_alu instid0(SALU_CYCLE_1)
	s_or_b32 s11, s11, s27
	s_or_b32 exec_lo, exec_lo, s28
	s_and_saveexec_b32 s27, s11
	s_cbranch_execnz .LBB6_4140
	s_branch .LBB6_4141
.LBB6_4897:                             ;   in Loop: Header=BB6_3759 Depth=2
	s_mov_b32 s11, -1
	s_mov_b32 s29, exec_lo
                                        ; implicit-def: $sgpr27
	v_cmpx_eq_u16_e32 0x80, v44
; %bb.4898:                             ;   in Loop: Header=BB6_3759 Depth=2
	s_mov_b32 s27, 0x7f800001
	s_xor_b32 s11, exec_lo, -1
; %bb.4899:                             ;   in Loop: Header=BB6_3759 Depth=2
	s_or_b32 exec_lo, exec_lo, s29
	s_delay_alu instid0(SALU_CYCLE_1)
	s_and_b32 s11, s11, exec_lo
                                        ; implicit-def: $vgpr44
	s_or_saveexec_b32 s28, s28
	v_mov_b32_e32 v43, s27
	s_xor_b32 exec_lo, exec_lo, s28
	s_cbranch_execz .LBB6_4143
.LBB6_4900:                             ;   in Loop: Header=BB6_3759 Depth=2
	v_cmp_ne_u16_e32 vcc_lo, 0, v44
	v_mov_b32_e32 v43, 0
	s_and_not1_b32 s11, s11, exec_lo
	s_and_b32 s27, vcc_lo, exec_lo
	s_delay_alu instid0(SALU_CYCLE_1)
	s_or_b32 s11, s11, s27
	s_or_b32 exec_lo, exec_lo, s28
	s_and_saveexec_b32 s27, s11
	s_cbranch_execnz .LBB6_4144
	s_branch .LBB6_4145
.LBB6_4901:                             ;   in Loop: Header=BB6_3759 Depth=2
	s_mov_b32 s11, -1
	s_mov_b32 s29, exec_lo
                                        ; implicit-def: $sgpr27
	v_cmpx_eq_u16_e32 0x80, v43
; %bb.4902:                             ;   in Loop: Header=BB6_3759 Depth=2
	s_mov_b32 s27, 0x7f800001
	s_xor_b32 s11, exec_lo, -1
; %bb.4903:                             ;   in Loop: Header=BB6_3759 Depth=2
	s_or_b32 exec_lo, exec_lo, s29
	s_delay_alu instid0(SALU_CYCLE_1)
	s_and_b32 s11, s11, exec_lo
                                        ; implicit-def: $vgpr43
	s_or_saveexec_b32 s28, s28
	v_mov_b32_e32 v42, s27
	s_xor_b32 exec_lo, exec_lo, s28
	s_cbranch_execz .LBB6_4150
.LBB6_4904:                             ;   in Loop: Header=BB6_3759 Depth=2
	v_cmp_ne_u16_e32 vcc_lo, 0, v43
	v_mov_b32_e32 v42, 0
	s_and_not1_b32 s11, s11, exec_lo
	s_and_b32 s27, vcc_lo, exec_lo
	s_delay_alu instid0(SALU_CYCLE_1)
	s_or_b32 s11, s11, s27
	s_or_b32 exec_lo, exec_lo, s28
	s_and_saveexec_b32 s27, s11
	s_cbranch_execnz .LBB6_4151
	s_branch .LBB6_4152
.LBB6_4905:                             ;   in Loop: Header=BB6_3759 Depth=2
	s_mov_b32 s11, -1
	s_mov_b32 s29, exec_lo
                                        ; implicit-def: $sgpr27
	v_cmpx_eq_u16_e32 0x80, v43
; %bb.4906:                             ;   in Loop: Header=BB6_3759 Depth=2
	s_mov_b32 s27, 0x7f800001
	s_xor_b32 s11, exec_lo, -1
; %bb.4907:                             ;   in Loop: Header=BB6_3759 Depth=2
	s_or_b32 exec_lo, exec_lo, s29
	s_delay_alu instid0(SALU_CYCLE_1)
	s_and_b32 s11, s11, exec_lo
                                        ; implicit-def: $vgpr43
	s_or_saveexec_b32 s28, s28
	v_mov_b32_e32 v41, s27
	s_xor_b32 exec_lo, exec_lo, s28
	s_cbranch_execz .LBB6_4154
.LBB6_4908:                             ;   in Loop: Header=BB6_3759 Depth=2
	v_cmp_ne_u16_e32 vcc_lo, 0, v43
	v_mov_b32_e32 v41, 0
	s_and_not1_b32 s11, s11, exec_lo
	s_and_b32 s27, vcc_lo, exec_lo
	s_delay_alu instid0(SALU_CYCLE_1)
	s_or_b32 s11, s11, s27
	s_or_b32 exec_lo, exec_lo, s28
	s_and_saveexec_b32 s27, s11
	s_cbranch_execnz .LBB6_4155
	s_branch .LBB6_4156
.LBB6_4909:                             ;   in Loop: Header=BB6_3759 Depth=2
	s_mov_b32 s11, -1
	s_mov_b32 s29, exec_lo
                                        ; implicit-def: $sgpr27
	v_cmpx_eq_u16_e32 0x80, v42
; %bb.4910:                             ;   in Loop: Header=BB6_3759 Depth=2
	s_mov_b32 s27, 0x7f800001
	s_xor_b32 s11, exec_lo, -1
; %bb.4911:                             ;   in Loop: Header=BB6_3759 Depth=2
	s_or_b32 exec_lo, exec_lo, s29
	s_delay_alu instid0(SALU_CYCLE_1)
	s_and_b32 s11, s11, exec_lo
                                        ; implicit-def: $vgpr42
	s_or_saveexec_b32 s28, s28
	v_mov_b32_e32 v41, s27
	s_xor_b32 exec_lo, exec_lo, s28
	s_cbranch_execz .LBB6_4168
.LBB6_4912:                             ;   in Loop: Header=BB6_3759 Depth=2
	v_cmp_ne_u16_e32 vcc_lo, 0, v42
	v_mov_b32_e32 v41, 0
	s_and_not1_b32 s11, s11, exec_lo
	s_and_b32 s27, vcc_lo, exec_lo
	s_delay_alu instid0(SALU_CYCLE_1)
	s_or_b32 s11, s11, s27
	s_or_b32 exec_lo, exec_lo, s28
	s_and_saveexec_b32 s27, s11
	s_cbranch_execnz .LBB6_4169
	s_branch .LBB6_4170
.LBB6_4913:                             ;   in Loop: Header=BB6_3759 Depth=2
	s_mov_b32 s11, -1
	s_mov_b32 s29, exec_lo
                                        ; implicit-def: $sgpr27
	v_cmpx_eq_u16_e32 0x80, v43
; %bb.4914:                             ;   in Loop: Header=BB6_3759 Depth=2
	s_mov_b32 s27, 0x7f800001
	s_xor_b32 s11, exec_lo, -1
; %bb.4915:                             ;   in Loop: Header=BB6_3759 Depth=2
	s_or_b32 exec_lo, exec_lo, s29
	s_delay_alu instid0(SALU_CYCLE_1)
	s_and_b32 s11, s11, exec_lo
                                        ; implicit-def: $vgpr43
	s_or_saveexec_b32 s28, s28
	v_mov_b32_e32 v42, s27
	s_xor_b32 exec_lo, exec_lo, s28
	s_cbranch_execz .LBB6_4172
.LBB6_4916:                             ;   in Loop: Header=BB6_3759 Depth=2
	v_cmp_ne_u16_e32 vcc_lo, 0, v43
	v_mov_b32_e32 v42, 0
	s_and_not1_b32 s11, s11, exec_lo
	s_and_b32 s27, vcc_lo, exec_lo
	s_delay_alu instid0(SALU_CYCLE_1)
	s_or_b32 s11, s11, s27
	s_or_b32 exec_lo, exec_lo, s28
	s_and_saveexec_b32 s27, s11
	s_cbranch_execnz .LBB6_4173
	s_branch .LBB6_4174
.LBB6_4917:                             ;   in Loop: Header=BB6_3759 Depth=2
	s_mov_b32 s11, -1
	s_mov_b32 s29, exec_lo
                                        ; implicit-def: $sgpr27
	v_cmpx_eq_u16_e32 0x80, v42
; %bb.4918:                             ;   in Loop: Header=BB6_3759 Depth=2
	s_mov_b32 s27, 0x7f800001
	s_xor_b32 s11, exec_lo, -1
; %bb.4919:                             ;   in Loop: Header=BB6_3759 Depth=2
	s_or_b32 exec_lo, exec_lo, s29
	s_delay_alu instid0(SALU_CYCLE_1)
	s_and_b32 s11, s11, exec_lo
                                        ; implicit-def: $vgpr42
	s_or_saveexec_b32 s28, s28
	v_mov_b32_e32 v41, s27
	s_xor_b32 exec_lo, exec_lo, s28
	s_cbranch_execz .LBB6_4179
.LBB6_4920:                             ;   in Loop: Header=BB6_3759 Depth=2
	v_cmp_ne_u16_e32 vcc_lo, 0, v42
	v_mov_b32_e32 v41, 0
	s_and_not1_b32 s11, s11, exec_lo
	s_and_b32 s27, vcc_lo, exec_lo
	s_delay_alu instid0(SALU_CYCLE_1)
	s_or_b32 s11, s11, s27
	s_or_b32 exec_lo, exec_lo, s28
	s_and_saveexec_b32 s27, s11
	s_cbranch_execnz .LBB6_4180
	s_branch .LBB6_4181
.LBB6_4921:                             ;   in Loop: Header=BB6_3759 Depth=2
	s_mov_b32 s11, -1
	s_mov_b32 s29, exec_lo
                                        ; implicit-def: $sgpr27
	v_cmpx_eq_u16_e32 0x80, v42
; %bb.4922:                             ;   in Loop: Header=BB6_3759 Depth=2
	s_mov_b32 s27, 0x7f800001
	s_xor_b32 s11, exec_lo, -1
; %bb.4923:                             ;   in Loop: Header=BB6_3759 Depth=2
	s_or_b32 exec_lo, exec_lo, s29
	s_delay_alu instid0(SALU_CYCLE_1)
	s_and_b32 s11, s11, exec_lo
                                        ; implicit-def: $vgpr42
	s_or_saveexec_b32 s28, s28
	v_mov_b32_e32 v40, s27
	s_xor_b32 exec_lo, exec_lo, s28
	s_cbranch_execz .LBB6_4183
.LBB6_4924:                             ;   in Loop: Header=BB6_3759 Depth=2
	v_cmp_ne_u16_e32 vcc_lo, 0, v42
	v_mov_b32_e32 v40, 0
	s_and_not1_b32 s11, s11, exec_lo
	s_and_b32 s27, vcc_lo, exec_lo
	s_delay_alu instid0(SALU_CYCLE_1)
	s_or_b32 s11, s11, s27
	s_or_b32 exec_lo, exec_lo, s28
	s_and_saveexec_b32 s27, s11
	s_cbranch_execnz .LBB6_4184
	s_branch .LBB6_4185
.LBB6_4925:                             ;   in Loop: Header=BB6_3759 Depth=2
	s_mov_b32 s11, -1
	s_mov_b32 s29, exec_lo
                                        ; implicit-def: $sgpr27
	v_cmpx_eq_u16_e32 0x80, v41
; %bb.4926:                             ;   in Loop: Header=BB6_3759 Depth=2
	s_mov_b32 s27, 0x7f800001
	s_xor_b32 s11, exec_lo, -1
; %bb.4927:                             ;   in Loop: Header=BB6_3759 Depth=2
	s_or_b32 exec_lo, exec_lo, s29
	s_delay_alu instid0(SALU_CYCLE_1)
	s_and_b32 s11, s11, exec_lo
                                        ; implicit-def: $vgpr41
	s_or_saveexec_b32 s28, s28
	v_mov_b32_e32 v40, s27
	s_xor_b32 exec_lo, exec_lo, s28
	s_cbranch_execz .LBB6_4197
.LBB6_4928:                             ;   in Loop: Header=BB6_3759 Depth=2
	v_cmp_ne_u16_e32 vcc_lo, 0, v41
	v_mov_b32_e32 v40, 0
	s_and_not1_b32 s11, s11, exec_lo
	s_and_b32 s27, vcc_lo, exec_lo
	s_delay_alu instid0(SALU_CYCLE_1)
	s_or_b32 s11, s11, s27
	s_or_b32 exec_lo, exec_lo, s28
	s_and_saveexec_b32 s27, s11
	s_cbranch_execnz .LBB6_4198
	s_branch .LBB6_4199
.LBB6_4929:                             ;   in Loop: Header=BB6_3759 Depth=2
	s_mov_b32 s11, -1
	s_mov_b32 s29, exec_lo
                                        ; implicit-def: $sgpr27
	v_cmpx_eq_u16_e32 0x80, v42
; %bb.4930:                             ;   in Loop: Header=BB6_3759 Depth=2
	s_mov_b32 s27, 0x7f800001
	s_xor_b32 s11, exec_lo, -1
; %bb.4931:                             ;   in Loop: Header=BB6_3759 Depth=2
	s_or_b32 exec_lo, exec_lo, s29
	s_delay_alu instid0(SALU_CYCLE_1)
	s_and_b32 s11, s11, exec_lo
                                        ; implicit-def: $vgpr42
	s_or_saveexec_b32 s28, s28
	v_mov_b32_e32 v41, s27
	s_xor_b32 exec_lo, exec_lo, s28
	s_cbranch_execz .LBB6_4201
.LBB6_4932:                             ;   in Loop: Header=BB6_3759 Depth=2
	v_cmp_ne_u16_e32 vcc_lo, 0, v42
	v_mov_b32_e32 v41, 0
	s_and_not1_b32 s11, s11, exec_lo
	s_and_b32 s27, vcc_lo, exec_lo
	s_delay_alu instid0(SALU_CYCLE_1)
	s_or_b32 s11, s11, s27
	s_or_b32 exec_lo, exec_lo, s28
	s_and_saveexec_b32 s27, s11
	s_cbranch_execnz .LBB6_4202
	s_branch .LBB6_4203
.LBB6_4933:                             ;   in Loop: Header=BB6_3759 Depth=2
	s_mov_b32 s11, -1
	s_mov_b32 s29, exec_lo
                                        ; implicit-def: $sgpr27
	v_cmpx_eq_u16_e32 0x80, v41
; %bb.4934:                             ;   in Loop: Header=BB6_3759 Depth=2
	s_mov_b32 s27, 0x7f800001
	s_xor_b32 s11, exec_lo, -1
; %bb.4935:                             ;   in Loop: Header=BB6_3759 Depth=2
	s_or_b32 exec_lo, exec_lo, s29
	s_delay_alu instid0(SALU_CYCLE_1)
	s_and_b32 s11, s11, exec_lo
                                        ; implicit-def: $vgpr41
	s_or_saveexec_b32 s28, s28
	v_mov_b32_e32 v40, s27
	s_xor_b32 exec_lo, exec_lo, s28
	s_cbranch_execz .LBB6_4208
.LBB6_4936:                             ;   in Loop: Header=BB6_3759 Depth=2
	v_cmp_ne_u16_e32 vcc_lo, 0, v41
	v_mov_b32_e32 v40, 0
	s_and_not1_b32 s11, s11, exec_lo
	s_and_b32 s27, vcc_lo, exec_lo
	s_delay_alu instid0(SALU_CYCLE_1)
	s_or_b32 s11, s11, s27
	s_or_b32 exec_lo, exec_lo, s28
	s_and_saveexec_b32 s27, s11
	s_cbranch_execnz .LBB6_4209
	s_branch .LBB6_4210
.LBB6_4937:                             ;   in Loop: Header=BB6_3759 Depth=2
	s_mov_b32 s11, -1
	s_mov_b32 s29, exec_lo
                                        ; implicit-def: $sgpr27
	v_cmpx_eq_u16_e32 0x80, v41
; %bb.4938:                             ;   in Loop: Header=BB6_3759 Depth=2
	s_mov_b32 s27, 0x7f800001
	s_xor_b32 s11, exec_lo, -1
; %bb.4939:                             ;   in Loop: Header=BB6_3759 Depth=2
	s_or_b32 exec_lo, exec_lo, s29
	s_delay_alu instid0(SALU_CYCLE_1)
	s_and_b32 s11, s11, exec_lo
                                        ; implicit-def: $vgpr41
	s_or_saveexec_b32 s28, s28
	v_mov_b32_e32 v183, s27
	s_xor_b32 exec_lo, exec_lo, s28
	s_cbranch_execz .LBB6_4212
.LBB6_4940:                             ;   in Loop: Header=BB6_3759 Depth=2
	v_cmp_ne_u16_e32 vcc_lo, 0, v41
	v_mov_b32_e32 v183, 0
	s_and_not1_b32 s11, s11, exec_lo
	s_and_b32 s27, vcc_lo, exec_lo
	s_delay_alu instid0(SALU_CYCLE_1)
	s_or_b32 s11, s11, s27
	s_or_b32 exec_lo, exec_lo, s28
	s_and_saveexec_b32 s27, s11
	s_cbranch_execnz .LBB6_4213
	s_branch .LBB6_4214
.LBB6_4941:                             ;   in Loop: Header=BB6_3759 Depth=2
	s_mov_b32 s11, -1
	s_mov_b32 s29, exec_lo
                                        ; implicit-def: $sgpr27
	v_cmpx_eq_u16_e32 0x80, v40
; %bb.4942:                             ;   in Loop: Header=BB6_3759 Depth=2
	s_mov_b32 s27, 0x7f800001
	s_xor_b32 s11, exec_lo, -1
; %bb.4943:                             ;   in Loop: Header=BB6_3759 Depth=2
	s_or_b32 exec_lo, exec_lo, s29
	s_delay_alu instid0(SALU_CYCLE_1)
	s_and_b32 s11, s11, exec_lo
                                        ; implicit-def: $vgpr40
	s_or_saveexec_b32 s28, s28
	v_mov_b32_e32 v183, s27
	s_xor_b32 exec_lo, exec_lo, s28
	s_cbranch_execz .LBB6_4226
.LBB6_4944:                             ;   in Loop: Header=BB6_3759 Depth=2
	v_cmp_ne_u16_e32 vcc_lo, 0, v40
	v_mov_b32_e32 v183, 0
	s_and_not1_b32 s11, s11, exec_lo
	s_and_b32 s27, vcc_lo, exec_lo
	s_delay_alu instid0(SALU_CYCLE_1)
	s_or_b32 s11, s11, s27
	s_or_b32 exec_lo, exec_lo, s28
	s_and_saveexec_b32 s27, s11
	s_cbranch_execnz .LBB6_4227
	s_branch .LBB6_4228
.LBB6_4945:                             ;   in Loop: Header=BB6_3759 Depth=2
	s_mov_b32 s11, -1
	s_mov_b32 s29, exec_lo
                                        ; implicit-def: $sgpr27
	v_cmpx_eq_u16_e32 0x80, v41
; %bb.4946:                             ;   in Loop: Header=BB6_3759 Depth=2
	s_mov_b32 s27, 0x7f800001
	s_xor_b32 s11, exec_lo, -1
; %bb.4947:                             ;   in Loop: Header=BB6_3759 Depth=2
	s_or_b32 exec_lo, exec_lo, s29
	s_delay_alu instid0(SALU_CYCLE_1)
	s_and_b32 s11, s11, exec_lo
                                        ; implicit-def: $vgpr41
	s_or_saveexec_b32 s28, s28
	v_mov_b32_e32 v40, s27
	s_xor_b32 exec_lo, exec_lo, s28
	s_cbranch_execz .LBB6_4230
.LBB6_4948:                             ;   in Loop: Header=BB6_3759 Depth=2
	v_cmp_ne_u16_e32 vcc_lo, 0, v41
	v_mov_b32_e32 v40, 0
	s_and_not1_b32 s11, s11, exec_lo
	s_and_b32 s27, vcc_lo, exec_lo
	s_delay_alu instid0(SALU_CYCLE_1)
	s_or_b32 s11, s11, s27
	s_or_b32 exec_lo, exec_lo, s28
	s_and_saveexec_b32 s27, s11
	s_cbranch_execnz .LBB6_4231
	s_branch .LBB6_4232
.LBB6_4949:                             ;   in Loop: Header=BB6_3759 Depth=2
	s_mov_b32 s11, -1
	s_mov_b32 s29, exec_lo
                                        ; implicit-def: $sgpr27
	v_cmpx_eq_u16_e32 0x80, v40
; %bb.4950:                             ;   in Loop: Header=BB6_3759 Depth=2
	s_mov_b32 s27, 0x7f800001
	s_xor_b32 s11, exec_lo, -1
; %bb.4951:                             ;   in Loop: Header=BB6_3759 Depth=2
	s_or_b32 exec_lo, exec_lo, s29
	s_delay_alu instid0(SALU_CYCLE_1)
	s_and_b32 s11, s11, exec_lo
                                        ; implicit-def: $vgpr40
	s_or_saveexec_b32 s28, s28
	v_mov_b32_e32 v183, s27
	s_xor_b32 exec_lo, exec_lo, s28
	s_cbranch_execz .LBB6_4237
.LBB6_4952:                             ;   in Loop: Header=BB6_3759 Depth=2
	v_cmp_ne_u16_e32 vcc_lo, 0, v40
	v_mov_b32_e32 v183, 0
	s_and_not1_b32 s11, s11, exec_lo
	s_and_b32 s27, vcc_lo, exec_lo
	s_delay_alu instid0(SALU_CYCLE_1)
	s_or_b32 s11, s11, s27
	s_or_b32 exec_lo, exec_lo, s28
	s_and_saveexec_b32 s27, s11
	s_cbranch_execnz .LBB6_4238
	s_branch .LBB6_4239
.LBB6_4953:                             ;   in Loop: Header=BB6_3759 Depth=2
	s_mov_b32 s11, -1
	s_mov_b32 s29, exec_lo
                                        ; implicit-def: $sgpr27
	v_cmpx_eq_u16_e32 0x80, v40
; %bb.4954:                             ;   in Loop: Header=BB6_3759 Depth=2
	s_mov_b32 s27, 0x7f800001
	s_xor_b32 s11, exec_lo, -1
; %bb.4955:                             ;   in Loop: Header=BB6_3759 Depth=2
	s_or_b32 exec_lo, exec_lo, s29
	s_delay_alu instid0(SALU_CYCLE_1)
	s_and_b32 s11, s11, exec_lo
                                        ; implicit-def: $vgpr40
	s_or_saveexec_b32 s28, s28
	v_mov_b32_e32 v181, s27
	s_xor_b32 exec_lo, exec_lo, s28
	s_cbranch_execz .LBB6_4241
.LBB6_4956:                             ;   in Loop: Header=BB6_3759 Depth=2
	v_cmp_ne_u16_e32 vcc_lo, 0, v40
	v_mov_b32_e32 v181, 0
	s_and_not1_b32 s11, s11, exec_lo
	s_and_b32 s27, vcc_lo, exec_lo
	s_delay_alu instid0(SALU_CYCLE_1)
	s_or_b32 s11, s11, s27
	s_or_b32 exec_lo, exec_lo, s28
	s_and_saveexec_b32 s27, s11
	s_cbranch_execnz .LBB6_4242
	s_branch .LBB6_4243
.LBB6_4957:                             ;   in Loop: Header=BB6_3759 Depth=2
	s_mov_b32 s11, -1
	s_mov_b32 s29, exec_lo
                                        ; implicit-def: $sgpr27
	v_cmpx_eq_u16_e64 0x80, v183
; %bb.4958:                             ;   in Loop: Header=BB6_3759 Depth=2
	s_mov_b32 s27, 0x7f800001
	s_xor_b32 s11, exec_lo, -1
; %bb.4959:                             ;   in Loop: Header=BB6_3759 Depth=2
	s_or_b32 exec_lo, exec_lo, s29
	s_delay_alu instid0(SALU_CYCLE_1)
	s_and_b32 s11, s11, exec_lo
                                        ; implicit-def: $vgpr183
	s_or_saveexec_b32 s28, s28
	v_mov_b32_e32 v181, s27
	s_xor_b32 exec_lo, exec_lo, s28
	s_cbranch_execz .LBB6_4255
.LBB6_4960:                             ;   in Loop: Header=BB6_3759 Depth=2
	v_cmp_ne_u16_e64 vcc_lo, 0, v183
	v_mov_b32_e32 v181, 0
	s_and_not1_b32 s11, s11, exec_lo
	s_delay_alu instid0(VALU_DEP_2) | instskip(NEXT) | instid1(SALU_CYCLE_1)
	s_and_b32 s27, vcc_lo, exec_lo
	s_or_b32 s11, s11, s27
	s_or_b32 exec_lo, exec_lo, s28
	s_and_saveexec_b32 s27, s11
	s_cbranch_execnz .LBB6_4256
	s_branch .LBB6_4257
.LBB6_4961:                             ;   in Loop: Header=BB6_3759 Depth=2
	s_mov_b32 s11, -1
	s_mov_b32 s29, exec_lo
                                        ; implicit-def: $sgpr27
	v_cmpx_eq_u16_e32 0x80, v40
; %bb.4962:                             ;   in Loop: Header=BB6_3759 Depth=2
	s_mov_b32 s27, 0x7f800001
	s_xor_b32 s11, exec_lo, -1
; %bb.4963:                             ;   in Loop: Header=BB6_3759 Depth=2
	s_or_b32 exec_lo, exec_lo, s29
	s_delay_alu instid0(SALU_CYCLE_1)
	s_and_b32 s11, s11, exec_lo
                                        ; implicit-def: $vgpr40
	s_or_saveexec_b32 s28, s28
	v_mov_b32_e32 v183, s27
	s_xor_b32 exec_lo, exec_lo, s28
	s_cbranch_execz .LBB6_4259
.LBB6_4964:                             ;   in Loop: Header=BB6_3759 Depth=2
	v_cmp_ne_u16_e32 vcc_lo, 0, v40
	v_mov_b32_e32 v183, 0
	s_and_not1_b32 s11, s11, exec_lo
	s_and_b32 s27, vcc_lo, exec_lo
	s_delay_alu instid0(SALU_CYCLE_1)
	s_or_b32 s11, s11, s27
	s_or_b32 exec_lo, exec_lo, s28
	s_and_saveexec_b32 s27, s11
	s_cbranch_execnz .LBB6_4260
	s_branch .LBB6_4261
.LBB6_4965:                             ;   in Loop: Header=BB6_3759 Depth=2
	s_mov_b32 s11, -1
	s_mov_b32 s29, exec_lo
                                        ; implicit-def: $sgpr27
	v_cmpx_eq_u16_e64 0x80, v183
; %bb.4966:                             ;   in Loop: Header=BB6_3759 Depth=2
	s_mov_b32 s27, 0x7f800001
	s_xor_b32 s11, exec_lo, -1
; %bb.4967:                             ;   in Loop: Header=BB6_3759 Depth=2
	s_or_b32 exec_lo, exec_lo, s29
	s_delay_alu instid0(SALU_CYCLE_1)
	s_and_b32 s11, s11, exec_lo
                                        ; implicit-def: $vgpr183
	s_or_saveexec_b32 s28, s28
	v_mov_b32_e32 v181, s27
	s_xor_b32 exec_lo, exec_lo, s28
	s_cbranch_execz .LBB6_4266
.LBB6_4968:                             ;   in Loop: Header=BB6_3759 Depth=2
	v_cmp_ne_u16_e64 vcc_lo, 0, v183
	v_mov_b32_e32 v181, 0
	s_and_not1_b32 s11, s11, exec_lo
	s_delay_alu instid0(VALU_DEP_2) | instskip(NEXT) | instid1(SALU_CYCLE_1)
	s_and_b32 s27, vcc_lo, exec_lo
	s_or_b32 s11, s11, s27
	s_or_b32 exec_lo, exec_lo, s28
	s_and_saveexec_b32 s27, s11
	s_cbranch_execnz .LBB6_4267
	s_branch .LBB6_4268
.LBB6_4969:                             ;   in Loop: Header=BB6_3759 Depth=2
	s_mov_b32 s11, -1
	s_mov_b32 s29, exec_lo
                                        ; implicit-def: $sgpr27
	v_cmpx_eq_u16_e64 0x80, v183
; %bb.4970:                             ;   in Loop: Header=BB6_3759 Depth=2
	s_mov_b32 s27, 0x7f800001
	s_xor_b32 s11, exec_lo, -1
; %bb.4971:                             ;   in Loop: Header=BB6_3759 Depth=2
	s_or_b32 exec_lo, exec_lo, s29
	s_delay_alu instid0(SALU_CYCLE_1)
	s_and_b32 s11, s11, exec_lo
                                        ; implicit-def: $vgpr183
	s_or_saveexec_b32 s28, s28
	v_mov_b32_e32 v178, s27
	s_xor_b32 exec_lo, exec_lo, s28
	s_cbranch_execz .LBB6_4270
.LBB6_4972:                             ;   in Loop: Header=BB6_3759 Depth=2
	v_cmp_ne_u16_e64 vcc_lo, 0, v183
	v_mov_b32_e32 v178, 0
	s_and_not1_b32 s11, s11, exec_lo
	s_delay_alu instid0(VALU_DEP_2) | instskip(NEXT) | instid1(SALU_CYCLE_1)
	s_and_b32 s27, vcc_lo, exec_lo
	s_or_b32 s11, s11, s27
	s_or_b32 exec_lo, exec_lo, s28
	s_and_saveexec_b32 s27, s11
	s_cbranch_execnz .LBB6_4271
	s_branch .LBB6_4272
.LBB6_4973:                             ;   in Loop: Header=BB6_3759 Depth=2
	s_mov_b32 s11, -1
	s_mov_b32 s29, exec_lo
                                        ; implicit-def: $sgpr27
	v_cmpx_eq_u16_e64 0x80, v181
; %bb.4974:                             ;   in Loop: Header=BB6_3759 Depth=2
	s_mov_b32 s27, 0x7f800001
	s_xor_b32 s11, exec_lo, -1
; %bb.4975:                             ;   in Loop: Header=BB6_3759 Depth=2
	s_or_b32 exec_lo, exec_lo, s29
	s_delay_alu instid0(SALU_CYCLE_1)
	s_and_b32 s11, s11, exec_lo
                                        ; implicit-def: $vgpr181
	s_or_saveexec_b32 s28, s28
	v_mov_b32_e32 v178, s27
	s_xor_b32 exec_lo, exec_lo, s28
	s_cbranch_execz .LBB6_4284
.LBB6_4976:                             ;   in Loop: Header=BB6_3759 Depth=2
	v_cmp_ne_u16_e64 vcc_lo, 0, v181
	v_mov_b32_e32 v178, 0
	s_and_not1_b32 s11, s11, exec_lo
	s_delay_alu instid0(VALU_DEP_2) | instskip(NEXT) | instid1(SALU_CYCLE_1)
	s_and_b32 s27, vcc_lo, exec_lo
	s_or_b32 s11, s11, s27
	s_or_b32 exec_lo, exec_lo, s28
	s_and_saveexec_b32 s27, s11
	s_cbranch_execnz .LBB6_4285
	s_branch .LBB6_4286
.LBB6_4977:                             ;   in Loop: Header=BB6_3759 Depth=2
	s_mov_b32 s11, -1
	s_mov_b32 s29, exec_lo
                                        ; implicit-def: $sgpr27
	v_cmpx_eq_u16_e64 0x80, v183
; %bb.4978:                             ;   in Loop: Header=BB6_3759 Depth=2
	s_mov_b32 s27, 0x7f800001
	s_xor_b32 s11, exec_lo, -1
; %bb.4979:                             ;   in Loop: Header=BB6_3759 Depth=2
	s_or_b32 exec_lo, exec_lo, s29
	s_delay_alu instid0(SALU_CYCLE_1)
	s_and_b32 s11, s11, exec_lo
                                        ; implicit-def: $vgpr183
	s_or_saveexec_b32 s28, s28
	v_mov_b32_e32 v181, s27
	s_xor_b32 exec_lo, exec_lo, s28
	s_cbranch_execz .LBB6_4288
.LBB6_4980:                             ;   in Loop: Header=BB6_3759 Depth=2
	v_cmp_ne_u16_e64 vcc_lo, 0, v183
	v_mov_b32_e32 v181, 0
	s_and_not1_b32 s11, s11, exec_lo
	s_delay_alu instid0(VALU_DEP_2) | instskip(NEXT) | instid1(SALU_CYCLE_1)
	s_and_b32 s27, vcc_lo, exec_lo
	s_or_b32 s11, s11, s27
	s_or_b32 exec_lo, exec_lo, s28
	s_and_saveexec_b32 s27, s11
	s_cbranch_execnz .LBB6_4289
	s_branch .LBB6_4290
.LBB6_4981:                             ;   in Loop: Header=BB6_3759 Depth=2
	s_mov_b32 s11, -1
	s_mov_b32 s29, exec_lo
                                        ; implicit-def: $sgpr27
	v_cmpx_eq_u16_e64 0x80, v181
; %bb.4982:                             ;   in Loop: Header=BB6_3759 Depth=2
	s_mov_b32 s27, 0x7f800001
	s_xor_b32 s11, exec_lo, -1
; %bb.4983:                             ;   in Loop: Header=BB6_3759 Depth=2
	s_or_b32 exec_lo, exec_lo, s29
	s_delay_alu instid0(SALU_CYCLE_1)
	s_and_b32 s11, s11, exec_lo
                                        ; implicit-def: $vgpr181
	s_or_saveexec_b32 s28, s28
	v_mov_b32_e32 v178, s27
	s_xor_b32 exec_lo, exec_lo, s28
	s_cbranch_execz .LBB6_4295
.LBB6_4984:                             ;   in Loop: Header=BB6_3759 Depth=2
	v_cmp_ne_u16_e64 vcc_lo, 0, v181
	v_mov_b32_e32 v178, 0
	s_and_not1_b32 s11, s11, exec_lo
	s_delay_alu instid0(VALU_DEP_2) | instskip(NEXT) | instid1(SALU_CYCLE_1)
	s_and_b32 s27, vcc_lo, exec_lo
	s_or_b32 s11, s11, s27
	s_or_b32 exec_lo, exec_lo, s28
	s_and_saveexec_b32 s27, s11
	s_cbranch_execnz .LBB6_4296
	s_branch .LBB6_4297
.LBB6_4985:                             ;   in Loop: Header=BB6_3759 Depth=2
	s_mov_b32 s11, -1
	s_mov_b32 s29, exec_lo
                                        ; implicit-def: $sgpr27
	v_cmpx_eq_u16_e64 0x80, v181
; %bb.4986:                             ;   in Loop: Header=BB6_3759 Depth=2
	s_mov_b32 s27, 0x7f800001
	s_xor_b32 s11, exec_lo, -1
; %bb.4987:                             ;   in Loop: Header=BB6_3759 Depth=2
	s_or_b32 exec_lo, exec_lo, s29
	s_delay_alu instid0(SALU_CYCLE_1)
	s_and_b32 s11, s11, exec_lo
                                        ; implicit-def: $vgpr181
	s_or_saveexec_b32 s28, s28
	v_mov_b32_e32 v167, s27
	s_xor_b32 exec_lo, exec_lo, s28
	s_cbranch_execz .LBB6_4299
.LBB6_4988:                             ;   in Loop: Header=BB6_3759 Depth=2
	v_cmp_ne_u16_e64 vcc_lo, 0, v181
	v_mov_b32_e32 v167, 0
	s_and_not1_b32 s11, s11, exec_lo
	s_delay_alu instid0(VALU_DEP_2) | instskip(NEXT) | instid1(SALU_CYCLE_1)
	s_and_b32 s27, vcc_lo, exec_lo
	s_or_b32 s11, s11, s27
	s_or_b32 exec_lo, exec_lo, s28
	s_and_saveexec_b32 s27, s11
	s_cbranch_execnz .LBB6_4300
	s_branch .LBB6_4301
.LBB6_4989:                             ;   in Loop: Header=BB6_3759 Depth=2
	s_mov_b32 s11, -1
	s_mov_b32 s29, exec_lo
                                        ; implicit-def: $sgpr27
	v_cmpx_eq_u16_e64 0x80, v178
; %bb.4990:                             ;   in Loop: Header=BB6_3759 Depth=2
	s_mov_b32 s27, 0x7f800001
	s_xor_b32 s11, exec_lo, -1
; %bb.4991:                             ;   in Loop: Header=BB6_3759 Depth=2
	s_or_b32 exec_lo, exec_lo, s29
	s_delay_alu instid0(SALU_CYCLE_1)
	s_and_b32 s11, s11, exec_lo
                                        ; implicit-def: $vgpr178
	s_or_saveexec_b32 s28, s28
	v_mov_b32_e32 v167, s27
	s_xor_b32 exec_lo, exec_lo, s28
	s_cbranch_execz .LBB6_4313
.LBB6_4992:                             ;   in Loop: Header=BB6_3759 Depth=2
	v_cmp_ne_u16_e64 vcc_lo, 0, v178
	v_mov_b32_e32 v167, 0
	s_and_not1_b32 s11, s11, exec_lo
	s_delay_alu instid0(VALU_DEP_2) | instskip(NEXT) | instid1(SALU_CYCLE_1)
	s_and_b32 s27, vcc_lo, exec_lo
	s_or_b32 s11, s11, s27
	s_or_b32 exec_lo, exec_lo, s28
	s_and_saveexec_b32 s27, s11
	s_cbranch_execnz .LBB6_4314
	s_branch .LBB6_4315
.LBB6_4993:                             ;   in Loop: Header=BB6_3759 Depth=2
	s_mov_b32 s11, -1
	s_mov_b32 s29, exec_lo
                                        ; implicit-def: $sgpr27
	v_cmpx_eq_u16_e64 0x80, v181
; %bb.4994:                             ;   in Loop: Header=BB6_3759 Depth=2
	s_mov_b32 s27, 0x7f800001
	s_xor_b32 s11, exec_lo, -1
; %bb.4995:                             ;   in Loop: Header=BB6_3759 Depth=2
	s_or_b32 exec_lo, exec_lo, s29
	s_delay_alu instid0(SALU_CYCLE_1)
	s_and_b32 s11, s11, exec_lo
                                        ; implicit-def: $vgpr181
	s_or_saveexec_b32 s28, s28
	v_mov_b32_e32 v178, s27
	s_xor_b32 exec_lo, exec_lo, s28
	s_cbranch_execz .LBB6_4317
.LBB6_4996:                             ;   in Loop: Header=BB6_3759 Depth=2
	v_cmp_ne_u16_e64 vcc_lo, 0, v181
	v_mov_b32_e32 v178, 0
	s_and_not1_b32 s11, s11, exec_lo
	s_delay_alu instid0(VALU_DEP_2) | instskip(NEXT) | instid1(SALU_CYCLE_1)
	s_and_b32 s27, vcc_lo, exec_lo
	s_or_b32 s11, s11, s27
	s_or_b32 exec_lo, exec_lo, s28
	s_and_saveexec_b32 s27, s11
	s_cbranch_execnz .LBB6_4318
	s_branch .LBB6_4319
.LBB6_4997:                             ;   in Loop: Header=BB6_3759 Depth=2
	s_mov_b32 s11, -1
	s_mov_b32 s29, exec_lo
                                        ; implicit-def: $sgpr27
	v_cmpx_eq_u16_e64 0x80, v178
; %bb.4998:                             ;   in Loop: Header=BB6_3759 Depth=2
	s_mov_b32 s27, 0x7f800001
	s_xor_b32 s11, exec_lo, -1
; %bb.4999:                             ;   in Loop: Header=BB6_3759 Depth=2
	s_or_b32 exec_lo, exec_lo, s29
	s_delay_alu instid0(SALU_CYCLE_1)
	s_and_b32 s11, s11, exec_lo
                                        ; implicit-def: $vgpr178
	s_or_saveexec_b32 s28, s28
	v_mov_b32_e32 v167, s27
	s_xor_b32 exec_lo, exec_lo, s28
	s_cbranch_execz .LBB6_4324
.LBB6_5000:                             ;   in Loop: Header=BB6_3759 Depth=2
	v_cmp_ne_u16_e64 vcc_lo, 0, v178
	v_mov_b32_e32 v167, 0
	s_and_not1_b32 s11, s11, exec_lo
	s_delay_alu instid0(VALU_DEP_2) | instskip(NEXT) | instid1(SALU_CYCLE_1)
	s_and_b32 s27, vcc_lo, exec_lo
	s_or_b32 s11, s11, s27
	s_or_b32 exec_lo, exec_lo, s28
	s_and_saveexec_b32 s27, s11
	s_cbranch_execnz .LBB6_4325
	s_branch .LBB6_4326
.LBB6_5001:                             ;   in Loop: Header=BB6_3759 Depth=2
	s_mov_b32 s11, -1
	s_mov_b32 s29, exec_lo
                                        ; implicit-def: $sgpr27
	v_cmpx_eq_u16_e64 0x80, v178
; %bb.5002:                             ;   in Loop: Header=BB6_3759 Depth=2
	s_mov_b32 s27, 0x7f800001
	s_xor_b32 s11, exec_lo, -1
; %bb.5003:                             ;   in Loop: Header=BB6_3759 Depth=2
	s_or_b32 exec_lo, exec_lo, s29
	s_delay_alu instid0(SALU_CYCLE_1)
	s_and_b32 s11, s11, exec_lo
                                        ; implicit-def: $vgpr178
	s_or_saveexec_b32 s28, s28
	v_mov_b32_e32 v164, s27
	s_xor_b32 exec_lo, exec_lo, s28
	s_cbranch_execz .LBB6_4328
.LBB6_5004:                             ;   in Loop: Header=BB6_3759 Depth=2
	v_cmp_ne_u16_e64 vcc_lo, 0, v178
	v_mov_b32_e32 v164, 0
	s_and_not1_b32 s11, s11, exec_lo
	s_delay_alu instid0(VALU_DEP_2) | instskip(NEXT) | instid1(SALU_CYCLE_1)
	s_and_b32 s27, vcc_lo, exec_lo
	s_or_b32 s11, s11, s27
	s_or_b32 exec_lo, exec_lo, s28
	s_and_saveexec_b32 s27, s11
	s_cbranch_execnz .LBB6_4329
	s_branch .LBB6_4330
.LBB6_5005:                             ;   in Loop: Header=BB6_3759 Depth=2
	s_mov_b32 s11, -1
	s_mov_b32 s29, exec_lo
                                        ; implicit-def: $sgpr27
	v_cmpx_eq_u16_e64 0x80, v167
; %bb.5006:                             ;   in Loop: Header=BB6_3759 Depth=2
	s_mov_b32 s27, 0x7f800001
	s_xor_b32 s11, exec_lo, -1
; %bb.5007:                             ;   in Loop: Header=BB6_3759 Depth=2
	s_or_b32 exec_lo, exec_lo, s29
	s_delay_alu instid0(SALU_CYCLE_1)
	s_and_b32 s11, s11, exec_lo
                                        ; implicit-def: $vgpr167
	s_or_saveexec_b32 s28, s28
	v_mov_b32_e32 v164, s27
	s_xor_b32 exec_lo, exec_lo, s28
	s_cbranch_execz .LBB6_4342
.LBB6_5008:                             ;   in Loop: Header=BB6_3759 Depth=2
	v_cmp_ne_u16_e64 vcc_lo, 0, v167
	v_mov_b32_e32 v164, 0
	s_and_not1_b32 s11, s11, exec_lo
	s_delay_alu instid0(VALU_DEP_2) | instskip(NEXT) | instid1(SALU_CYCLE_1)
	s_and_b32 s27, vcc_lo, exec_lo
	s_or_b32 s11, s11, s27
	s_or_b32 exec_lo, exec_lo, s28
	s_and_saveexec_b32 s27, s11
	s_cbranch_execnz .LBB6_4343
	s_branch .LBB6_4344
.LBB6_5009:                             ;   in Loop: Header=BB6_3759 Depth=2
	s_mov_b32 s11, -1
	s_mov_b32 s29, exec_lo
                                        ; implicit-def: $sgpr27
	v_cmpx_eq_u16_e64 0x80, v178
; %bb.5010:                             ;   in Loop: Header=BB6_3759 Depth=2
	s_mov_b32 s27, 0x7f800001
	s_xor_b32 s11, exec_lo, -1
; %bb.5011:                             ;   in Loop: Header=BB6_3759 Depth=2
	s_or_b32 exec_lo, exec_lo, s29
	s_delay_alu instid0(SALU_CYCLE_1)
	s_and_b32 s11, s11, exec_lo
                                        ; implicit-def: $vgpr178
	s_or_saveexec_b32 s28, s28
	v_mov_b32_e32 v167, s27
	s_xor_b32 exec_lo, exec_lo, s28
	s_cbranch_execz .LBB6_4346
.LBB6_5012:                             ;   in Loop: Header=BB6_3759 Depth=2
	v_cmp_ne_u16_e64 vcc_lo, 0, v178
	v_mov_b32_e32 v167, 0
	s_and_not1_b32 s11, s11, exec_lo
	s_delay_alu instid0(VALU_DEP_2) | instskip(NEXT) | instid1(SALU_CYCLE_1)
	s_and_b32 s27, vcc_lo, exec_lo
	s_or_b32 s11, s11, s27
	s_or_b32 exec_lo, exec_lo, s28
	s_and_saveexec_b32 s27, s11
	s_cbranch_execnz .LBB6_4347
	s_branch .LBB6_4348
.LBB6_5013:                             ;   in Loop: Header=BB6_3759 Depth=2
	s_mov_b32 s11, -1
	s_mov_b32 s29, exec_lo
                                        ; implicit-def: $sgpr27
	v_cmpx_eq_u16_e64 0x80, v167
; %bb.5014:                             ;   in Loop: Header=BB6_3759 Depth=2
	s_mov_b32 s27, 0x7f800001
	s_xor_b32 s11, exec_lo, -1
; %bb.5015:                             ;   in Loop: Header=BB6_3759 Depth=2
	s_or_b32 exec_lo, exec_lo, s29
	s_delay_alu instid0(SALU_CYCLE_1)
	s_and_b32 s11, s11, exec_lo
                                        ; implicit-def: $vgpr167
	s_or_saveexec_b32 s28, s28
	v_mov_b32_e32 v164, s27
	s_xor_b32 exec_lo, exec_lo, s28
	s_cbranch_execz .LBB6_4353
.LBB6_5016:                             ;   in Loop: Header=BB6_3759 Depth=2
	v_cmp_ne_u16_e64 vcc_lo, 0, v167
	v_mov_b32_e32 v164, 0
	s_and_not1_b32 s11, s11, exec_lo
	s_delay_alu instid0(VALU_DEP_2) | instskip(NEXT) | instid1(SALU_CYCLE_1)
	s_and_b32 s27, vcc_lo, exec_lo
	s_or_b32 s11, s11, s27
	s_or_b32 exec_lo, exec_lo, s28
	s_and_saveexec_b32 s27, s11
	s_cbranch_execnz .LBB6_4354
	s_branch .LBB6_4355
.LBB6_5017:                             ;   in Loop: Header=BB6_3759 Depth=2
	s_mov_b32 s11, -1
	s_mov_b32 s29, exec_lo
                                        ; implicit-def: $sgpr27
	v_cmpx_eq_u16_e64 0x80, v167
; %bb.5018:                             ;   in Loop: Header=BB6_3759 Depth=2
	s_mov_b32 s27, 0x7f800001
	s_xor_b32 s11, exec_lo, -1
; %bb.5019:                             ;   in Loop: Header=BB6_3759 Depth=2
	s_or_b32 exec_lo, exec_lo, s29
	s_delay_alu instid0(SALU_CYCLE_1)
	s_and_b32 s11, s11, exec_lo
                                        ; implicit-def: $vgpr167
	s_or_saveexec_b32 s28, s28
	v_mov_b32_e32 v161, s27
	s_xor_b32 exec_lo, exec_lo, s28
	s_cbranch_execz .LBB6_4357
.LBB6_5020:                             ;   in Loop: Header=BB6_3759 Depth=2
	v_cmp_ne_u16_e64 vcc_lo, 0, v167
	v_mov_b32_e32 v161, 0
	s_and_not1_b32 s11, s11, exec_lo
	s_delay_alu instid0(VALU_DEP_2) | instskip(NEXT) | instid1(SALU_CYCLE_1)
	s_and_b32 s27, vcc_lo, exec_lo
	s_or_b32 s11, s11, s27
	s_or_b32 exec_lo, exec_lo, s28
	s_and_saveexec_b32 s27, s11
	s_cbranch_execnz .LBB6_4358
	s_branch .LBB6_4359
.LBB6_5021:                             ;   in Loop: Header=BB6_3759 Depth=2
	s_mov_b32 s11, -1
	s_mov_b32 s29, exec_lo
                                        ; implicit-def: $sgpr27
	v_cmpx_eq_u16_e64 0x80, v164
; %bb.5022:                             ;   in Loop: Header=BB6_3759 Depth=2
	s_mov_b32 s27, 0x7f800001
	s_xor_b32 s11, exec_lo, -1
; %bb.5023:                             ;   in Loop: Header=BB6_3759 Depth=2
	s_or_b32 exec_lo, exec_lo, s29
	s_delay_alu instid0(SALU_CYCLE_1)
	s_and_b32 s11, s11, exec_lo
                                        ; implicit-def: $vgpr164
	s_or_saveexec_b32 s28, s28
	v_mov_b32_e32 v161, s27
	s_xor_b32 exec_lo, exec_lo, s28
	s_cbranch_execz .LBB6_4371
.LBB6_5024:                             ;   in Loop: Header=BB6_3759 Depth=2
	v_cmp_ne_u16_e64 vcc_lo, 0, v164
	v_mov_b32_e32 v161, 0
	s_and_not1_b32 s11, s11, exec_lo
	s_delay_alu instid0(VALU_DEP_2) | instskip(NEXT) | instid1(SALU_CYCLE_1)
	s_and_b32 s27, vcc_lo, exec_lo
	s_or_b32 s11, s11, s27
	s_or_b32 exec_lo, exec_lo, s28
	s_and_saveexec_b32 s27, s11
	s_cbranch_execnz .LBB6_4372
	s_branch .LBB6_4373
.LBB6_5025:                             ;   in Loop: Header=BB6_3759 Depth=2
	s_mov_b32 s11, -1
	s_mov_b32 s29, exec_lo
                                        ; implicit-def: $sgpr27
	v_cmpx_eq_u16_e64 0x80, v167
; %bb.5026:                             ;   in Loop: Header=BB6_3759 Depth=2
	s_mov_b32 s27, 0x7f800001
	s_xor_b32 s11, exec_lo, -1
; %bb.5027:                             ;   in Loop: Header=BB6_3759 Depth=2
	s_or_b32 exec_lo, exec_lo, s29
	s_delay_alu instid0(SALU_CYCLE_1)
	s_and_b32 s11, s11, exec_lo
                                        ; implicit-def: $vgpr167
	s_or_saveexec_b32 s28, s28
	v_mov_b32_e32 v164, s27
	s_xor_b32 exec_lo, exec_lo, s28
	s_cbranch_execz .LBB6_4375
.LBB6_5028:                             ;   in Loop: Header=BB6_3759 Depth=2
	v_cmp_ne_u16_e64 vcc_lo, 0, v167
	v_mov_b32_e32 v164, 0
	s_and_not1_b32 s11, s11, exec_lo
	s_delay_alu instid0(VALU_DEP_2) | instskip(NEXT) | instid1(SALU_CYCLE_1)
	s_and_b32 s27, vcc_lo, exec_lo
	s_or_b32 s11, s11, s27
	s_or_b32 exec_lo, exec_lo, s28
	s_and_saveexec_b32 s27, s11
	s_cbranch_execnz .LBB6_4376
	s_branch .LBB6_4377
.LBB6_5029:                             ;   in Loop: Header=BB6_3759 Depth=2
	s_mov_b32 s11, -1
	s_mov_b32 s29, exec_lo
                                        ; implicit-def: $sgpr27
	v_cmpx_eq_u16_e64 0x80, v164
; %bb.5030:                             ;   in Loop: Header=BB6_3759 Depth=2
	s_mov_b32 s27, 0x7f800001
	s_xor_b32 s11, exec_lo, -1
; %bb.5031:                             ;   in Loop: Header=BB6_3759 Depth=2
	s_or_b32 exec_lo, exec_lo, s29
	s_delay_alu instid0(SALU_CYCLE_1)
	s_and_b32 s11, s11, exec_lo
                                        ; implicit-def: $vgpr164
	s_or_saveexec_b32 s28, s28
	v_mov_b32_e32 v161, s27
	s_xor_b32 exec_lo, exec_lo, s28
	s_cbranch_execz .LBB6_4382
.LBB6_5032:                             ;   in Loop: Header=BB6_3759 Depth=2
	v_cmp_ne_u16_e64 vcc_lo, 0, v164
	v_mov_b32_e32 v161, 0
	s_and_not1_b32 s11, s11, exec_lo
	s_delay_alu instid0(VALU_DEP_2) | instskip(NEXT) | instid1(SALU_CYCLE_1)
	s_and_b32 s27, vcc_lo, exec_lo
	s_or_b32 s11, s11, s27
	s_or_b32 exec_lo, exec_lo, s28
	s_and_saveexec_b32 s27, s11
	s_cbranch_execnz .LBB6_4383
	s_branch .LBB6_4384
.LBB6_5033:                             ;   in Loop: Header=BB6_3759 Depth=2
	s_mov_b32 s11, -1
	s_mov_b32 s29, exec_lo
                                        ; implicit-def: $sgpr27
	v_cmpx_eq_u16_e64 0x80, v164
; %bb.5034:                             ;   in Loop: Header=BB6_3759 Depth=2
	s_mov_b32 s27, 0x7f800001
	s_xor_b32 s11, exec_lo, -1
; %bb.5035:                             ;   in Loop: Header=BB6_3759 Depth=2
	s_or_b32 exec_lo, exec_lo, s29
	s_delay_alu instid0(SALU_CYCLE_1)
	s_and_b32 s11, s11, exec_lo
                                        ; implicit-def: $vgpr164
	s_or_saveexec_b32 s28, s28
	v_mov_b32_e32 v150, s27
	s_xor_b32 exec_lo, exec_lo, s28
	s_cbranch_execz .LBB6_4386
.LBB6_5036:                             ;   in Loop: Header=BB6_3759 Depth=2
	v_cmp_ne_u16_e64 vcc_lo, 0, v164
	v_mov_b32_e32 v150, 0
	s_and_not1_b32 s11, s11, exec_lo
	s_delay_alu instid0(VALU_DEP_2) | instskip(NEXT) | instid1(SALU_CYCLE_1)
	s_and_b32 s27, vcc_lo, exec_lo
	s_or_b32 s11, s11, s27
	s_or_b32 exec_lo, exec_lo, s28
	s_and_saveexec_b32 s27, s11
	s_cbranch_execnz .LBB6_4387
	s_branch .LBB6_4388
.LBB6_5037:                             ;   in Loop: Header=BB6_3759 Depth=2
	s_mov_b32 s11, -1
	s_mov_b32 s29, exec_lo
                                        ; implicit-def: $sgpr27
	v_cmpx_eq_u16_e64 0x80, v161
; %bb.5038:                             ;   in Loop: Header=BB6_3759 Depth=2
	s_mov_b32 s27, 0x7f800001
	s_xor_b32 s11, exec_lo, -1
; %bb.5039:                             ;   in Loop: Header=BB6_3759 Depth=2
	s_or_b32 exec_lo, exec_lo, s29
	s_delay_alu instid0(SALU_CYCLE_1)
	s_and_b32 s11, s11, exec_lo
                                        ; implicit-def: $vgpr161
	s_or_saveexec_b32 s28, s28
	v_mov_b32_e32 v150, s27
	s_xor_b32 exec_lo, exec_lo, s28
	s_cbranch_execz .LBB6_4400
.LBB6_5040:                             ;   in Loop: Header=BB6_3759 Depth=2
	v_cmp_ne_u16_e64 vcc_lo, 0, v161
	v_mov_b32_e32 v150, 0
	s_and_not1_b32 s11, s11, exec_lo
	s_delay_alu instid0(VALU_DEP_2) | instskip(NEXT) | instid1(SALU_CYCLE_1)
	s_and_b32 s27, vcc_lo, exec_lo
	s_or_b32 s11, s11, s27
	s_or_b32 exec_lo, exec_lo, s28
	s_and_saveexec_b32 s27, s11
	s_cbranch_execnz .LBB6_4401
	s_branch .LBB6_4402
.LBB6_5041:                             ;   in Loop: Header=BB6_3759 Depth=2
	s_mov_b32 s11, -1
	s_mov_b32 s29, exec_lo
                                        ; implicit-def: $sgpr27
	v_cmpx_eq_u16_e64 0x80, v164
; %bb.5042:                             ;   in Loop: Header=BB6_3759 Depth=2
	s_mov_b32 s27, 0x7f800001
	s_xor_b32 s11, exec_lo, -1
; %bb.5043:                             ;   in Loop: Header=BB6_3759 Depth=2
	s_or_b32 exec_lo, exec_lo, s29
	s_delay_alu instid0(SALU_CYCLE_1)
	s_and_b32 s11, s11, exec_lo
                                        ; implicit-def: $vgpr164
	s_or_saveexec_b32 s28, s28
	v_mov_b32_e32 v161, s27
	s_xor_b32 exec_lo, exec_lo, s28
	s_cbranch_execz .LBB6_4404
.LBB6_5044:                             ;   in Loop: Header=BB6_3759 Depth=2
	v_cmp_ne_u16_e64 vcc_lo, 0, v164
	v_mov_b32_e32 v161, 0
	s_and_not1_b32 s11, s11, exec_lo
	s_delay_alu instid0(VALU_DEP_2) | instskip(NEXT) | instid1(SALU_CYCLE_1)
	s_and_b32 s27, vcc_lo, exec_lo
	s_or_b32 s11, s11, s27
	s_or_b32 exec_lo, exec_lo, s28
	s_and_saveexec_b32 s27, s11
	s_cbranch_execnz .LBB6_4405
	s_branch .LBB6_4406
.LBB6_5045:                             ;   in Loop: Header=BB6_3759 Depth=2
	s_mov_b32 s11, -1
	s_mov_b32 s29, exec_lo
                                        ; implicit-def: $sgpr27
	v_cmpx_eq_u16_e64 0x80, v161
; %bb.5046:                             ;   in Loop: Header=BB6_3759 Depth=2
	s_mov_b32 s27, 0x7f800001
	s_xor_b32 s11, exec_lo, -1
; %bb.5047:                             ;   in Loop: Header=BB6_3759 Depth=2
	s_or_b32 exec_lo, exec_lo, s29
	s_delay_alu instid0(SALU_CYCLE_1)
	s_and_b32 s11, s11, exec_lo
                                        ; implicit-def: $vgpr161
	s_or_saveexec_b32 s28, s28
	v_mov_b32_e32 v150, s27
	s_xor_b32 exec_lo, exec_lo, s28
	s_cbranch_execz .LBB6_4411
.LBB6_5048:                             ;   in Loop: Header=BB6_3759 Depth=2
	v_cmp_ne_u16_e64 vcc_lo, 0, v161
	v_mov_b32_e32 v150, 0
	s_and_not1_b32 s11, s11, exec_lo
	s_delay_alu instid0(VALU_DEP_2) | instskip(NEXT) | instid1(SALU_CYCLE_1)
	s_and_b32 s27, vcc_lo, exec_lo
	s_or_b32 s11, s11, s27
	s_or_b32 exec_lo, exec_lo, s28
	s_and_saveexec_b32 s27, s11
	s_cbranch_execnz .LBB6_4412
	s_branch .LBB6_4413
.LBB6_5049:                             ;   in Loop: Header=BB6_3759 Depth=2
	s_mov_b32 s11, -1
	s_mov_b32 s29, exec_lo
                                        ; implicit-def: $sgpr27
	v_cmpx_eq_u16_e64 0x80, v161
; %bb.5050:                             ;   in Loop: Header=BB6_3759 Depth=2
	s_mov_b32 s27, 0x7f800001
	s_xor_b32 s11, exec_lo, -1
; %bb.5051:                             ;   in Loop: Header=BB6_3759 Depth=2
	s_or_b32 exec_lo, exec_lo, s29
	s_delay_alu instid0(SALU_CYCLE_1)
	s_and_b32 s11, s11, exec_lo
                                        ; implicit-def: $vgpr161
	s_or_saveexec_b32 s28, s28
	v_mov_b32_e32 v147, s27
	s_xor_b32 exec_lo, exec_lo, s28
	s_cbranch_execz .LBB6_4415
.LBB6_5052:                             ;   in Loop: Header=BB6_3759 Depth=2
	v_cmp_ne_u16_e64 vcc_lo, 0, v161
	v_mov_b32_e32 v147, 0
	s_and_not1_b32 s11, s11, exec_lo
	s_delay_alu instid0(VALU_DEP_2) | instskip(NEXT) | instid1(SALU_CYCLE_1)
	s_and_b32 s27, vcc_lo, exec_lo
	s_or_b32 s11, s11, s27
	s_or_b32 exec_lo, exec_lo, s28
	s_and_saveexec_b32 s27, s11
	s_cbranch_execnz .LBB6_4416
	s_branch .LBB6_4417
.LBB6_5053:                             ;   in Loop: Header=BB6_3759 Depth=2
	s_mov_b32 s11, -1
	s_mov_b32 s29, exec_lo
                                        ; implicit-def: $sgpr27
	v_cmpx_eq_u16_e64 0x80, v150
; %bb.5054:                             ;   in Loop: Header=BB6_3759 Depth=2
	s_mov_b32 s27, 0x7f800001
	s_xor_b32 s11, exec_lo, -1
; %bb.5055:                             ;   in Loop: Header=BB6_3759 Depth=2
	s_or_b32 exec_lo, exec_lo, s29
	s_delay_alu instid0(SALU_CYCLE_1)
	s_and_b32 s11, s11, exec_lo
                                        ; implicit-def: $vgpr150
	s_or_saveexec_b32 s28, s28
	v_mov_b32_e32 v147, s27
	s_xor_b32 exec_lo, exec_lo, s28
	s_cbranch_execz .LBB6_4429
.LBB6_5056:                             ;   in Loop: Header=BB6_3759 Depth=2
	v_cmp_ne_u16_e64 vcc_lo, 0, v150
	v_mov_b32_e32 v147, 0
	s_and_not1_b32 s11, s11, exec_lo
	s_delay_alu instid0(VALU_DEP_2) | instskip(NEXT) | instid1(SALU_CYCLE_1)
	s_and_b32 s27, vcc_lo, exec_lo
	s_or_b32 s11, s11, s27
	s_or_b32 exec_lo, exec_lo, s28
	s_and_saveexec_b32 s27, s11
	s_cbranch_execnz .LBB6_4430
	s_branch .LBB6_4431
.LBB6_5057:                             ;   in Loop: Header=BB6_3759 Depth=2
	s_mov_b32 s11, -1
	s_mov_b32 s29, exec_lo
                                        ; implicit-def: $sgpr27
	v_cmpx_eq_u16_e64 0x80, v161
; %bb.5058:                             ;   in Loop: Header=BB6_3759 Depth=2
	s_mov_b32 s27, 0x7f800001
	s_xor_b32 s11, exec_lo, -1
; %bb.5059:                             ;   in Loop: Header=BB6_3759 Depth=2
	s_or_b32 exec_lo, exec_lo, s29
	s_delay_alu instid0(SALU_CYCLE_1)
	s_and_b32 s11, s11, exec_lo
                                        ; implicit-def: $vgpr161
	s_or_saveexec_b32 s28, s28
	v_mov_b32_e32 v150, s27
	s_xor_b32 exec_lo, exec_lo, s28
	s_cbranch_execz .LBB6_4433
.LBB6_5060:                             ;   in Loop: Header=BB6_3759 Depth=2
	v_cmp_ne_u16_e64 vcc_lo, 0, v161
	v_mov_b32_e32 v150, 0
	s_and_not1_b32 s11, s11, exec_lo
	s_delay_alu instid0(VALU_DEP_2) | instskip(NEXT) | instid1(SALU_CYCLE_1)
	s_and_b32 s27, vcc_lo, exec_lo
	s_or_b32 s11, s11, s27
	s_or_b32 exec_lo, exec_lo, s28
	s_and_saveexec_b32 s27, s11
	s_cbranch_execnz .LBB6_4434
	s_branch .LBB6_4435
.LBB6_5061:                             ;   in Loop: Header=BB6_3759 Depth=2
	s_mov_b32 s11, -1
	s_mov_b32 s29, exec_lo
                                        ; implicit-def: $sgpr27
	v_cmpx_eq_u16_e64 0x80, v150
; %bb.5062:                             ;   in Loop: Header=BB6_3759 Depth=2
	s_mov_b32 s27, 0x7f800001
	s_xor_b32 s11, exec_lo, -1
; %bb.5063:                             ;   in Loop: Header=BB6_3759 Depth=2
	s_or_b32 exec_lo, exec_lo, s29
	s_delay_alu instid0(SALU_CYCLE_1)
	s_and_b32 s11, s11, exec_lo
                                        ; implicit-def: $vgpr150
	s_or_saveexec_b32 s28, s28
	v_mov_b32_e32 v147, s27
	s_xor_b32 exec_lo, exec_lo, s28
	s_cbranch_execz .LBB6_4440
.LBB6_5064:                             ;   in Loop: Header=BB6_3759 Depth=2
	v_cmp_ne_u16_e64 vcc_lo, 0, v150
	v_mov_b32_e32 v147, 0
	s_and_not1_b32 s11, s11, exec_lo
	s_delay_alu instid0(VALU_DEP_2) | instskip(NEXT) | instid1(SALU_CYCLE_1)
	s_and_b32 s27, vcc_lo, exec_lo
	s_or_b32 s11, s11, s27
	s_or_b32 exec_lo, exec_lo, s28
	s_and_saveexec_b32 s27, s11
	s_cbranch_execnz .LBB6_4441
	s_branch .LBB6_4442
.LBB6_5065:                             ;   in Loop: Header=BB6_3759 Depth=2
	s_mov_b32 s11, -1
	s_mov_b32 s29, exec_lo
                                        ; implicit-def: $sgpr27
	v_cmpx_eq_u16_e64 0x80, v150
; %bb.5066:                             ;   in Loop: Header=BB6_3759 Depth=2
	s_mov_b32 s27, 0x7f800001
	s_xor_b32 s11, exec_lo, -1
; %bb.5067:                             ;   in Loop: Header=BB6_3759 Depth=2
	s_or_b32 exec_lo, exec_lo, s29
	s_delay_alu instid0(SALU_CYCLE_1)
	s_and_b32 s11, s11, exec_lo
                                        ; implicit-def: $vgpr150
	s_or_saveexec_b32 s28, s28
	v_mov_b32_e32 v101, s27
	s_xor_b32 exec_lo, exec_lo, s28
	s_cbranch_execz .LBB6_4444
.LBB6_5068:                             ;   in Loop: Header=BB6_3759 Depth=2
	v_cmp_ne_u16_e64 vcc_lo, 0, v150
	v_mov_b32_e32 v101, 0
	s_and_not1_b32 s11, s11, exec_lo
	s_delay_alu instid0(VALU_DEP_2) | instskip(NEXT) | instid1(SALU_CYCLE_1)
	s_and_b32 s27, vcc_lo, exec_lo
	s_or_b32 s11, s11, s27
	s_or_b32 exec_lo, exec_lo, s28
	s_and_saveexec_b32 s27, s11
	s_cbranch_execnz .LBB6_4445
	s_branch .LBB6_4446
.LBB6_5069:                             ;   in Loop: Header=BB6_3759 Depth=2
	s_mov_b32 s11, -1
	s_mov_b32 s29, exec_lo
                                        ; implicit-def: $sgpr27
	v_cmpx_eq_u16_e64 0x80, v147
; %bb.5070:                             ;   in Loop: Header=BB6_3759 Depth=2
	s_mov_b32 s27, 0x7f800001
	s_xor_b32 s11, exec_lo, -1
; %bb.5071:                             ;   in Loop: Header=BB6_3759 Depth=2
	s_or_b32 exec_lo, exec_lo, s29
	s_delay_alu instid0(SALU_CYCLE_1)
	s_and_b32 s11, s11, exec_lo
                                        ; implicit-def: $vgpr147
	s_or_saveexec_b32 s28, s28
	v_mov_b32_e32 v101, s27
	s_xor_b32 exec_lo, exec_lo, s28
	s_cbranch_execz .LBB6_4458
.LBB6_5072:                             ;   in Loop: Header=BB6_3759 Depth=2
	v_cmp_ne_u16_e64 vcc_lo, 0, v147
	v_mov_b32_e32 v101, 0
	s_and_not1_b32 s11, s11, exec_lo
	s_delay_alu instid0(VALU_DEP_2) | instskip(NEXT) | instid1(SALU_CYCLE_1)
	s_and_b32 s27, vcc_lo, exec_lo
	s_or_b32 s11, s11, s27
	s_or_b32 exec_lo, exec_lo, s28
	s_and_saveexec_b32 s27, s11
	s_cbranch_execnz .LBB6_4459
	s_branch .LBB6_4460
.LBB6_5073:                             ;   in Loop: Header=BB6_3759 Depth=2
	s_mov_b32 s11, -1
	s_mov_b32 s29, exec_lo
                                        ; implicit-def: $sgpr27
	v_cmpx_eq_u16_e64 0x80, v150
; %bb.5074:                             ;   in Loop: Header=BB6_3759 Depth=2
	s_mov_b32 s27, 0x7f800001
	s_xor_b32 s11, exec_lo, -1
; %bb.5075:                             ;   in Loop: Header=BB6_3759 Depth=2
	s_or_b32 exec_lo, exec_lo, s29
	s_delay_alu instid0(SALU_CYCLE_1)
	s_and_b32 s11, s11, exec_lo
                                        ; implicit-def: $vgpr150
	s_or_saveexec_b32 s28, s28
	v_mov_b32_e32 v147, s27
	s_xor_b32 exec_lo, exec_lo, s28
	s_cbranch_execz .LBB6_4462
.LBB6_5076:                             ;   in Loop: Header=BB6_3759 Depth=2
	v_cmp_ne_u16_e64 vcc_lo, 0, v150
	v_mov_b32_e32 v147, 0
	s_and_not1_b32 s11, s11, exec_lo
	s_delay_alu instid0(VALU_DEP_2) | instskip(NEXT) | instid1(SALU_CYCLE_1)
	s_and_b32 s27, vcc_lo, exec_lo
	s_or_b32 s11, s11, s27
	s_or_b32 exec_lo, exec_lo, s28
	s_and_saveexec_b32 s27, s11
	s_cbranch_execnz .LBB6_4463
	s_branch .LBB6_4464
.LBB6_5077:                             ;   in Loop: Header=BB6_3759 Depth=2
	s_mov_b32 s11, -1
	s_mov_b32 s29, exec_lo
                                        ; implicit-def: $sgpr27
	v_cmpx_eq_u16_e64 0x80, v147
; %bb.5078:                             ;   in Loop: Header=BB6_3759 Depth=2
	s_mov_b32 s27, 0x7f800001
	s_xor_b32 s11, exec_lo, -1
; %bb.5079:                             ;   in Loop: Header=BB6_3759 Depth=2
	s_or_b32 exec_lo, exec_lo, s29
	s_delay_alu instid0(SALU_CYCLE_1)
	s_and_b32 s11, s11, exec_lo
                                        ; implicit-def: $vgpr147
	s_or_saveexec_b32 s28, s28
	v_mov_b32_e32 v101, s27
	s_xor_b32 exec_lo, exec_lo, s28
	s_cbranch_execz .LBB6_4469
.LBB6_5080:                             ;   in Loop: Header=BB6_3759 Depth=2
	v_cmp_ne_u16_e64 vcc_lo, 0, v147
	v_mov_b32_e32 v101, 0
	s_and_not1_b32 s11, s11, exec_lo
	s_delay_alu instid0(VALU_DEP_2) | instskip(NEXT) | instid1(SALU_CYCLE_1)
	s_and_b32 s27, vcc_lo, exec_lo
	s_or_b32 s11, s11, s27
	s_or_b32 exec_lo, exec_lo, s28
	s_and_saveexec_b32 s27, s11
	s_cbranch_execnz .LBB6_4470
	s_branch .LBB6_4471
.LBB6_5081:                             ;   in Loop: Header=BB6_3759 Depth=2
	s_mov_b32 s11, -1
	s_mov_b32 s29, exec_lo
                                        ; implicit-def: $sgpr27
	v_cmpx_eq_u16_e64 0x80, v147
; %bb.5082:                             ;   in Loop: Header=BB6_3759 Depth=2
	s_mov_b32 s27, 0x7f800001
	s_xor_b32 s11, exec_lo, -1
; %bb.5083:                             ;   in Loop: Header=BB6_3759 Depth=2
	s_or_b32 exec_lo, exec_lo, s29
	s_delay_alu instid0(SALU_CYCLE_1)
	s_and_b32 s11, s11, exec_lo
                                        ; implicit-def: $vgpr147
	s_or_saveexec_b32 s28, s28
	v_mov_b32_e32 v98, s27
	s_xor_b32 exec_lo, exec_lo, s28
	s_cbranch_execz .LBB6_4473
.LBB6_5084:                             ;   in Loop: Header=BB6_3759 Depth=2
	v_cmp_ne_u16_e64 vcc_lo, 0, v147
	v_mov_b32_e32 v98, 0
	s_and_not1_b32 s11, s11, exec_lo
	s_delay_alu instid0(VALU_DEP_2) | instskip(NEXT) | instid1(SALU_CYCLE_1)
	s_and_b32 s27, vcc_lo, exec_lo
	s_or_b32 s11, s11, s27
	s_or_b32 exec_lo, exec_lo, s28
	s_and_saveexec_b32 s27, s11
	s_cbranch_execnz .LBB6_4474
	s_branch .LBB6_4475
.LBB6_5085:                             ;   in Loop: Header=BB6_3759 Depth=2
	s_mov_b32 s11, -1
	s_mov_b32 s29, exec_lo
                                        ; implicit-def: $sgpr27
	v_cmpx_eq_u16_e32 0x80, v101
; %bb.5086:                             ;   in Loop: Header=BB6_3759 Depth=2
	s_mov_b32 s27, 0x7f800001
	s_xor_b32 s11, exec_lo, -1
; %bb.5087:                             ;   in Loop: Header=BB6_3759 Depth=2
	s_or_b32 exec_lo, exec_lo, s29
	s_delay_alu instid0(SALU_CYCLE_1)
	s_and_b32 s11, s11, exec_lo
                                        ; implicit-def: $vgpr101
	s_or_saveexec_b32 s28, s28
	v_mov_b32_e32 v98, s27
	s_xor_b32 exec_lo, exec_lo, s28
	s_cbranch_execz .LBB6_4487
.LBB6_5088:                             ;   in Loop: Header=BB6_3759 Depth=2
	v_cmp_ne_u16_e32 vcc_lo, 0, v101
	v_mov_b32_e32 v98, 0
	s_and_not1_b32 s11, s11, exec_lo
	s_and_b32 s27, vcc_lo, exec_lo
	s_delay_alu instid0(SALU_CYCLE_1)
	s_or_b32 s11, s11, s27
	s_or_b32 exec_lo, exec_lo, s28
	s_and_saveexec_b32 s27, s11
	s_cbranch_execnz .LBB6_4488
	s_branch .LBB6_4489
.LBB6_5089:                             ;   in Loop: Header=BB6_3759 Depth=2
	s_mov_b32 s11, -1
	s_mov_b32 s29, exec_lo
                                        ; implicit-def: $sgpr27
	v_cmpx_eq_u16_e64 0x80, v147
; %bb.5090:                             ;   in Loop: Header=BB6_3759 Depth=2
	s_mov_b32 s27, 0x7f800001
	s_xor_b32 s11, exec_lo, -1
; %bb.5091:                             ;   in Loop: Header=BB6_3759 Depth=2
	s_or_b32 exec_lo, exec_lo, s29
	s_delay_alu instid0(SALU_CYCLE_1)
	s_and_b32 s11, s11, exec_lo
                                        ; implicit-def: $vgpr147
	s_or_saveexec_b32 s28, s28
	v_mov_b32_e32 v101, s27
	s_xor_b32 exec_lo, exec_lo, s28
	s_cbranch_execz .LBB6_4491
.LBB6_5092:                             ;   in Loop: Header=BB6_3759 Depth=2
	v_cmp_ne_u16_e64 vcc_lo, 0, v147
	v_mov_b32_e32 v101, 0
	s_and_not1_b32 s11, s11, exec_lo
	s_delay_alu instid0(VALU_DEP_2) | instskip(NEXT) | instid1(SALU_CYCLE_1)
	s_and_b32 s27, vcc_lo, exec_lo
	s_or_b32 s11, s11, s27
	s_or_b32 exec_lo, exec_lo, s28
	s_and_saveexec_b32 s27, s11
	s_cbranch_execnz .LBB6_4492
	s_branch .LBB6_4493
.LBB6_5093:                             ;   in Loop: Header=BB6_3759 Depth=2
	s_mov_b32 s11, -1
	s_mov_b32 s29, exec_lo
                                        ; implicit-def: $sgpr27
	v_cmpx_eq_u16_e32 0x80, v101
; %bb.5094:                             ;   in Loop: Header=BB6_3759 Depth=2
	s_mov_b32 s27, 0x7f800001
	s_xor_b32 s11, exec_lo, -1
; %bb.5095:                             ;   in Loop: Header=BB6_3759 Depth=2
	s_or_b32 exec_lo, exec_lo, s29
	s_delay_alu instid0(SALU_CYCLE_1)
	s_and_b32 s11, s11, exec_lo
                                        ; implicit-def: $vgpr101
	s_or_saveexec_b32 s28, s28
	v_mov_b32_e32 v98, s27
	s_xor_b32 exec_lo, exec_lo, s28
	s_cbranch_execz .LBB6_4498
.LBB6_5096:                             ;   in Loop: Header=BB6_3759 Depth=2
	v_cmp_ne_u16_e32 vcc_lo, 0, v101
	v_mov_b32_e32 v98, 0
	s_and_not1_b32 s11, s11, exec_lo
	s_and_b32 s27, vcc_lo, exec_lo
	s_delay_alu instid0(SALU_CYCLE_1)
	s_or_b32 s11, s11, s27
	s_or_b32 exec_lo, exec_lo, s28
	s_and_saveexec_b32 s27, s11
	s_cbranch_execnz .LBB6_4499
	s_branch .LBB6_4500
.LBB6_5097:                             ;   in Loop: Header=BB6_3759 Depth=2
	s_mov_b32 s11, -1
	s_mov_b32 s29, exec_lo
                                        ; implicit-def: $sgpr27
	v_cmpx_eq_u16_e32 0x80, v101
; %bb.5098:                             ;   in Loop: Header=BB6_3759 Depth=2
	s_mov_b32 s27, 0x7f800001
	s_xor_b32 s11, exec_lo, -1
; %bb.5099:                             ;   in Loop: Header=BB6_3759 Depth=2
	s_or_b32 exec_lo, exec_lo, s29
	s_delay_alu instid0(SALU_CYCLE_1)
	s_and_b32 s11, s11, exec_lo
                                        ; implicit-def: $vgpr101
	s_or_saveexec_b32 s28, s28
	v_mov_b32_e32 v50, s27
	s_xor_b32 exec_lo, exec_lo, s28
	s_cbranch_execz .LBB6_4502
.LBB6_5100:                             ;   in Loop: Header=BB6_3759 Depth=2
	v_cmp_ne_u16_e32 vcc_lo, 0, v101
	v_mov_b32_e32 v50, 0
	s_and_not1_b32 s11, s11, exec_lo
	s_and_b32 s27, vcc_lo, exec_lo
	s_delay_alu instid0(SALU_CYCLE_1)
	s_or_b32 s11, s11, s27
	s_or_b32 exec_lo, exec_lo, s28
	s_and_saveexec_b32 s27, s11
	s_cbranch_execnz .LBB6_4503
	s_branch .LBB6_4504
.LBB6_5101:                             ;   in Loop: Header=BB6_3759 Depth=2
	s_mov_b32 s11, -1
	s_mov_b32 s29, exec_lo
                                        ; implicit-def: $sgpr27
	v_cmpx_eq_u16_e32 0x80, v98
; %bb.5102:                             ;   in Loop: Header=BB6_3759 Depth=2
	s_mov_b32 s27, 0x7f800001
	s_xor_b32 s11, exec_lo, -1
; %bb.5103:                             ;   in Loop: Header=BB6_3759 Depth=2
	s_or_b32 exec_lo, exec_lo, s29
	s_delay_alu instid0(SALU_CYCLE_1)
	s_and_b32 s11, s11, exec_lo
                                        ; implicit-def: $vgpr98
	s_or_saveexec_b32 s28, s28
	v_mov_b32_e32 v50, s27
	s_xor_b32 exec_lo, exec_lo, s28
	s_cbranch_execz .LBB6_4516
.LBB6_5104:                             ;   in Loop: Header=BB6_3759 Depth=2
	v_cmp_ne_u16_e32 vcc_lo, 0, v98
	v_mov_b32_e32 v50, 0
	s_and_not1_b32 s11, s11, exec_lo
	s_and_b32 s27, vcc_lo, exec_lo
	s_delay_alu instid0(SALU_CYCLE_1)
	s_or_b32 s11, s11, s27
	s_or_b32 exec_lo, exec_lo, s28
	s_and_saveexec_b32 s27, s11
	s_cbranch_execnz .LBB6_4517
	s_branch .LBB6_4518
.LBB6_5105:                             ;   in Loop: Header=BB6_3759 Depth=2
	s_mov_b32 s11, -1
	s_mov_b32 s29, exec_lo
                                        ; implicit-def: $sgpr27
	v_cmpx_eq_u16_e32 0x80, v101
; %bb.5106:                             ;   in Loop: Header=BB6_3759 Depth=2
	s_mov_b32 s27, 0x7f800001
	s_xor_b32 s11, exec_lo, -1
; %bb.5107:                             ;   in Loop: Header=BB6_3759 Depth=2
	s_or_b32 exec_lo, exec_lo, s29
	s_delay_alu instid0(SALU_CYCLE_1)
	s_and_b32 s11, s11, exec_lo
                                        ; implicit-def: $vgpr101
	s_or_saveexec_b32 s28, s28
	v_mov_b32_e32 v98, s27
	s_xor_b32 exec_lo, exec_lo, s28
	s_cbranch_execz .LBB6_4520
.LBB6_5108:                             ;   in Loop: Header=BB6_3759 Depth=2
	v_cmp_ne_u16_e32 vcc_lo, 0, v101
	v_mov_b32_e32 v98, 0
	s_and_not1_b32 s11, s11, exec_lo
	s_and_b32 s27, vcc_lo, exec_lo
	s_delay_alu instid0(SALU_CYCLE_1)
	s_or_b32 s11, s11, s27
	s_or_b32 exec_lo, exec_lo, s28
	s_and_saveexec_b32 s27, s11
	s_cbranch_execnz .LBB6_4521
	s_branch .LBB6_4522
.LBB6_5109:                             ;   in Loop: Header=BB6_3759 Depth=2
	s_mov_b32 s11, -1
	s_mov_b32 s29, exec_lo
                                        ; implicit-def: $sgpr27
	v_cmpx_eq_u16_e32 0x80, v98
; %bb.5110:                             ;   in Loop: Header=BB6_3759 Depth=2
	s_mov_b32 s27, 0x7f800001
	s_xor_b32 s11, exec_lo, -1
; %bb.5111:                             ;   in Loop: Header=BB6_3759 Depth=2
	s_or_b32 exec_lo, exec_lo, s29
	s_delay_alu instid0(SALU_CYCLE_1)
	s_and_b32 s11, s11, exec_lo
                                        ; implicit-def: $vgpr98
	s_or_saveexec_b32 s28, s28
	v_mov_b32_e32 v50, s27
	s_xor_b32 exec_lo, exec_lo, s28
	s_cbranch_execz .LBB6_4527
.LBB6_5112:                             ;   in Loop: Header=BB6_3759 Depth=2
	v_cmp_ne_u16_e32 vcc_lo, 0, v98
	v_mov_b32_e32 v50, 0
	s_and_not1_b32 s11, s11, exec_lo
	s_and_b32 s27, vcc_lo, exec_lo
	s_delay_alu instid0(SALU_CYCLE_1)
	s_or_b32 s11, s11, s27
	s_or_b32 exec_lo, exec_lo, s28
	s_and_saveexec_b32 s27, s11
	s_cbranch_execnz .LBB6_4528
	s_branch .LBB6_4529
.LBB6_5113:                             ;   in Loop: Header=BB6_3759 Depth=2
	s_mov_b32 s11, -1
	s_mov_b32 s29, exec_lo
                                        ; implicit-def: $sgpr27
	v_cmpx_eq_u16_e32 0x80, v98
; %bb.5114:                             ;   in Loop: Header=BB6_3759 Depth=2
	s_mov_b32 s27, 0x7f800001
	s_xor_b32 s11, exec_lo, -1
; %bb.5115:                             ;   in Loop: Header=BB6_3759 Depth=2
	s_or_b32 exec_lo, exec_lo, s29
	s_delay_alu instid0(SALU_CYCLE_1)
	s_and_b32 s11, s11, exec_lo
                                        ; implicit-def: $vgpr98
	s_or_saveexec_b32 s28, s28
	v_mov_b32_e32 v39, s27
	s_xor_b32 exec_lo, exec_lo, s28
	s_cbranch_execz .LBB6_4531
.LBB6_5116:                             ;   in Loop: Header=BB6_3759 Depth=2
	v_cmp_ne_u16_e32 vcc_lo, 0, v98
	v_mov_b32_e32 v39, 0
	s_and_not1_b32 s11, s11, exec_lo
	s_and_b32 s27, vcc_lo, exec_lo
	s_delay_alu instid0(SALU_CYCLE_1)
	s_or_b32 s11, s11, s27
	s_or_b32 exec_lo, exec_lo, s28
	s_and_saveexec_b32 s27, s11
	s_cbranch_execnz .LBB6_4532
	s_branch .LBB6_4533
.LBB6_5117:                             ;   in Loop: Header=BB6_3759 Depth=2
	s_mov_b32 s11, -1
	s_mov_b32 s29, exec_lo
                                        ; implicit-def: $sgpr27
	v_cmpx_eq_u16_e32 0x80, v50
; %bb.5118:                             ;   in Loop: Header=BB6_3759 Depth=2
	s_mov_b32 s27, 0x7f800001
	s_xor_b32 s11, exec_lo, -1
; %bb.5119:                             ;   in Loop: Header=BB6_3759 Depth=2
	s_or_b32 exec_lo, exec_lo, s29
	s_delay_alu instid0(SALU_CYCLE_1)
	s_and_b32 s11, s11, exec_lo
                                        ; implicit-def: $vgpr50
	s_or_saveexec_b32 s28, s28
	v_mov_b32_e32 v39, s27
	s_xor_b32 exec_lo, exec_lo, s28
	s_cbranch_execz .LBB6_4545
.LBB6_5120:                             ;   in Loop: Header=BB6_3759 Depth=2
	v_cmp_ne_u16_e32 vcc_lo, 0, v50
	v_mov_b32_e32 v39, 0
	s_and_not1_b32 s11, s11, exec_lo
	s_and_b32 s27, vcc_lo, exec_lo
	s_delay_alu instid0(SALU_CYCLE_1)
	s_or_b32 s11, s11, s27
	s_or_b32 exec_lo, exec_lo, s28
	s_and_saveexec_b32 s27, s11
	s_cbranch_execnz .LBB6_4546
	s_branch .LBB6_4547
.LBB6_5121:                             ;   in Loop: Header=BB6_3759 Depth=2
	s_mov_b32 s11, -1
	s_mov_b32 s29, exec_lo
                                        ; implicit-def: $sgpr27
	v_cmpx_eq_u16_e32 0x80, v98
; %bb.5122:                             ;   in Loop: Header=BB6_3759 Depth=2
	s_mov_b32 s27, 0x7f800001
	s_xor_b32 s11, exec_lo, -1
; %bb.5123:                             ;   in Loop: Header=BB6_3759 Depth=2
	s_or_b32 exec_lo, exec_lo, s29
	s_delay_alu instid0(SALU_CYCLE_1)
	s_and_b32 s11, s11, exec_lo
                                        ; implicit-def: $vgpr98
	s_or_saveexec_b32 s28, s28
	v_mov_b32_e32 v50, s27
	s_xor_b32 exec_lo, exec_lo, s28
	s_cbranch_execz .LBB6_4549
.LBB6_5124:                             ;   in Loop: Header=BB6_3759 Depth=2
	v_cmp_ne_u16_e32 vcc_lo, 0, v98
	v_mov_b32_e32 v50, 0
	s_and_not1_b32 s11, s11, exec_lo
	s_and_b32 s27, vcc_lo, exec_lo
	s_delay_alu instid0(SALU_CYCLE_1)
	s_or_b32 s11, s11, s27
	s_or_b32 exec_lo, exec_lo, s28
	s_and_saveexec_b32 s27, s11
	s_cbranch_execnz .LBB6_4550
	s_branch .LBB6_4551
.LBB6_5125:                             ;   in Loop: Header=BB6_3759 Depth=2
	s_mov_b32 s11, -1
	s_mov_b32 s29, exec_lo
                                        ; implicit-def: $sgpr27
	v_cmpx_eq_u16_e32 0x80, v50
; %bb.5126:                             ;   in Loop: Header=BB6_3759 Depth=2
	s_mov_b32 s27, 0x7f800001
	s_xor_b32 s11, exec_lo, -1
; %bb.5127:                             ;   in Loop: Header=BB6_3759 Depth=2
	s_or_b32 exec_lo, exec_lo, s29
	s_delay_alu instid0(SALU_CYCLE_1)
	s_and_b32 s11, s11, exec_lo
                                        ; implicit-def: $vgpr50
	s_or_saveexec_b32 s28, s28
	v_mov_b32_e32 v39, s27
	s_xor_b32 exec_lo, exec_lo, s28
	s_cbranch_execz .LBB6_4556
.LBB6_5128:                             ;   in Loop: Header=BB6_3759 Depth=2
	v_cmp_ne_u16_e32 vcc_lo, 0, v50
	v_mov_b32_e32 v39, 0
	s_and_not1_b32 s11, s11, exec_lo
	s_and_b32 s27, vcc_lo, exec_lo
	s_delay_alu instid0(SALU_CYCLE_1)
	s_or_b32 s11, s11, s27
	s_or_b32 exec_lo, exec_lo, s28
	s_and_saveexec_b32 s27, s11
	s_cbranch_execnz .LBB6_4557
	s_branch .LBB6_4558
.LBB6_5129:                             ;   in Loop: Header=BB6_3759 Depth=2
	s_mov_b32 s11, -1
	s_mov_b32 s29, exec_lo
                                        ; implicit-def: $sgpr27
	v_cmpx_eq_u16_e32 0x80, v50
; %bb.5130:                             ;   in Loop: Header=BB6_3759 Depth=2
	s_mov_b32 s27, 0x7f800001
	s_xor_b32 s11, exec_lo, -1
; %bb.5131:                             ;   in Loop: Header=BB6_3759 Depth=2
	s_or_b32 exec_lo, exec_lo, s29
	s_delay_alu instid0(SALU_CYCLE_1)
	s_and_b32 s11, s11, exec_lo
                                        ; implicit-def: $vgpr50
	s_or_saveexec_b32 s28, s28
	v_mov_b32_e32 v36, s27
	s_xor_b32 exec_lo, exec_lo, s28
	s_cbranch_execz .LBB6_4560
.LBB6_5132:                             ;   in Loop: Header=BB6_3759 Depth=2
	v_cmp_ne_u16_e32 vcc_lo, 0, v50
	v_mov_b32_e32 v36, 0
	s_and_not1_b32 s11, s11, exec_lo
	s_and_b32 s27, vcc_lo, exec_lo
	s_delay_alu instid0(SALU_CYCLE_1)
	s_or_b32 s11, s11, s27
	s_or_b32 exec_lo, exec_lo, s28
	s_and_saveexec_b32 s27, s11
	s_cbranch_execnz .LBB6_4561
	s_branch .LBB6_4562
.LBB6_5133:                             ;   in Loop: Header=BB6_3759 Depth=2
	s_mov_b32 s11, -1
	s_mov_b32 s29, exec_lo
                                        ; implicit-def: $sgpr27
	v_cmpx_eq_u16_e32 0x80, v39
; %bb.5134:                             ;   in Loop: Header=BB6_3759 Depth=2
	s_mov_b32 s27, 0x7f800001
	s_xor_b32 s11, exec_lo, -1
; %bb.5135:                             ;   in Loop: Header=BB6_3759 Depth=2
	s_or_b32 exec_lo, exec_lo, s29
	s_delay_alu instid0(SALU_CYCLE_1)
	s_and_b32 s11, s11, exec_lo
                                        ; implicit-def: $vgpr39
	s_or_saveexec_b32 s28, s28
	v_mov_b32_e32 v36, s27
	s_xor_b32 exec_lo, exec_lo, s28
	s_cbranch_execz .LBB6_4574
.LBB6_5136:                             ;   in Loop: Header=BB6_3759 Depth=2
	v_cmp_ne_u16_e32 vcc_lo, 0, v39
	v_mov_b32_e32 v36, 0
	s_and_not1_b32 s11, s11, exec_lo
	s_and_b32 s27, vcc_lo, exec_lo
	s_delay_alu instid0(SALU_CYCLE_1)
	s_or_b32 s11, s11, s27
	s_or_b32 exec_lo, exec_lo, s28
	s_and_saveexec_b32 s27, s11
	s_cbranch_execnz .LBB6_4575
	s_branch .LBB6_4576
.LBB6_5137:                             ;   in Loop: Header=BB6_3759 Depth=2
	s_mov_b32 s11, -1
	s_mov_b32 s29, exec_lo
                                        ; implicit-def: $sgpr27
	v_cmpx_eq_u16_e32 0x80, v50
; %bb.5138:                             ;   in Loop: Header=BB6_3759 Depth=2
	s_mov_b32 s27, 0x7f800001
	s_xor_b32 s11, exec_lo, -1
; %bb.5139:                             ;   in Loop: Header=BB6_3759 Depth=2
	s_or_b32 exec_lo, exec_lo, s29
	s_delay_alu instid0(SALU_CYCLE_1)
	s_and_b32 s11, s11, exec_lo
                                        ; implicit-def: $vgpr50
	s_or_saveexec_b32 s28, s28
	v_mov_b32_e32 v39, s27
	s_xor_b32 exec_lo, exec_lo, s28
	s_cbranch_execz .LBB6_4578
.LBB6_5140:                             ;   in Loop: Header=BB6_3759 Depth=2
	v_cmp_ne_u16_e32 vcc_lo, 0, v50
	v_mov_b32_e32 v39, 0
	s_and_not1_b32 s11, s11, exec_lo
	s_and_b32 s27, vcc_lo, exec_lo
	s_delay_alu instid0(SALU_CYCLE_1)
	s_or_b32 s11, s11, s27
	s_or_b32 exec_lo, exec_lo, s28
	s_and_saveexec_b32 s27, s11
	s_cbranch_execnz .LBB6_4579
	s_branch .LBB6_4580
.LBB6_5141:                             ;   in Loop: Header=BB6_3759 Depth=2
	s_mov_b32 s11, -1
	s_mov_b32 s29, exec_lo
                                        ; implicit-def: $sgpr27
	v_cmpx_eq_u16_e32 0x80, v39
; %bb.5142:                             ;   in Loop: Header=BB6_3759 Depth=2
	s_mov_b32 s27, 0x7f800001
	s_xor_b32 s11, exec_lo, -1
; %bb.5143:                             ;   in Loop: Header=BB6_3759 Depth=2
	s_or_b32 exec_lo, exec_lo, s29
	s_delay_alu instid0(SALU_CYCLE_1)
	s_and_b32 s11, s11, exec_lo
                                        ; implicit-def: $vgpr39
	s_or_saveexec_b32 s28, s28
	v_mov_b32_e32 v36, s27
	s_xor_b32 exec_lo, exec_lo, s28
	s_cbranch_execz .LBB6_4585
.LBB6_5144:                             ;   in Loop: Header=BB6_3759 Depth=2
	v_cmp_ne_u16_e32 vcc_lo, 0, v39
	v_mov_b32_e32 v36, 0
	s_and_not1_b32 s11, s11, exec_lo
	s_and_b32 s27, vcc_lo, exec_lo
	s_delay_alu instid0(SALU_CYCLE_1)
	s_or_b32 s11, s11, s27
	s_or_b32 exec_lo, exec_lo, s28
	s_and_saveexec_b32 s27, s11
	s_cbranch_execnz .LBB6_4586
	s_branch .LBB6_4587
.LBB6_5145:                             ;   in Loop: Header=BB6_3759 Depth=2
	s_mov_b32 s11, -1
	s_mov_b32 s29, exec_lo
                                        ; implicit-def: $sgpr27
	v_cmpx_eq_u16_e32 0x80, v39
; %bb.5146:                             ;   in Loop: Header=BB6_3759 Depth=2
	s_mov_b32 s27, 0x7f800001
	s_xor_b32 s11, exec_lo, -1
; %bb.5147:                             ;   in Loop: Header=BB6_3759 Depth=2
	s_or_b32 exec_lo, exec_lo, s29
	s_delay_alu instid0(SALU_CYCLE_1)
	s_and_b32 s11, s11, exec_lo
                                        ; implicit-def: $vgpr39
	s_or_saveexec_b32 s28, s28
	v_mov_b32_e32 v33, s27
	s_xor_b32 exec_lo, exec_lo, s28
	s_cbranch_execz .LBB6_4589
.LBB6_5148:                             ;   in Loop: Header=BB6_3759 Depth=2
	v_cmp_ne_u16_e32 vcc_lo, 0, v39
	v_mov_b32_e32 v33, 0
	s_and_not1_b32 s11, s11, exec_lo
	s_and_b32 s27, vcc_lo, exec_lo
	s_delay_alu instid0(SALU_CYCLE_1)
	s_or_b32 s11, s11, s27
	s_or_b32 exec_lo, exec_lo, s28
	s_and_saveexec_b32 s27, s11
	s_cbranch_execnz .LBB6_4590
	s_branch .LBB6_4591
.LBB6_5149:                             ;   in Loop: Header=BB6_3759 Depth=2
	s_mov_b32 s11, -1
	s_mov_b32 s29, exec_lo
                                        ; implicit-def: $sgpr27
	v_cmpx_eq_u16_e32 0x80, v36
; %bb.5150:                             ;   in Loop: Header=BB6_3759 Depth=2
	s_mov_b32 s27, 0x7f800001
	s_xor_b32 s11, exec_lo, -1
; %bb.5151:                             ;   in Loop: Header=BB6_3759 Depth=2
	s_or_b32 exec_lo, exec_lo, s29
	s_delay_alu instid0(SALU_CYCLE_1)
	s_and_b32 s11, s11, exec_lo
                                        ; implicit-def: $vgpr36
	s_or_saveexec_b32 s28, s28
	v_mov_b32_e32 v33, s27
	s_xor_b32 exec_lo, exec_lo, s28
	s_cbranch_execz .LBB6_4603
.LBB6_5152:                             ;   in Loop: Header=BB6_3759 Depth=2
	v_cmp_ne_u16_e32 vcc_lo, 0, v36
	v_mov_b32_e32 v33, 0
	s_and_not1_b32 s11, s11, exec_lo
	s_and_b32 s27, vcc_lo, exec_lo
	s_delay_alu instid0(SALU_CYCLE_1)
	s_or_b32 s11, s11, s27
	s_or_b32 exec_lo, exec_lo, s28
	s_and_saveexec_b32 s27, s11
	s_cbranch_execnz .LBB6_4604
	s_branch .LBB6_4605
.LBB6_5153:                             ;   in Loop: Header=BB6_3759 Depth=2
	s_mov_b32 s11, -1
	s_mov_b32 s29, exec_lo
                                        ; implicit-def: $sgpr27
	v_cmpx_eq_u16_e32 0x80, v39
; %bb.5154:                             ;   in Loop: Header=BB6_3759 Depth=2
	s_mov_b32 s27, 0x7f800001
	s_xor_b32 s11, exec_lo, -1
; %bb.5155:                             ;   in Loop: Header=BB6_3759 Depth=2
	s_or_b32 exec_lo, exec_lo, s29
	s_delay_alu instid0(SALU_CYCLE_1)
	s_and_b32 s11, s11, exec_lo
                                        ; implicit-def: $vgpr39
	s_or_saveexec_b32 s28, s28
	v_mov_b32_e32 v36, s27
	s_xor_b32 exec_lo, exec_lo, s28
	s_cbranch_execz .LBB6_4607
.LBB6_5156:                             ;   in Loop: Header=BB6_3759 Depth=2
	v_cmp_ne_u16_e32 vcc_lo, 0, v39
	v_mov_b32_e32 v36, 0
	s_and_not1_b32 s11, s11, exec_lo
	s_and_b32 s27, vcc_lo, exec_lo
	s_delay_alu instid0(SALU_CYCLE_1)
	s_or_b32 s11, s11, s27
	s_or_b32 exec_lo, exec_lo, s28
	s_and_saveexec_b32 s27, s11
	s_cbranch_execnz .LBB6_4608
	s_branch .LBB6_4609
.LBB6_5157:                             ;   in Loop: Header=BB6_3759 Depth=2
	s_mov_b32 s11, -1
	s_mov_b32 s29, exec_lo
                                        ; implicit-def: $sgpr27
	v_cmpx_eq_u16_e32 0x80, v36
; %bb.5158:                             ;   in Loop: Header=BB6_3759 Depth=2
	s_mov_b32 s27, 0x7f800001
	s_xor_b32 s11, exec_lo, -1
; %bb.5159:                             ;   in Loop: Header=BB6_3759 Depth=2
	s_or_b32 exec_lo, exec_lo, s29
	s_delay_alu instid0(SALU_CYCLE_1)
	s_and_b32 s11, s11, exec_lo
                                        ; implicit-def: $vgpr36
	s_or_saveexec_b32 s28, s28
	v_mov_b32_e32 v33, s27
	s_xor_b32 exec_lo, exec_lo, s28
	s_cbranch_execz .LBB6_4614
.LBB6_5160:                             ;   in Loop: Header=BB6_3759 Depth=2
	v_cmp_ne_u16_e32 vcc_lo, 0, v36
	v_mov_b32_e32 v33, 0
	s_and_not1_b32 s11, s11, exec_lo
	s_and_b32 s27, vcc_lo, exec_lo
	s_delay_alu instid0(SALU_CYCLE_1)
	s_or_b32 s11, s11, s27
	s_or_b32 exec_lo, exec_lo, s28
	s_and_saveexec_b32 s27, s11
	s_cbranch_execnz .LBB6_4615
	s_branch .LBB6_4616
.LBB6_5161:                             ;   in Loop: Header=BB6_3759 Depth=2
	s_mov_b32 s11, -1
	s_mov_b32 s29, exec_lo
                                        ; implicit-def: $sgpr27
	v_cmpx_eq_u16_e32 0x80, v36
; %bb.5162:                             ;   in Loop: Header=BB6_3759 Depth=2
	s_mov_b32 s27, 0x7f800001
	s_xor_b32 s11, exec_lo, -1
; %bb.5163:                             ;   in Loop: Header=BB6_3759 Depth=2
	s_or_b32 exec_lo, exec_lo, s29
	s_delay_alu instid0(SALU_CYCLE_1)
	s_and_b32 s11, s11, exec_lo
                                        ; implicit-def: $vgpr36
	s_or_saveexec_b32 s28, s28
	v_mov_b32_e32 v28, s27
	s_xor_b32 exec_lo, exec_lo, s28
	s_cbranch_execz .LBB6_4618
.LBB6_5164:                             ;   in Loop: Header=BB6_3759 Depth=2
	v_cmp_ne_u16_e32 vcc_lo, 0, v36
	v_mov_b32_e32 v28, 0
	s_and_not1_b32 s11, s11, exec_lo
	s_and_b32 s27, vcc_lo, exec_lo
	s_delay_alu instid0(SALU_CYCLE_1)
	s_or_b32 s11, s11, s27
	s_or_b32 exec_lo, exec_lo, s28
	s_and_saveexec_b32 s27, s11
	s_cbranch_execnz .LBB6_4619
	s_branch .LBB6_4620
.LBB6_5165:                             ;   in Loop: Header=BB6_3759 Depth=2
	s_mov_b32 s11, -1
	s_mov_b32 s29, exec_lo
                                        ; implicit-def: $sgpr27
	v_cmpx_eq_u16_e32 0x80, v33
; %bb.5166:                             ;   in Loop: Header=BB6_3759 Depth=2
	s_mov_b32 s27, 0x7f800001
	s_xor_b32 s11, exec_lo, -1
; %bb.5167:                             ;   in Loop: Header=BB6_3759 Depth=2
	s_or_b32 exec_lo, exec_lo, s29
	s_delay_alu instid0(SALU_CYCLE_1)
	s_and_b32 s11, s11, exec_lo
                                        ; implicit-def: $vgpr33
	s_or_saveexec_b32 s28, s28
	v_mov_b32_e32 v28, s27
	s_xor_b32 exec_lo, exec_lo, s28
	s_cbranch_execz .LBB6_4632
.LBB6_5168:                             ;   in Loop: Header=BB6_3759 Depth=2
	v_cmp_ne_u16_e32 vcc_lo, 0, v33
	v_mov_b32_e32 v28, 0
	s_and_not1_b32 s11, s11, exec_lo
	s_and_b32 s27, vcc_lo, exec_lo
	s_delay_alu instid0(SALU_CYCLE_1)
	s_or_b32 s11, s11, s27
	s_or_b32 exec_lo, exec_lo, s28
	s_and_saveexec_b32 s27, s11
	s_cbranch_execnz .LBB6_4633
	s_branch .LBB6_4634
.LBB6_5169:                             ;   in Loop: Header=BB6_3759 Depth=2
	s_mov_b32 s11, -1
	s_mov_b32 s29, exec_lo
                                        ; implicit-def: $sgpr27
	v_cmpx_eq_u16_e32 0x80, v36
; %bb.5170:                             ;   in Loop: Header=BB6_3759 Depth=2
	s_mov_b32 s27, 0x7f800001
	s_xor_b32 s11, exec_lo, -1
; %bb.5171:                             ;   in Loop: Header=BB6_3759 Depth=2
	s_or_b32 exec_lo, exec_lo, s29
	s_delay_alu instid0(SALU_CYCLE_1)
	s_and_b32 s11, s11, exec_lo
                                        ; implicit-def: $vgpr36
	s_or_saveexec_b32 s28, s28
	v_mov_b32_e32 v33, s27
	s_xor_b32 exec_lo, exec_lo, s28
	s_cbranch_execz .LBB6_4636
.LBB6_5172:                             ;   in Loop: Header=BB6_3759 Depth=2
	v_cmp_ne_u16_e32 vcc_lo, 0, v36
	v_mov_b32_e32 v33, 0
	s_and_not1_b32 s11, s11, exec_lo
	s_and_b32 s27, vcc_lo, exec_lo
	s_delay_alu instid0(SALU_CYCLE_1)
	s_or_b32 s11, s11, s27
	s_or_b32 exec_lo, exec_lo, s28
	s_and_saveexec_b32 s27, s11
	s_cbranch_execnz .LBB6_4637
	s_branch .LBB6_4638
.LBB6_5173:                             ;   in Loop: Header=BB6_3759 Depth=2
	s_mov_b32 s11, -1
	s_mov_b32 s29, exec_lo
                                        ; implicit-def: $sgpr27
	v_cmpx_eq_u16_e32 0x80, v33
; %bb.5174:                             ;   in Loop: Header=BB6_3759 Depth=2
	s_mov_b32 s27, 0x7f800001
	s_xor_b32 s11, exec_lo, -1
; %bb.5175:                             ;   in Loop: Header=BB6_3759 Depth=2
	s_or_b32 exec_lo, exec_lo, s29
	s_delay_alu instid0(SALU_CYCLE_1)
	s_and_b32 s11, s11, exec_lo
                                        ; implicit-def: $vgpr33
	s_or_saveexec_b32 s28, s28
	v_mov_b32_e32 v28, s27
	s_xor_b32 exec_lo, exec_lo, s28
	s_cbranch_execz .LBB6_4643
.LBB6_5176:                             ;   in Loop: Header=BB6_3759 Depth=2
	v_cmp_ne_u16_e32 vcc_lo, 0, v33
	v_mov_b32_e32 v28, 0
	s_and_not1_b32 s11, s11, exec_lo
	s_and_b32 s27, vcc_lo, exec_lo
	s_delay_alu instid0(SALU_CYCLE_1)
	s_or_b32 s11, s11, s27
	s_or_b32 exec_lo, exec_lo, s28
	s_and_saveexec_b32 s27, s11
	s_cbranch_execnz .LBB6_4644
	s_branch .LBB6_4645
.LBB6_5177:                             ;   in Loop: Header=BB6_3759 Depth=2
	s_mov_b32 s11, -1
	s_mov_b32 s29, exec_lo
                                        ; implicit-def: $sgpr27
	v_cmpx_eq_u16_e32 0x80, v33
; %bb.5178:                             ;   in Loop: Header=BB6_3759 Depth=2
	s_mov_b32 s27, 0x7f800001
	s_xor_b32 s11, exec_lo, -1
; %bb.5179:                             ;   in Loop: Header=BB6_3759 Depth=2
	s_or_b32 exec_lo, exec_lo, s29
	s_delay_alu instid0(SALU_CYCLE_1)
	s_and_b32 s11, s11, exec_lo
                                        ; implicit-def: $vgpr33
	s_or_saveexec_b32 s28, s28
	v_mov_b32_e32 v25, s27
	s_xor_b32 exec_lo, exec_lo, s28
	s_cbranch_execz .LBB6_4647
.LBB6_5180:                             ;   in Loop: Header=BB6_3759 Depth=2
	v_cmp_ne_u16_e32 vcc_lo, 0, v33
	v_mov_b32_e32 v25, 0
	s_and_not1_b32 s11, s11, exec_lo
	s_and_b32 s27, vcc_lo, exec_lo
	s_delay_alu instid0(SALU_CYCLE_1)
	s_or_b32 s11, s11, s27
	s_or_b32 exec_lo, exec_lo, s28
	s_and_saveexec_b32 s27, s11
	s_cbranch_execnz .LBB6_4648
	s_branch .LBB6_4649
.LBB6_5181:                             ;   in Loop: Header=BB6_3759 Depth=2
	s_mov_b32 s11, -1
	s_mov_b32 s29, exec_lo
                                        ; implicit-def: $sgpr27
	v_cmpx_eq_u16_e32 0x80, v28
; %bb.5182:                             ;   in Loop: Header=BB6_3759 Depth=2
	s_mov_b32 s27, 0x7f800001
	s_xor_b32 s11, exec_lo, -1
; %bb.5183:                             ;   in Loop: Header=BB6_3759 Depth=2
	s_or_b32 exec_lo, exec_lo, s29
	s_delay_alu instid0(SALU_CYCLE_1)
	s_and_b32 s11, s11, exec_lo
                                        ; implicit-def: $vgpr28
	s_or_saveexec_b32 s28, s28
	v_mov_b32_e32 v25, s27
	s_xor_b32 exec_lo, exec_lo, s28
	s_cbranch_execz .LBB6_4661
.LBB6_5184:                             ;   in Loop: Header=BB6_3759 Depth=2
	v_cmp_ne_u16_e32 vcc_lo, 0, v28
	v_mov_b32_e32 v25, 0
	s_and_not1_b32 s11, s11, exec_lo
	s_and_b32 s27, vcc_lo, exec_lo
	s_delay_alu instid0(SALU_CYCLE_1)
	s_or_b32 s11, s11, s27
	s_or_b32 exec_lo, exec_lo, s28
	s_and_saveexec_b32 s27, s11
	s_cbranch_execnz .LBB6_4662
	s_branch .LBB6_4663
.LBB6_5185:                             ;   in Loop: Header=BB6_3759 Depth=2
	s_mov_b32 s11, -1
	s_mov_b32 s29, exec_lo
                                        ; implicit-def: $sgpr27
	v_cmpx_eq_u16_e32 0x80, v33
; %bb.5186:                             ;   in Loop: Header=BB6_3759 Depth=2
	s_mov_b32 s27, 0x7f800001
	s_xor_b32 s11, exec_lo, -1
; %bb.5187:                             ;   in Loop: Header=BB6_3759 Depth=2
	s_or_b32 exec_lo, exec_lo, s29
	s_delay_alu instid0(SALU_CYCLE_1)
	s_and_b32 s11, s11, exec_lo
                                        ; implicit-def: $vgpr33
	s_or_saveexec_b32 s28, s28
	v_mov_b32_e32 v28, s27
	s_xor_b32 exec_lo, exec_lo, s28
	s_cbranch_execz .LBB6_4665
.LBB6_5188:                             ;   in Loop: Header=BB6_3759 Depth=2
	v_cmp_ne_u16_e32 vcc_lo, 0, v33
	v_mov_b32_e32 v28, 0
	s_and_not1_b32 s11, s11, exec_lo
	s_and_b32 s27, vcc_lo, exec_lo
	s_delay_alu instid0(SALU_CYCLE_1)
	s_or_b32 s11, s11, s27
	s_or_b32 exec_lo, exec_lo, s28
	s_and_saveexec_b32 s27, s11
	s_cbranch_execnz .LBB6_4666
	s_branch .LBB6_4667
.LBB6_5189:                             ;   in Loop: Header=BB6_3759 Depth=2
	s_mov_b32 s11, -1
	s_mov_b32 s29, exec_lo
                                        ; implicit-def: $sgpr27
	v_cmpx_eq_u16_e32 0x80, v28
; %bb.5190:                             ;   in Loop: Header=BB6_3759 Depth=2
	s_mov_b32 s27, 0x7f800001
	s_xor_b32 s11, exec_lo, -1
; %bb.5191:                             ;   in Loop: Header=BB6_3759 Depth=2
	s_or_b32 exec_lo, exec_lo, s29
	s_delay_alu instid0(SALU_CYCLE_1)
	s_and_b32 s11, s11, exec_lo
                                        ; implicit-def: $vgpr28
	s_or_saveexec_b32 s28, s28
	v_mov_b32_e32 v25, s27
	s_xor_b32 exec_lo, exec_lo, s28
	s_cbranch_execz .LBB6_4672
.LBB6_5192:                             ;   in Loop: Header=BB6_3759 Depth=2
	v_cmp_ne_u16_e32 vcc_lo, 0, v28
	v_mov_b32_e32 v25, 0
	s_and_not1_b32 s11, s11, exec_lo
	s_and_b32 s27, vcc_lo, exec_lo
	s_delay_alu instid0(SALU_CYCLE_1)
	s_or_b32 s11, s11, s27
	s_or_b32 exec_lo, exec_lo, s28
	s_and_saveexec_b32 s27, s11
	s_cbranch_execnz .LBB6_4673
	s_branch .LBB6_4674
.LBB6_5193:                             ;   in Loop: Header=BB6_3759 Depth=2
	s_mov_b32 s11, -1
	s_mov_b32 s29, exec_lo
                                        ; implicit-def: $sgpr27
	v_cmpx_eq_u16_e32 0x80, v28
; %bb.5194:                             ;   in Loop: Header=BB6_3759 Depth=2
	s_mov_b32 s27, 0x7f800001
	s_xor_b32 s11, exec_lo, -1
; %bb.5195:                             ;   in Loop: Header=BB6_3759 Depth=2
	s_or_b32 exec_lo, exec_lo, s29
	s_delay_alu instid0(SALU_CYCLE_1)
	s_and_b32 s11, s11, exec_lo
                                        ; implicit-def: $vgpr28
	s_or_saveexec_b32 s28, s28
	v_mov_b32_e32 v22, s27
	s_xor_b32 exec_lo, exec_lo, s28
	s_cbranch_execz .LBB6_4676
.LBB6_5196:                             ;   in Loop: Header=BB6_3759 Depth=2
	v_cmp_ne_u16_e32 vcc_lo, 0, v28
	v_mov_b32_e32 v22, 0
	s_and_not1_b32 s11, s11, exec_lo
	s_and_b32 s27, vcc_lo, exec_lo
	s_delay_alu instid0(SALU_CYCLE_1)
	s_or_b32 s11, s11, s27
	s_or_b32 exec_lo, exec_lo, s28
	s_and_saveexec_b32 s27, s11
	s_cbranch_execnz .LBB6_4677
	s_branch .LBB6_4678
.LBB6_5197:                             ;   in Loop: Header=BB6_53 Depth=1
	s_or_b32 exec_lo, exec_lo, s26
.LBB6_5198:                             ;   in Loop: Header=BB6_53 Depth=1
	s_delay_alu instid0(SALU_CYCLE_1) | instskip(SKIP_1) | instid1(VALU_DEP_1)
	s_or_b32 exec_lo, exec_lo, s24
	v_lshlrev_b32_e32 v10, 10, v20
	v_cmp_ne_u32_e32 vcc_lo, v17, v10
	s_and_b32 exec_lo, exec_lo, vcc_lo
	s_cbranch_execz .LBB6_5248
; %bb.5199:                             ;   in Loop: Header=BB6_53 Depth=1
	v_ashrrev_i32_e32 v11, 31, v18
	v_lshlrev_b32_e32 v12, 5, v19
	s_delay_alu instid0(VALU_DEP_2) | instskip(NEXT) | instid1(VALU_DEP_1)
	v_lshrrev_b32_e32 v11, 27, v11
	v_add_nc_u32_e32 v11, v18, v11
	s_delay_alu instid0(VALU_DEP_1) | instskip(NEXT) | instid1(VALU_DEP_1)
	v_and_b32_e32 v11, 0xffffffe0, v11
	v_sub_nc_u32_e32 v11, v18, v11
	s_delay_alu instid0(VALU_DEP_1) | instskip(NEXT) | instid1(VALU_DEP_1)
	v_sub_nc_u32_e32 v11, v11, v12
	v_add_nc_u32_e32 v10, v10, v11
	s_delay_alu instid0(VALU_DEP_1) | instskip(NEXT) | instid1(VALU_DEP_1)
	v_sub_nc_u32_e32 v17, v17, v10
	v_cmp_lt_i32_e32 vcc_lo, 0, v17
	s_and_b32 exec_lo, exec_lo, vcc_lo
	s_cbranch_execz .LBB6_5248
; %bb.5200:                             ;   in Loop: Header=BB6_53 Depth=1
	s_cbranch_execz .LBB6_5201
; %bb.11197:
	s_getpc_b64 s[34:35]
.Lpost_getpc117:
	s_add_u32 s34, s34, (.LBB6_11075-.Lpost_getpc117)&4294967295
	s_addc_u32 s35, s35, (.LBB6_11075-.Lpost_getpc117)>>32
	s_setpc_b64 s[34:35]
.LBB6_5201:                             ;   in Loop: Header=BB6_53 Depth=1
	ds_load_b128 v[11:14], v0
	ds_load_b64 v[18:19], v0
	v_add_nc_u32_e32 v15, v10, v16
	s_bitcmp1_b32 s23, 0
	s_mov_b32 s23, 0
	s_cselect_b32 s24, -1, 0
	s_delay_alu instid0(VALU_DEP_1) | instskip(SKIP_2) | instid1(VALU_DEP_2)
	v_ashrrev_i32_e32 v16, 31, v15
	s_waitcnt lgkmcnt(1)
	v_add_co_u32 v10, vcc_lo, v11, v15
	v_add_co_ci_u32_e32 v11, vcc_lo, v12, v16, vcc_lo
	v_add_co_u32 v12, vcc_lo, v13, v15
	v_add_co_ci_u32_e32 v13, vcc_lo, v14, v16, vcc_lo
	s_waitcnt lgkmcnt(0)
	v_add_co_u32 v14, vcc_lo, v18, v15
	v_add_co_ci_u32_e32 v15, vcc_lo, v19, v16, vcc_lo
	s_branch .LBB6_5205
.LBB6_5202:                             ;   in Loop: Header=BB6_5205 Depth=2
	s_or_b32 exec_lo, exec_lo, s11
	s_delay_alu instid0(VALU_DEP_1) | instskip(NEXT) | instid1(VALU_DEP_2)
	v_lshrrev_b32_e32 v18, 20, v18
	v_cmp_gt_i32_e32 vcc_lo, 16, v16
	v_lshrrev_b32_e32 v19, 24, v20
	v_min_i32_e32 v20, 15, v16
	s_delay_alu instid0(VALU_DEP_2) | instskip(NEXT) | instid1(VALU_DEP_2)
	v_dual_cndmask_b32 v18, 7, v18 :: v_dual_and_b32 v19, 0x80, v19
	v_lshlrev_b32_e32 v20, 3, v20
	s_delay_alu instid0(VALU_DEP_2) | instskip(SKIP_1) | instid1(VALU_DEP_2)
	v_and_b32_e32 v21, 7, v18
	v_or_b32_e32 v16, v16, v18
	v_or3_b32 v18, v20, v19, v21
	s_delay_alu instid0(VALU_DEP_2) | instskip(NEXT) | instid1(VALU_DEP_2)
	v_cmp_ne_u32_e32 vcc_lo, 0, v16
	v_cndmask_b32_e32 v16, 0, v18, vcc_lo
.LBB6_5203:                             ;   in Loop: Header=BB6_5205 Depth=2
	s_or_b32 exec_lo, exec_lo, s26
.LBB6_5204:                             ;   in Loop: Header=BB6_5205 Depth=2
	s_delay_alu instid0(SALU_CYCLE_1)
	s_or_b32 exec_lo, exec_lo, s25
	v_add_co_u32 v10, vcc_lo, v10, v133
	v_sub_nc_u32_e32 v17, v17, v133
	v_add_co_ci_u32_e32 v11, vcc_lo, v11, v144, vcc_lo
	v_add_co_u32 v12, vcc_lo, v12, v133
	v_add_co_ci_u32_e32 v13, vcc_lo, v13, v144, vcc_lo
	flat_store_b8 v[14:15], v16 glc slc dlc
	v_cmp_gt_i32_e32 vcc_lo, 1, v17
	v_add_co_u32 v14, s11, v14, v133
	s_delay_alu instid0(VALU_DEP_1) | instskip(SKIP_1) | instid1(SALU_CYCLE_1)
	v_add_co_ci_u32_e64 v15, s11, v15, v144, s11
	s_or_b32 s23, vcc_lo, s23
	s_and_not1_b32 exec_lo, exec_lo, s23
	s_cbranch_execz .LBB6_5248
.LBB6_5205:                             ;   Parent Loop BB6_53 Depth=1
                                        ; =>  This Inner Loop Header: Depth=2
	flat_load_u8 v18, v[12:13] slc dlc
	s_waitcnt vmcnt(1) lgkmcnt(2)
	flat_load_u8 v19, v[10:11] slc dlc
	s_waitcnt vmcnt(1) lgkmcnt(1)
	v_and_b32_e32 v16, 7, v18
	v_bfe_u32 v22, v18, 3, 4
	s_delay_alu instid0(VALU_DEP_2) | instskip(NEXT) | instid1(VALU_DEP_2)
	v_clz_i32_u32_e32 v20, v16
	v_cmp_eq_u32_e32 vcc_lo, 0, v22
	s_delay_alu instid0(VALU_DEP_2) | instskip(NEXT) | instid1(VALU_DEP_1)
	v_min_u32_e32 v20, 32, v20
	v_subrev_nc_u32_e32 v21, 28, v20
	v_sub_nc_u32_e32 v20, 29, v20
	s_delay_alu instid0(VALU_DEP_1) | instskip(NEXT) | instid1(VALU_DEP_1)
	v_dual_cndmask_b32 v20, v22, v20 :: v_dual_lshlrev_b32 v21, v21, v18
	v_and_b32_e32 v21, 7, v21
	v_lshlrev_b32_e32 v23, 24, v18
	s_delay_alu instid0(VALU_DEP_3) | instskip(NEXT) | instid1(VALU_DEP_2)
	v_lshl_add_u32 v20, v20, 23, 0x3b800000
	v_dual_cndmask_b32 v16, v16, v21 :: v_dual_and_b32 v21, 0x80000000, v23
	s_and_b32 vcc_lo, exec_lo, s24
	s_delay_alu instid0(VALU_DEP_1) | instskip(NEXT) | instid1(VALU_DEP_1)
	v_lshlrev_b32_e32 v16, 20, v16
	v_or3_b32 v16, v21, v20, v16
	s_cbranch_vccz .LBB6_5215
; %bb.5206:                             ;   in Loop: Header=BB6_5205 Depth=2
	s_waitcnt vmcnt(0) lgkmcnt(0)
	v_and_b32_e32 v21, 0xff, v19
	s_mov_b32 s11, 0
	s_mov_b32 s26, exec_lo
                                        ; implicit-def: $sgpr25
	s_delay_alu instid0(VALU_DEP_1)
	v_cmpx_lt_i16_e32 0x7f, v21
	s_xor_b32 s26, exec_lo, s26
	s_cbranch_execnz .LBB6_5232
; %bb.5207:                             ;   in Loop: Header=BB6_5205 Depth=2
	s_or_saveexec_b32 s26, s26
	v_mov_b32_e32 v20, s25
	s_xor_b32 exec_lo, exec_lo, s26
	s_cbranch_execnz .LBB6_5235
.LBB6_5208:                             ;   in Loop: Header=BB6_5205 Depth=2
	s_or_b32 exec_lo, exec_lo, s26
	s_and_saveexec_b32 s25, s11
	s_cbranch_execz .LBB6_5210
.LBB6_5209:                             ;   in Loop: Header=BB6_5205 Depth=2
	v_lshrrev_b16 v23, 3, v19
	v_lshlrev_b32_e32 v24, 24, v19
	s_delay_alu instid0(VALU_DEP_2) | instskip(NEXT) | instid1(VALU_DEP_1)
	v_and_b32_e32 v23, 15, v23
	v_cmp_eq_u32_e32 vcc_lo, 0, v23
	v_and_b32_e32 v20, 7, v19
	s_delay_alu instid0(VALU_DEP_1) | instskip(NEXT) | instid1(VALU_DEP_1)
	v_clz_i32_u32_e32 v21, v20
	v_min_u32_e32 v21, 32, v21
	s_delay_alu instid0(VALU_DEP_1) | instskip(SKIP_1) | instid1(VALU_DEP_1)
	v_subrev_nc_u32_e32 v22, 28, v21
	v_sub_nc_u32_e32 v21, 29, v21
	v_dual_cndmask_b32 v21, v23, v21 :: v_dual_lshlrev_b32 v22, v22, v19
	s_delay_alu instid0(VALU_DEP_1) | instskip(NEXT) | instid1(VALU_DEP_2)
	v_and_b32_e32 v22, 7, v22
	v_lshl_add_u32 v21, v21, 23, 0x3b800000
	s_delay_alu instid0(VALU_DEP_2) | instskip(SKIP_1) | instid1(VALU_DEP_2)
	v_cndmask_b32_e32 v20, v20, v22, vcc_lo
	v_and_b32_e32 v22, 0x80000000, v24
	v_lshlrev_b32_e32 v20, 20, v20
	s_delay_alu instid0(VALU_DEP_1)
	v_or3_b32 v20, v22, v21, v20
.LBB6_5210:                             ;   in Loop: Header=BB6_5205 Depth=2
	s_or_b32 exec_lo, exec_lo, s25
	v_and_b32_e32 v21, 0xff, v18
	s_mov_b32 s11, 0
	s_mov_b32 s26, exec_lo
                                        ; implicit-def: $sgpr25
	s_delay_alu instid0(VALU_DEP_1)
	v_cmpx_lt_i16_e32 0x7f, v21
	s_xor_b32 s26, exec_lo, s26
	s_cbranch_execnz .LBB6_5236
; %bb.5211:                             ;   in Loop: Header=BB6_5205 Depth=2
	s_or_saveexec_b32 s26, s26
	v_mov_b32_e32 v22, s25
	s_xor_b32 exec_lo, exec_lo, s26
	s_cbranch_execnz .LBB6_5239
.LBB6_5212:                             ;   in Loop: Header=BB6_5205 Depth=2
	s_or_b32 exec_lo, exec_lo, s26
	s_and_saveexec_b32 s25, s11
.LBB6_5213:                             ;   in Loop: Header=BB6_5205 Depth=2
	v_mov_b32_e32 v22, v16
.LBB6_5214:                             ;   in Loop: Header=BB6_5205 Depth=2
	s_or_b32 exec_lo, exec_lo, s25
	s_delay_alu instid0(VALU_DEP_1) | instskip(SKIP_1) | instid1(VALU_DEP_1)
	v_dual_max_f32 v21, v22, v22 :: v_dual_max_f32 v20, v20, v20
	s_mov_b32 s11, 0
	v_max_f32_e32 v20, v20, v21
	s_branch .LBB6_5216
.LBB6_5215:                             ;   in Loop: Header=BB6_5205 Depth=2
	s_mov_b32 s11, -1
                                        ; implicit-def: $vgpr20
.LBB6_5216:                             ;   in Loop: Header=BB6_5205 Depth=2
	s_delay_alu instid0(SALU_CYCLE_1)
	s_and_b32 vcc_lo, exec_lo, s11
	s_cbranch_vccz .LBB6_5226
; %bb.5217:                             ;   in Loop: Header=BB6_5205 Depth=2
	s_waitcnt vmcnt(0) lgkmcnt(0)
	v_and_b32_e32 v21, 0xff, v19
	s_mov_b32 s11, 0
	s_mov_b32 s26, exec_lo
                                        ; implicit-def: $sgpr25
	s_delay_alu instid0(VALU_DEP_1)
	v_cmpx_lt_i16_e32 0x7f, v21
	s_xor_b32 s26, exec_lo, s26
	s_cbranch_execnz .LBB6_5240
; %bb.5218:                             ;   in Loop: Header=BB6_5205 Depth=2
	s_or_saveexec_b32 s26, s26
	v_mov_b32_e32 v20, s25
	s_xor_b32 exec_lo, exec_lo, s26
	s_cbranch_execnz .LBB6_5243
.LBB6_5219:                             ;   in Loop: Header=BB6_5205 Depth=2
	s_or_b32 exec_lo, exec_lo, s26
	s_and_saveexec_b32 s25, s11
	s_cbranch_execz .LBB6_5221
.LBB6_5220:                             ;   in Loop: Header=BB6_5205 Depth=2
	v_lshrrev_b16 v23, 3, v19
	s_delay_alu instid0(VALU_DEP_1) | instskip(NEXT) | instid1(VALU_DEP_1)
	v_and_b32_e32 v23, 15, v23
	v_cmp_eq_u32_e32 vcc_lo, 0, v23
	v_and_b32_e32 v20, 7, v19
	s_delay_alu instid0(VALU_DEP_1) | instskip(NEXT) | instid1(VALU_DEP_1)
	v_clz_i32_u32_e32 v21, v20
	v_min_u32_e32 v21, 32, v21
	s_delay_alu instid0(VALU_DEP_1) | instskip(SKIP_1) | instid1(VALU_DEP_1)
	v_subrev_nc_u32_e32 v22, 28, v21
	v_sub_nc_u32_e32 v21, 29, v21
	v_dual_cndmask_b32 v21, v23, v21 :: v_dual_lshlrev_b32 v22, v22, v19
	v_lshlrev_b32_e32 v19, 24, v19
	s_delay_alu instid0(VALU_DEP_2) | instskip(NEXT) | instid1(VALU_DEP_3)
	v_and_b32_e32 v22, 7, v22
	v_lshl_add_u32 v21, v21, 23, 0x3b800000
	s_delay_alu instid0(VALU_DEP_2) | instskip(NEXT) | instid1(VALU_DEP_1)
	v_dual_cndmask_b32 v20, v20, v22 :: v_dual_and_b32 v19, 0x80000000, v19
	v_lshlrev_b32_e32 v20, 20, v20
	s_delay_alu instid0(VALU_DEP_1)
	v_or3_b32 v20, v19, v21, v20
.LBB6_5221:                             ;   in Loop: Header=BB6_5205 Depth=2
	s_or_b32 exec_lo, exec_lo, s25
	v_and_b32_e32 v18, 0xff, v18
	s_mov_b32 s11, 0
	s_mov_b32 s26, exec_lo
                                        ; implicit-def: $sgpr25
	s_delay_alu instid0(VALU_DEP_1)
	v_cmpx_lt_i16_e32 0x7f, v18
	s_xor_b32 s26, exec_lo, s26
	s_cbranch_execnz .LBB6_5244
; %bb.5222:                             ;   in Loop: Header=BB6_5205 Depth=2
	s_or_saveexec_b32 s26, s26
	v_mov_b32_e32 v19, s25
	s_xor_b32 exec_lo, exec_lo, s26
	s_cbranch_execnz .LBB6_5247
.LBB6_5223:                             ;   in Loop: Header=BB6_5205 Depth=2
	s_or_b32 exec_lo, exec_lo, s26
	s_and_saveexec_b32 s25, s11
.LBB6_5224:                             ;   in Loop: Header=BB6_5205 Depth=2
	v_mov_b32_e32 v19, v16
.LBB6_5225:                             ;   in Loop: Header=BB6_5205 Depth=2
	s_or_b32 exec_lo, exec_lo, s25
	s_delay_alu instid0(VALU_DEP_1) | instskip(SKIP_1) | instid1(VALU_DEP_1)
	v_max_f32_e32 v16, v19, v19
	v_max_f32_e32 v18, v20, v20
	v_min_f32_e32 v20, v18, v16
.LBB6_5226:                             ;   in Loop: Header=BB6_5205 Depth=2
	s_delay_alu instid0(VALU_DEP_1) | instskip(NEXT) | instid1(VALU_DEP_1)
	v_and_b32_e32 v16, 0x7f800000, v20
	v_cmp_ne_u32_e32 vcc_lo, 0x7f800000, v16
	v_mov_b32_e32 v16, 0x80
	s_and_saveexec_b32 s25, vcc_lo
	s_cbranch_execz .LBB6_5204
; %bb.5227:                             ;   in Loop: Header=BB6_5205 Depth=2
	v_mov_b32_e32 v16, 0
	s_mov_b32 s26, exec_lo
	v_cmpx_ne_u32_e32 0, v20
	s_cbranch_execz .LBB6_5203
; %bb.5228:                             ;   in Loop: Header=BB6_5205 Depth=2
	v_bfe_u32 v16, v20, 23, 8
	s_waitcnt vmcnt(0) lgkmcnt(0)
	s_delay_alu instid0(VALU_DEP_1) | instskip(SKIP_1) | instid1(VALU_DEP_2)
	v_sub_nc_u32_e32 v19, 0x78, v16
	v_cmp_gt_u32_e32 vcc_lo, 0x79, v16
	v_dual_cndmask_b32 v19, 0, v19 :: v_dual_and_b32 v18, 0x7fffff, v20
	s_delay_alu instid0(VALU_DEP_1) | instskip(SKIP_2) | instid1(VALU_DEP_4)
	v_or_b32_e32 v21, 0x800000, v18
	v_cmp_eq_u32_e32 vcc_lo, 0, v16
	v_add_nc_u32_e32 v16, 0xffffff89, v16
	v_cndmask_b32_e64 v19, v19, 0x77, vcc_lo
	s_delay_alu instid0(VALU_DEP_4) | instskip(NEXT) | instid1(VALU_DEP_3)
	v_cndmask_b32_e32 v18, v21, v18, vcc_lo
	v_cndmask_b32_e64 v16, v16, 0xffffff8a, vcc_lo
	s_delay_alu instid0(VALU_DEP_3) | instskip(NEXT) | instid1(VALU_DEP_3)
	v_lshl_add_u32 v21, 0x100000, v19, -1
	v_lshrrev_b32_e32 v22, v19, v18
	v_lshlrev_b32_e64 v24, v19, 0x80000
	s_delay_alu instid0(VALU_DEP_4) | instskip(NEXT) | instid1(VALU_DEP_4)
	v_add_nc_u32_e32 v19, v19, v16
	v_and_b32_e32 v18, v21, v18
	s_delay_alu instid0(VALU_DEP_4) | instskip(NEXT) | instid1(VALU_DEP_2)
	v_bfe_u32 v23, v22, 20, 1
	v_cmp_eq_u32_e64 s11, v18, v24
	s_delay_alu instid0(VALU_DEP_2) | instskip(NEXT) | instid1(VALU_DEP_1)
	v_add_nc_u32_e32 v21, -1, v23
	v_cndmask_b32_e64 v18, 0, v21, s11
	v_lshrrev_b32_e32 v21, 23, v22
	s_mov_b32 s11, exec_lo
	s_delay_alu instid0(VALU_DEP_2) | instskip(NEXT) | instid1(VALU_DEP_2)
	v_add_nc_u32_e32 v18, v18, v22
	v_xor_b32_e32 v21, 1, v21
	s_delay_alu instid0(VALU_DEP_2) | instskip(NEXT) | instid1(VALU_DEP_1)
	v_and_b32_e32 v16, 0xfffff, v18
	v_add_nc_u32_e32 v18, v16, v22
                                        ; implicit-def: $vgpr16
	s_delay_alu instid0(VALU_DEP_3)
	v_cmpx_ne_u32_e64 v19, v21
	s_xor_b32 s11, exec_lo, s11
; %bb.5229:                             ;   in Loop: Header=BB6_5205 Depth=2
	s_delay_alu instid0(VALU_DEP_2) | instskip(SKIP_2) | instid1(VALU_DEP_2)
	v_cmp_lt_u32_e32 vcc_lo, 0xffffff, v18
	v_sub_nc_u32_e32 v16, v19, v21
	v_cndmask_b32_e64 v19, 0, 1, vcc_lo
	v_add_co_ci_u32_e32 v16, vcc_lo, 0, v16, vcc_lo
	s_delay_alu instid0(VALU_DEP_2)
	v_lshrrev_b32_e32 v18, v19, v18
; %bb.5230:                             ;   in Loop: Header=BB6_5205 Depth=2
	s_and_not1_saveexec_b32 s11, s11
	s_cbranch_execz .LBB6_5202
; %bb.5231:                             ;   in Loop: Header=BB6_5205 Depth=2
	s_delay_alu instid0(VALU_DEP_1)
	v_bfe_u32 v16, v18, 23, 1
	s_branch .LBB6_5202
.LBB6_5232:                             ;   in Loop: Header=BB6_5205 Depth=2
	s_mov_b32 s11, -1
	s_mov_b32 s27, exec_lo
                                        ; implicit-def: $sgpr25
	v_cmpx_eq_u16_e32 0x80, v21
; %bb.5233:                             ;   in Loop: Header=BB6_5205 Depth=2
	s_mov_b32 s25, 0x7f800001
	s_xor_b32 s11, exec_lo, -1
; %bb.5234:                             ;   in Loop: Header=BB6_5205 Depth=2
	s_or_b32 exec_lo, exec_lo, s27
	s_delay_alu instid0(SALU_CYCLE_1)
	s_and_b32 s11, s11, exec_lo
                                        ; implicit-def: $vgpr21
	s_or_saveexec_b32 s26, s26
	v_mov_b32_e32 v20, s25
	s_xor_b32 exec_lo, exec_lo, s26
	s_cbranch_execz .LBB6_5208
.LBB6_5235:                             ;   in Loop: Header=BB6_5205 Depth=2
	v_cmp_ne_u16_e32 vcc_lo, 0, v21
	v_mov_b32_e32 v20, 0
	s_and_not1_b32 s11, s11, exec_lo
	s_and_b32 s25, vcc_lo, exec_lo
	s_delay_alu instid0(SALU_CYCLE_1)
	s_or_b32 s11, s11, s25
	s_or_b32 exec_lo, exec_lo, s26
	s_and_saveexec_b32 s25, s11
	s_cbranch_execnz .LBB6_5209
	s_branch .LBB6_5210
.LBB6_5236:                             ;   in Loop: Header=BB6_5205 Depth=2
	s_mov_b32 s11, -1
	s_mov_b32 s27, exec_lo
                                        ; implicit-def: $sgpr25
	v_cmpx_eq_u16_e32 0x80, v21
; %bb.5237:                             ;   in Loop: Header=BB6_5205 Depth=2
	s_mov_b32 s25, 0x7f800001
	s_xor_b32 s11, exec_lo, -1
; %bb.5238:                             ;   in Loop: Header=BB6_5205 Depth=2
	s_or_b32 exec_lo, exec_lo, s27
	s_delay_alu instid0(SALU_CYCLE_1)
	s_and_b32 s11, s11, exec_lo
                                        ; implicit-def: $vgpr21
	s_or_saveexec_b32 s26, s26
	v_mov_b32_e32 v22, s25
	s_xor_b32 exec_lo, exec_lo, s26
	s_cbranch_execz .LBB6_5212
.LBB6_5239:                             ;   in Loop: Header=BB6_5205 Depth=2
	v_cmp_ne_u16_e32 vcc_lo, 0, v21
	v_mov_b32_e32 v22, 0
	s_and_not1_b32 s11, s11, exec_lo
	s_and_b32 s25, vcc_lo, exec_lo
	s_delay_alu instid0(SALU_CYCLE_1)
	s_or_b32 s11, s11, s25
	s_or_b32 exec_lo, exec_lo, s26
	s_and_saveexec_b32 s25, s11
	s_cbranch_execnz .LBB6_5213
	s_branch .LBB6_5214
.LBB6_5240:                             ;   in Loop: Header=BB6_5205 Depth=2
	s_mov_b32 s11, -1
	s_mov_b32 s27, exec_lo
                                        ; implicit-def: $sgpr25
	v_cmpx_eq_u16_e32 0x80, v21
; %bb.5241:                             ;   in Loop: Header=BB6_5205 Depth=2
	s_mov_b32 s25, 0x7f800001
	s_xor_b32 s11, exec_lo, -1
; %bb.5242:                             ;   in Loop: Header=BB6_5205 Depth=2
	s_or_b32 exec_lo, exec_lo, s27
	s_delay_alu instid0(SALU_CYCLE_1)
	s_and_b32 s11, s11, exec_lo
                                        ; implicit-def: $vgpr21
	s_or_saveexec_b32 s26, s26
	v_mov_b32_e32 v20, s25
	s_xor_b32 exec_lo, exec_lo, s26
	s_cbranch_execz .LBB6_5219
.LBB6_5243:                             ;   in Loop: Header=BB6_5205 Depth=2
	v_cmp_ne_u16_e32 vcc_lo, 0, v21
	v_mov_b32_e32 v20, 0
	s_and_not1_b32 s11, s11, exec_lo
	s_and_b32 s25, vcc_lo, exec_lo
	s_delay_alu instid0(SALU_CYCLE_1)
	s_or_b32 s11, s11, s25
	s_or_b32 exec_lo, exec_lo, s26
	s_and_saveexec_b32 s25, s11
	s_cbranch_execnz .LBB6_5220
	s_branch .LBB6_5221
.LBB6_5244:                             ;   in Loop: Header=BB6_5205 Depth=2
	s_mov_b32 s11, -1
	s_mov_b32 s27, exec_lo
                                        ; implicit-def: $sgpr25
	v_cmpx_eq_u16_e32 0x80, v18
; %bb.5245:                             ;   in Loop: Header=BB6_5205 Depth=2
	s_mov_b32 s25, 0x7f800001
	s_xor_b32 s11, exec_lo, -1
; %bb.5246:                             ;   in Loop: Header=BB6_5205 Depth=2
	s_or_b32 exec_lo, exec_lo, s27
	s_delay_alu instid0(SALU_CYCLE_1)
	s_and_b32 s11, s11, exec_lo
                                        ; implicit-def: $vgpr18
	s_or_saveexec_b32 s26, s26
	v_mov_b32_e32 v19, s25
	s_xor_b32 exec_lo, exec_lo, s26
	s_cbranch_execz .LBB6_5223
.LBB6_5247:                             ;   in Loop: Header=BB6_5205 Depth=2
	v_cmp_ne_u16_e32 vcc_lo, 0, v18
	v_mov_b32_e32 v19, 0
	s_and_not1_b32 s11, s11, exec_lo
	s_and_b32 s25, vcc_lo, exec_lo
	s_delay_alu instid0(SALU_CYCLE_1)
	s_or_b32 s11, s11, s25
	s_or_b32 exec_lo, exec_lo, s26
	s_and_saveexec_b32 s25, s11
	s_cbranch_execnz .LBB6_5224
	s_branch .LBB6_5225
.LBB6_5248:                             ;   in Loop: Header=BB6_53 Depth=1
	s_or_b32 exec_lo, exec_lo, s12
	v_cmp_ne_u32_e64 s11, 0, v87
.LBB6_5249:                             ;   in Loop: Header=BB6_53 Depth=1
	s_and_saveexec_b32 s12, s3
	s_cbranch_execz .LBB6_5271
; %bb.5250:                             ;   in Loop: Header=BB6_53 Depth=1
	s_and_saveexec_b32 s23, s4
	s_delay_alu instid0(SALU_CYCLE_1)
	s_xor_b32 s23, exec_lo, s23
	s_cbranch_execz .LBB6_5268
; %bb.5251:                             ;   in Loop: Header=BB6_53 Depth=1
	s_and_saveexec_b32 s24, s5
	s_cbranch_execz .LBB6_5267
; %bb.5252:                             ;   in Loop: Header=BB6_53 Depth=1
	s_mov_b32 s26, exec_lo
	s_mov_b32 s25, exec_lo
	v_mbcnt_lo_u32_b32 v10, s26, 0
	s_waitcnt vmcnt(0) lgkmcnt(0)
	s_waitcnt_vscnt null, 0x0
	buffer_gl1_inv
	buffer_gl0_inv
	v_cmpx_eq_u32_e32 0, v10
	s_cbranch_execz .LBB6_5254
; %bb.5253:                             ;   in Loop: Header=BB6_53 Depth=1
	s_bcnt1_i32_b32 s26, s26
	s_delay_alu instid0(SALU_CYCLE_1)
	v_mov_b32_e32 v29, s26
	ds_add_u64 v0, v[29:30]
	s_cbranch_execz .LBB6_5254
; %bb.11199:
	s_getpc_b64 s[34:35]
.Lpost_getpc118:
	s_add_u32 s34, s34, (.LBB6_11069-.Lpost_getpc118)&4294967295
	s_addc_u32 s35, s35, (.LBB6_11069-.Lpost_getpc118)>>32
	s_setpc_b64 s[34:35]
.LBB6_5254:                             ;   in Loop: Header=BB6_53 Depth=1
	s_or_b32 exec_lo, exec_lo, s25
	s_cbranch_execz .LBB6_5255
; %bb.11201:
	s_getpc_b64 s[34:35]
.Lpost_getpc119:
	s_add_u32 s34, s34, (.LBB6_11047-.Lpost_getpc119)&4294967295
	s_addc_u32 s35, s35, (.LBB6_11047-.Lpost_getpc119)>>32
	s_setpc_b64 s[34:35]
.LBB6_5255:                             ;   in Loop: Header=BB6_53 Depth=1
	ds_load_b64 v[10:11], v0
	v_add_co_u32 v70, vcc_lo, v70, v115
	v_add_co_ci_u32_e32 v71, vcc_lo, 0, v71, vcc_lo
	s_mov_b32 s25, exec_lo
	s_waitcnt lgkmcnt(0)
	s_delay_alu instid0(VALU_DEP_1)
	v_cmpx_lt_u64_e64 v[10:11], v[70:71]
	s_cbranch_execz .LBB6_5266
; %bb.5256:                             ;   in Loop: Header=BB6_53 Depth=1
	s_mov_b32 s26, 0
	s_mov_b32 s29, 0
                                        ; implicit-def: $sgpr27
                                        ; implicit-def: $sgpr28
	s_branch .LBB6_5258
.LBB6_5257:                             ;   in Loop: Header=BB6_5258 Depth=2
	s_or_b32 exec_lo, exec_lo, s30
	s_delay_alu instid0(SALU_CYCLE_1) | instskip(NEXT) | instid1(SALU_CYCLE_1)
	s_and_b32 vcc_lo, exec_lo, vcc_lo
	s_or_b32 s26, vcc_lo, s26
	s_and_not1_b32 s27, s27, exec_lo
	s_and_b32 vcc_lo, s28, exec_lo
	s_delay_alu instid0(SALU_CYCLE_1)
	s_or_b32 s27, s27, vcc_lo
	s_and_not1_b32 exec_lo, exec_lo, s26
	s_cbranch_execz .LBB6_5264
.LBB6_5258:                             ;   Parent Loop BB6_53 Depth=1
                                        ; =>  This Inner Loop Header: Depth=2
	s_add_i32 s29, s29, 1
                                        ; implicit-def: $sgpr30
	s_delay_alu instid0(SALU_CYCLE_1) | instskip(SKIP_1) | instid1(SALU_CYCLE_1)
	s_cmpk_lg_i32 s29, 0x2710
	s_cselect_b32 vcc_hi, -1, 0
	s_and_b32 vcc_lo, exec_lo, vcc_hi
	s_cbranch_vccz .LBB6_5262
.LBB6_5259:                             ;   in Loop: Header=BB6_5258 Depth=2
	s_and_not1_b32 s28, s28, exec_lo
	s_and_b32 s30, s30, exec_lo
	s_mov_b32 vcc_lo, -1
	s_or_b32 s28, s28, s30
	s_and_saveexec_b32 s30, vcc_hi
	s_cbranch_execz .LBB6_5257
; %bb.5260:                             ;   in Loop: Header=BB6_5258 Depth=2
	s_sleep 1
	s_cbranch_execz .LBB6_5261
; %bb.11203:
	s_getpc_b64 s[34:35]
.Lpost_getpc120:
	s_add_u32 s34, s34, (.LBB6_11085-.Lpost_getpc120)&4294967295
	s_addc_u32 s35, s35, (.LBB6_11085-.Lpost_getpc120)>>32
	s_setpc_b64 s[34:35]
.LBB6_5261:                             ;   in Loop: Header=BB6_5258 Depth=2
	ds_load_b64 v[10:11], v0
	s_and_not1_b32 s28, s28, exec_lo
	s_waitcnt lgkmcnt(0)
	v_cmp_ge_u64_e32 vcc_lo, v[10:11], v[70:71]
	s_or_not1_b32 vcc_lo, vcc_lo, exec_lo
	s_branch .LBB6_5257
.LBB6_5262:                             ;   in Loop: Header=BB6_5258 Depth=2
	s_cbranch_execz .LBB6_5263
; %bb.11205:
	s_getpc_b64 s[34:35]
.Lpost_getpc121:
	s_add_u32 s34, s34, (.LBB6_11089-.Lpost_getpc121)&4294967295
	s_addc_u32 s35, s35, (.LBB6_11089-.Lpost_getpc121)>>32
	s_setpc_b64 s[34:35]
.LBB6_5263:                             ;   in Loop: Header=BB6_5258 Depth=2
	ds_load_b64 v[10:11], v0
	s_mov_b32 s29, 0
	s_mov_b32 s30, -1
	s_waitcnt lgkmcnt(0)
	flat_load_b32 v10, v[10:11] glc
	s_waitcnt vmcnt(0) lgkmcnt(0)
	buffer_gl1_inv
	buffer_gl0_inv
	v_cmp_eq_u32_e32 vcc_lo, 0, v10
	s_and_not1_b32 vcc_hi, vcc_hi, exec_lo
	s_and_b32 vcc_lo, vcc_lo, exec_lo
	s_delay_alu instid0(SALU_CYCLE_1)
	s_or_b32 vcc_hi, vcc_hi, vcc_lo
	s_branch .LBB6_5259
.LBB6_5264:                             ;   in Loop: Header=BB6_53 Depth=1
	s_or_b32 exec_lo, exec_lo, s26
	s_and_saveexec_b32 s26, s27
	s_delay_alu instid0(SALU_CYCLE_1)
	s_xor_b32 s26, exec_lo, s26
	s_cbranch_execz .LBB6_5266
; %bb.5265:                             ;   in Loop: Header=BB6_53 Depth=1
	ds_store_b32 v0, v145
	s_cbranch_execz .LBB6_5266
; %bb.11207:
	s_getpc_b64 s[34:35]
.Lpost_getpc122:
	s_add_u32 s34, s34, (.LBB6_11113-.Lpost_getpc122)&4294967295
	s_addc_u32 s35, s35, (.LBB6_11113-.Lpost_getpc122)>>32
	s_setpc_b64 s[34:35]
.LBB6_5266:                             ;   in Loop: Header=BB6_53 Depth=1
	s_or_b32 exec_lo, exec_lo, s25
	;;#ASMSTART
	s_wakeup
	;;#ASMEND
.LBB6_5267:                             ;   in Loop: Header=BB6_53 Depth=1
	s_or_b32 exec_lo, exec_lo, s24
.LBB6_5268:                             ;   in Loop: Header=BB6_53 Depth=1
	s_and_not1_saveexec_b32 s23, s23
	s_cbranch_execz .LBB6_5270
; %bb.5269:                             ;   in Loop: Header=BB6_53 Depth=1
	s_waitcnt vmcnt(0) lgkmcnt(0)
	s_waitcnt_vscnt null, 0x0
	buffer_gl1_inv
	buffer_gl0_inv
	s_barrier
.LBB6_5270:                             ;   in Loop: Header=BB6_53 Depth=1
	s_or_b32 exec_lo, exec_lo, s23
.LBB6_5271:                             ;   in Loop: Header=BB6_53 Depth=1
	s_delay_alu instid0(SALU_CYCLE_1) | instskip(SKIP_1) | instid1(VALU_DEP_1)
	s_or_b32 exec_lo, exec_lo, s12
	v_and_b32_e32 v10, 16, v103
	v_cmp_ne_u32_e32 vcc_lo, 0, v10
	s_and_b32 s12, vcc_lo, s11
	s_delay_alu instid0(SALU_CYCLE_1)
	s_and_saveexec_b32 s11, s12
	s_cbranch_execz .LBB6_5273
; %bb.5272:                             ;   in Loop: Header=BB6_53 Depth=1
	s_waitcnt vmcnt(0) lgkmcnt(0)
	s_waitcnt_vscnt null, 0x0
	buffer_gl1_inv
	buffer_gl0_inv
.LBB6_5273:                             ;   in Loop: Header=BB6_53 Depth=1
	s_or_b32 exec_lo, exec_lo, s11
	v_cmp_ne_u32_e32 vcc_lo, 0, v10
	s_xor_b32 s11, s10, -1
	s_delay_alu instid0(SALU_CYCLE_1) | instskip(NEXT) | instid1(SALU_CYCLE_1)
	s_and_b32 s12, vcc_lo, s11
	s_and_saveexec_b32 s11, s12
	s_cbranch_execz .LBB6_5275
; %bb.5274:                             ;   in Loop: Header=BB6_53 Depth=1
	s_waitcnt vmcnt(0) lgkmcnt(0)
	s_waitcnt_vscnt null, 0x0
	flat_store_b32 v[82:83], v145
.LBB6_5275:                             ;   in Loop: Header=BB6_53 Depth=1
	s_or_b32 exec_lo, exec_lo, s11
	v_and_b32_e32 v10, 48, v103
	s_mov_b32 s11, exec_lo
	s_delay_alu instid0(VALU_DEP_1)
	v_cmpx_ne_u32_e32 0, v10
	s_cbranch_execz .LBB6_5277
; %bb.5276:                             ;   in Loop: Header=BB6_53 Depth=1
	v_add_co_u32 v8, vcc_lo, v8, 1
	v_add_co_ci_u32_e32 v9, vcc_lo, 0, v9, vcc_lo
	s_waitcnt vmcnt(0) lgkmcnt(0)
	s_waitcnt_vscnt null, 0x0
	flat_store_b64 v[64:65], v[8:9]
.LBB6_5277:                             ;   in Loop: Header=BB6_53 Depth=1
	s_or_b32 exec_lo, exec_lo, s11
	v_mov_b32_e32 v12, v96
.LBB6_5278:                             ;   in Loop: Header=BB6_53 Depth=1
	s_or_b32 exec_lo, exec_lo, s22
	s_and_saveexec_b32 s12, s21
	s_cbranch_execz .LBB6_5338
; %bb.5279:                             ;   in Loop: Header=BB6_53 Depth=1
	v_and_b32_e32 v10, 12, v103
	s_mov_b32 s21, -1
	s_mov_b32 s11, exec_lo
	s_delay_alu instid0(VALU_DEP_1)
	v_cmpx_ne_u32_e32 0, v10
	s_cbranch_execz .LBB6_5293
; %bb.5280:                             ;   in Loop: Header=BB6_53 Depth=1
	v_and_b32_e32 v13, 8, v103
	s_delay_alu instid0(VALU_DEP_1) | instskip(SKIP_4) | instid1(VALU_DEP_1)
	v_add_co_u32 v14, vcc_lo, v68, v13
	v_add_co_ci_u32_e32 v15, vcc_lo, 0, v69, vcc_lo
	s_waitcnt lgkmcnt(0)
	v_add_co_u32 v10, vcc_lo, v8, 1
	v_add_co_ci_u32_e32 v11, vcc_lo, 0, v9, vcc_lo
	v_cmp_lt_u64_e32 vcc_lo, v[14:15], v[10:11]
	v_mov_b32_e32 v14, 1
	s_and_saveexec_b32 s21, vcc_lo
	s_cbranch_execz .LBB6_5292
; %bb.5281:                             ;   in Loop: Header=BB6_53 Depth=1
	v_mov_b32_e32 v14, 0
	s_mov_b32 s22, 0
                                        ; implicit-def: $sgpr23
	s_branch .LBB6_5285
.LBB6_5282:                             ;   in Loop: Header=BB6_5285 Depth=2
	s_or_b32 exec_lo, exec_lo, s27
	v_mov_b32_e32 v15, 0
	s_or_not1_b32 s26, s26, exec_lo
.LBB6_5283:                             ;   in Loop: Header=BB6_5285 Depth=2
	s_or_b32 exec_lo, exec_lo, s25
	s_delay_alu instid0(VALU_DEP_1) | instskip(SKIP_2) | instid1(SALU_CYCLE_1)
	v_mov_b32_e32 v14, v15
	s_and_not1_b32 s23, s23, exec_lo
	s_and_b32 s25, s26, exec_lo
	s_or_b32 s23, s23, s25
.LBB6_5284:                             ;   in Loop: Header=BB6_5285 Depth=2
	s_or_b32 exec_lo, exec_lo, s24
	s_waitcnt vmcnt(0) lgkmcnt(0)
	v_add_co_u32 v15, vcc_lo, v68, v13
	v_add_co_ci_u32_e32 v16, vcc_lo, 0, v69, vcc_lo
	s_xor_b32 s24, s23, -1
	s_delay_alu instid0(VALU_DEP_1) | instskip(SKIP_1) | instid1(SALU_CYCLE_1)
	v_cmp_ge_u64_e32 vcc_lo, v[15:16], v[10:11]
	s_or_b32 s24, s24, vcc_lo
	s_and_b32 s24, exec_lo, s24
	s_delay_alu instid0(SALU_CYCLE_1) | instskip(NEXT) | instid1(SALU_CYCLE_1)
	s_or_b32 s22, s24, s22
	s_and_not1_b32 exec_lo, exec_lo, s22
	s_cbranch_execz .LBB6_5291
.LBB6_5285:                             ;   Parent Loop BB6_53 Depth=1
                                        ; =>  This Inner Loop Header: Depth=2
	s_sleep 1
	flat_load_b64 v[68:69], v[64:65] glc
	v_and_b32_e32 v15, 64, v103
	s_and_not1_b32 s23, s23, exec_lo
	s_mov_b32 s24, exec_lo
	s_delay_alu instid0(VALU_DEP_1)
	v_cmpx_eq_u32_e32 0, v15
	s_cbranch_execz .LBB6_5284
; %bb.5286:                             ;   in Loop: Header=BB6_5285 Depth=2
	v_add_nc_u32_e32 v15, 1, v14
	s_mov_b32 s26, -1
	s_mov_b32 s25, exec_lo
	v_cmpx_lt_i32_e32 0x270e, v14
	s_cbranch_execz .LBB6_5283
; %bb.5287:                             ;   in Loop: Header=BB6_5285 Depth=2
	s_cbranch_execz .LBB6_5288
; %bb.11209:
	s_getpc_b64 s[34:35]
.Lpost_getpc123:
	s_add_u32 s34, s34, (.LBB6_10933-.Lpost_getpc123)&4294967295
	s_addc_u32 s35, s35, (.LBB6_10933-.Lpost_getpc123)>>32
	s_setpc_b64 s[34:35]
.LBB6_5288:                             ;   in Loop: Header=BB6_5285 Depth=2
	ds_load_b64 v[14:15], v0
	s_mov_b32 s27, exec_lo
	s_waitcnt vmcnt(0) lgkmcnt(0)
	s_waitcnt_vscnt null, 0x0
	flat_load_b32 v14, v[14:15] glc
	s_waitcnt vmcnt(0) lgkmcnt(0)
	buffer_gl1_inv
	buffer_gl0_inv
	v_cmpx_ne_u32_e32 0, v14
	s_cbranch_execz .LBB6_5282
; %bb.5289:                             ;   in Loop: Header=BB6_5285 Depth=2
	ds_store_b32 v0, v14
	s_cbranch_execz .LBB6_5290
; %bb.11211:
	s_getpc_b64 s[34:35]
.Lpost_getpc124:
	s_add_u32 s34, s34, (.LBB6_10959-.Lpost_getpc124)&4294967295
	s_addc_u32 s35, s35, (.LBB6_10959-.Lpost_getpc124)>>32
	s_setpc_b64 s[34:35]
.LBB6_5290:                             ;   in Loop: Header=BB6_5285 Depth=2
	v_or_b32_e32 v103, 64, v103
	s_xor_b32 s26, exec_lo, -1
	s_branch .LBB6_5282
.LBB6_5291:                             ;   in Loop: Header=BB6_53 Depth=1
	s_or_b32 exec_lo, exec_lo, s22
	v_and_b32_e32 v14, 12, v103
.LBB6_5292:                             ;   in Loop: Header=BB6_53 Depth=1
	s_or_b32 exec_lo, exec_lo, s21
	s_delay_alu instid0(VALU_DEP_1)
	v_cmp_eq_u32_e32 vcc_lo, 0, v14
	;;#ASMSTART
	s_wakeup
	;;#ASMEND
	s_or_not1_b32 s21, vcc_lo, exec_lo
.LBB6_5293:                             ;   in Loop: Header=BB6_53 Depth=1
	s_or_b32 exec_lo, exec_lo, s11
	v_sub_nc_u32_e32 v10, v86, v12
	s_xor_b32 s11, s21, -1
	s_delay_alu instid0(VALU_DEP_1)
	v_min_i32_e32 v10, v96, v10
	s_and_saveexec_b32 s21, s11
	s_cbranch_execz .LBB6_5308
; %bb.5294:                             ;   in Loop: Header=BB6_53 Depth=1
	v_and_b32_e32 v11, 0x108, v103
	s_mov_b32 s11, exec_lo
	s_delay_alu instid0(VALU_DEP_1)
	v_cmpx_ne_u32_e32 0x108, v11
	s_xor_b32 s11, exec_lo, s11
                                        ; implicit-def: $vgpr12_vgpr13
	s_cbranch_execz .LBB6_5296
; %bb.5295:                             ;   in Loop: Header=BB6_53 Depth=1
	s_waitcnt lgkmcnt(0)
	v_and_b32_e32 v12, 7, v8
.LBB6_5296:                             ;   in Loop: Header=BB6_53 Depth=1
	s_and_not1_saveexec_b32 s11, s11
	s_cbranch_execz .LBB6_5298
; %bb.5297:                             ;   in Loop: Header=BB6_53 Depth=1
	s_waitcnt lgkmcnt(0)
	v_and_b32_e32 v12, 7, v8
	v_ashrrev_i32_e32 v11, 31, v10
	s_delay_alu instid0(VALU_DEP_2)
	v_mad_u64_u32 v[13:14], null, v12, 24, v[6:7]
	flat_store_b64 v[13:14], v[10:11] offset:8
.LBB6_5298:                             ;   in Loop: Header=BB6_53 Depth=1
	s_or_b32 exec_lo, exec_lo, s11
	v_and_b32_e32 v11, 0x100, v103
	s_mov_b32 s11, -1
	s_mov_b32 s22, exec_lo
                                        ; implicit-def: $vgpr13_vgpr14
	s_delay_alu instid0(VALU_DEP_1)
	v_cmpx_ne_u32_e32 0, v11
	s_cbranch_execnz .LBB6_5301
; %bb.5299:                             ;   in Loop: Header=BB6_53 Depth=1
	s_or_b32 exec_lo, exec_lo, s22
	s_and_saveexec_b32 s22, s11
	s_cbranch_execnz .LBB6_5304
.LBB6_5300:                             ;   in Loop: Header=BB6_53 Depth=1
	s_or_b32 exec_lo, exec_lo, s22
	s_cbranch_execz .LBB6_5305
; %bb.11213:
	s_getpc_b64 s[34:35]
.Lpost_getpc125:
	s_add_u32 s34, s34, (.LBB6_10925-.Lpost_getpc125)&4294967295
	s_addc_u32 s35, s35, (.LBB6_10925-.Lpost_getpc125)>>32
	s_setpc_b64 s[34:35]
.LBB6_5301:                             ;   in Loop: Header=BB6_53 Depth=1
	v_mad_u64_u32 v[15:16], null, v12, 24, v[6:7]
	s_mov_b32 s23, exec_lo
	s_delay_alu instid0(VALU_DEP_1) | instskip(NEXT) | instid1(VALU_DEP_1)
	v_mov_b32_e32 v11, v16
	v_mad_u64_u32 v[13:14], null, v30, 24, v[11:12]
	s_delay_alu instid0(VALU_DEP_1)
	v_mov_b32_e32 v16, v13
                                        ; implicit-def: $vgpr13_vgpr14
	flat_load_b32 v11, v[15:16]
	s_waitcnt vmcnt(0) lgkmcnt(0)
	v_cmp_ne_u32_e32 vcc_lo, 1, v11
	v_cmpx_eq_u32_e32 1, v11
	s_cbranch_execz .LBB6_5303
; %bb.5302:                             ;   in Loop: Header=BB6_53 Depth=1
	flat_load_b32 v13, v[15:16] offset:4 glc
	s_waitcnt vmcnt(0) lgkmcnt(0)
	v_ashrrev_i32_e32 v14, 31, v13
.LBB6_5303:                             ;   in Loop: Header=BB6_53 Depth=1
	s_or_b32 exec_lo, exec_lo, s23
	s_delay_alu instid0(SALU_CYCLE_1)
	s_or_not1_b32 s11, vcc_lo, exec_lo
	s_or_b32 exec_lo, exec_lo, s22
	s_and_saveexec_b32 s22, s11
	s_cbranch_execz .LBB6_5300
.LBB6_5304:                             ;   in Loop: Header=BB6_53 Depth=1
	v_mul_lo_u32 v11, v30, v113
	v_mul_lo_u32 v15, v12, v114
	v_mad_u64_u32 v[13:14], null, v12, v113, 0
	s_delay_alu instid0(VALU_DEP_1)
	v_add3_u32 v14, v14, v15, v11
	s_or_b32 exec_lo, exec_lo, s22
	s_cbranch_execz .LBB6_5305
; %bb.11215:
	s_getpc_b64 s[34:35]
.Lpost_getpc126:
	s_add_u32 s34, s34, (.LBB6_10925-.Lpost_getpc126)&4294967295
	s_addc_u32 s35, s35, (.LBB6_10925-.Lpost_getpc126)>>32
	s_setpc_b64 s[34:35]
.LBB6_5305:                             ;   in Loop: Header=BB6_53 Depth=1
	s_waitcnt lgkmcnt(0)
	s_delay_alu instid0(VALU_DEP_2)
	v_add_co_u32 v11, vcc_lo, v66, v13
	v_and_b32_e32 v15, 0x2000, v103
	v_add_co_ci_u32_e32 v12, vcc_lo, v67, v14, vcc_lo
	s_mov_b32 s11, exec_lo
	ds_store_b64 v0, v[11:12]
	v_cmpx_ne_u32_e32 0, v15
	s_cbranch_execz .LBB6_5307
; %bb.5306:                             ;   in Loop: Header=BB6_53 Depth=1
	ds_load_b64 v[11:12], v0 offset:584
	s_waitcnt lgkmcnt(0)
	v_add_co_u32 v11, vcc_lo, v11, 1
	v_add_co_ci_u32_e32 v12, vcc_lo, 0, v12, vcc_lo
	ds_store_b64 v0, v[11:12] offset:584
.LBB6_5307:                             ;   in Loop: Header=BB6_53 Depth=1
	s_or_b32 exec_lo, exec_lo, s11
	v_add_co_u32 v8, vcc_lo, v8, 1
	v_add_co_ci_u32_e32 v9, vcc_lo, 0, v9, vcc_lo
.LBB6_5308:                             ;   in Loop: Header=BB6_53 Depth=1
	s_or_b32 exec_lo, exec_lo, s21
	s_and_saveexec_b32 s11, s3
	s_cbranch_execz .LBB6_5330
; %bb.5309:                             ;   in Loop: Header=BB6_53 Depth=1
	s_and_saveexec_b32 s21, s4
	s_delay_alu instid0(SALU_CYCLE_1)
	s_xor_b32 s21, exec_lo, s21
	s_cbranch_execz .LBB6_5327
; %bb.5310:                             ;   in Loop: Header=BB6_53 Depth=1
	s_and_saveexec_b32 s22, s5
	s_cbranch_execz .LBB6_5326
; %bb.5311:                             ;   in Loop: Header=BB6_53 Depth=1
	s_mov_b32 s24, exec_lo
	s_mov_b32 s23, exec_lo
	v_mbcnt_lo_u32_b32 v11, s24, 0
	s_waitcnt vmcnt(0) lgkmcnt(0)
	s_waitcnt_vscnt null, 0x0
	buffer_gl1_inv
	buffer_gl0_inv
	v_cmpx_eq_u32_e32 0, v11
	s_cbranch_execz .LBB6_5313
; %bb.5312:                             ;   in Loop: Header=BB6_53 Depth=1
	s_bcnt1_i32_b32 s24, s24
	s_delay_alu instid0(SALU_CYCLE_1)
	v_mov_b32_e32 v29, s24
	ds_add_u64 v0, v[29:30]
	s_cbranch_execz .LBB6_5313
; %bb.11217:
	s_getpc_b64 s[34:35]
.Lpost_getpc127:
	s_add_u32 s34, s34, (.LBB6_10991-.Lpost_getpc127)&4294967295
	s_addc_u32 s35, s35, (.LBB6_10991-.Lpost_getpc127)>>32
	s_setpc_b64 s[34:35]
.LBB6_5313:                             ;   in Loop: Header=BB6_53 Depth=1
	s_or_b32 exec_lo, exec_lo, s23
	s_cbranch_execz .LBB6_5314
; %bb.11219:
	s_getpc_b64 s[34:35]
.Lpost_getpc128:
	s_add_u32 s34, s34, (.LBB6_10975-.Lpost_getpc128)&4294967295
	s_addc_u32 s35, s35, (.LBB6_10975-.Lpost_getpc128)>>32
	s_setpc_b64 s[34:35]
.LBB6_5314:                             ;   in Loop: Header=BB6_53 Depth=1
	ds_load_b64 v[11:12], v0
	v_add_co_u32 v70, vcc_lo, v70, v115
	v_add_co_ci_u32_e32 v71, vcc_lo, 0, v71, vcc_lo
	s_mov_b32 s23, exec_lo
	s_waitcnt lgkmcnt(0)
	s_delay_alu instid0(VALU_DEP_1)
	v_cmpx_lt_u64_e64 v[11:12], v[70:71]
	s_cbranch_execz .LBB6_5325
; %bb.5315:                             ;   in Loop: Header=BB6_53 Depth=1
	s_mov_b32 s24, 0
	s_mov_b32 s27, 0
                                        ; implicit-def: $sgpr25
                                        ; implicit-def: $sgpr26
	s_branch .LBB6_5317
.LBB6_5316:                             ;   in Loop: Header=BB6_5317 Depth=2
	s_or_b32 exec_lo, exec_lo, vcc_hi
	s_delay_alu instid0(SALU_CYCLE_1) | instskip(NEXT) | instid1(SALU_CYCLE_1)
	s_and_b32 s28, exec_lo, s29
	s_or_b32 s24, s28, s24
	s_and_not1_b32 s25, s25, exec_lo
	s_and_b32 s28, s26, exec_lo
	s_delay_alu instid0(SALU_CYCLE_1)
	s_or_b32 s25, s25, s28
	s_and_not1_b32 exec_lo, exec_lo, s24
	s_cbranch_execz .LBB6_5323
.LBB6_5317:                             ;   Parent Loop BB6_53 Depth=1
                                        ; =>  This Inner Loop Header: Depth=2
	s_add_i32 s27, s27, 1
                                        ; implicit-def: $sgpr29
	s_delay_alu instid0(SALU_CYCLE_1) | instskip(SKIP_1) | instid1(SALU_CYCLE_1)
	s_cmpk_lg_i32 s27, 0x2710
	s_cselect_b32 s28, -1, 0
	s_and_b32 vcc_lo, exec_lo, s28
	s_cbranch_vccz .LBB6_5321
.LBB6_5318:                             ;   in Loop: Header=BB6_5317 Depth=2
	s_and_not1_b32 s26, s26, exec_lo
	s_and_b32 vcc_lo, s29, exec_lo
	s_mov_b32 s29, -1
	s_or_b32 s26, s26, vcc_lo
	s_and_saveexec_b32 vcc_hi, s28
	s_cbranch_execz .LBB6_5316
; %bb.5319:                             ;   in Loop: Header=BB6_5317 Depth=2
	s_sleep 1
	s_cbranch_execz .LBB6_5320
; %bb.11221:
	s_getpc_b64 s[34:35]
.Lpost_getpc129:
	s_add_u32 s34, s34, (.LBB6_11027-.Lpost_getpc129)&4294967295
	s_addc_u32 s35, s35, (.LBB6_11027-.Lpost_getpc129)>>32
	s_setpc_b64 s[34:35]
.LBB6_5320:                             ;   in Loop: Header=BB6_5317 Depth=2
	ds_load_b64 v[11:12], v0
	s_and_not1_b32 s26, s26, exec_lo
	s_waitcnt lgkmcnt(0)
	v_cmp_ge_u64_e32 vcc_lo, v[11:12], v[70:71]
	s_or_not1_b32 s29, vcc_lo, exec_lo
	s_branch .LBB6_5316
.LBB6_5321:                             ;   in Loop: Header=BB6_5317 Depth=2
	s_cbranch_execz .LBB6_5322
; %bb.11223:
	s_getpc_b64 s[34:35]
.Lpost_getpc130:
	s_add_u32 s34, s34, (.LBB6_11043-.Lpost_getpc130)&4294967295
	s_addc_u32 s35, s35, (.LBB6_11043-.Lpost_getpc130)>>32
	s_setpc_b64 s[34:35]
.LBB6_5322:                             ;   in Loop: Header=BB6_5317 Depth=2
	ds_load_b64 v[11:12], v0
	s_and_not1_b32 s28, s28, exec_lo
	s_mov_b32 s27, 0
	s_mov_b32 s29, -1
	s_waitcnt lgkmcnt(0)
	flat_load_b32 v11, v[11:12] glc
	s_waitcnt vmcnt(0) lgkmcnt(0)
	buffer_gl1_inv
	buffer_gl0_inv
	v_cmp_eq_u32_e32 vcc_lo, 0, v11
	s_and_b32 vcc_lo, vcc_lo, exec_lo
	s_delay_alu instid0(SALU_CYCLE_1)
	s_or_b32 s28, s28, vcc_lo
	s_branch .LBB6_5318
.LBB6_5323:                             ;   in Loop: Header=BB6_53 Depth=1
	s_or_b32 exec_lo, exec_lo, s24
	s_and_saveexec_b32 s24, s25
	s_delay_alu instid0(SALU_CYCLE_1)
	s_xor_b32 s24, exec_lo, s24
	s_cbranch_execz .LBB6_5325
; %bb.5324:                             ;   in Loop: Header=BB6_53 Depth=1
	ds_store_b32 v0, v145
	s_cbranch_execz .LBB6_5325
; %bb.11225:
	s_getpc_b64 s[34:35]
.Lpost_getpc131:
	s_add_u32 s34, s34, (.LBB6_11103-.Lpost_getpc131)&4294967295
	s_addc_u32 s35, s35, (.LBB6_11103-.Lpost_getpc131)>>32
	s_setpc_b64 s[34:35]
.LBB6_5325:                             ;   in Loop: Header=BB6_53 Depth=1
	s_or_b32 exec_lo, exec_lo, s23
	;;#ASMSTART
	s_wakeup
	;;#ASMEND
.LBB6_5326:                             ;   in Loop: Header=BB6_53 Depth=1
	s_or_b32 exec_lo, exec_lo, s22
.LBB6_5327:                             ;   in Loop: Header=BB6_53 Depth=1
	s_and_not1_saveexec_b32 s21, s21
	s_cbranch_execz .LBB6_5329
; %bb.5328:                             ;   in Loop: Header=BB6_53 Depth=1
	s_waitcnt vmcnt(0) lgkmcnt(0)
	s_waitcnt_vscnt null, 0x0
	buffer_gl1_inv
	buffer_gl0_inv
	s_barrier
.LBB6_5329:                             ;   in Loop: Header=BB6_53 Depth=1
	s_or_b32 exec_lo, exec_lo, s21
.LBB6_5330:                             ;   in Loop: Header=BB6_53 Depth=1
	s_delay_alu instid0(SALU_CYCLE_1)
	s_or_b32 exec_lo, exec_lo, s11
	s_cbranch_execz .LBB6_5331
; %bb.11227:
	s_getpc_b64 s[34:35]
.Lpost_getpc132:
	s_add_u32 s34, s34, (.LBB6_10914-.Lpost_getpc132)&4294967295
	s_addc_u32 s35, s35, (.LBB6_10914-.Lpost_getpc132)>>32
	s_setpc_b64 s[34:35]
.LBB6_5331:                             ;   in Loop: Header=BB6_53 Depth=1
	ds_load_b32 v11, v0
	v_cmp_lt_i32_e32 vcc_lo, 0, v10
	s_waitcnt lgkmcnt(0)
	v_readfirstlane_b32 s11, v11
	v_and_b32_e32 v11, 16, v103
	s_delay_alu instid0(VALU_DEP_2) | instskip(NEXT) | instid1(VALU_DEP_1)
	s_cmp_eq_u32 s11, 0
	v_cmp_ne_u32_e64 s11, 0, v11
	s_cselect_b32 s21, -1, 0
	s_delay_alu instid0(SALU_CYCLE_1)
	s_and_b32 s21, vcc_lo, s21
	s_delay_alu instid0(VALU_DEP_1) | instid1(SALU_CYCLE_1)
	s_and_b32 s21, s11, s21
	s_delay_alu instid0(SALU_CYCLE_1)
	s_and_saveexec_b32 s11, s21
	s_cbranch_execz .LBB6_5333
; %bb.5332:                             ;   in Loop: Header=BB6_53 Depth=1
	s_waitcnt vmcnt(0)
	s_waitcnt_vscnt null, 0x0
	buffer_gl1_inv
	buffer_gl0_inv
.LBB6_5333:                             ;   in Loop: Header=BB6_53 Depth=1
	s_or_b32 exec_lo, exec_lo, s11
	v_cmp_ne_u32_e32 vcc_lo, 0, v11
	s_xor_b32 s11, s10, -1
	s_delay_alu instid0(SALU_CYCLE_1) | instskip(NEXT) | instid1(SALU_CYCLE_1)
	s_and_b32 s21, vcc_lo, s11
	s_and_saveexec_b32 s11, s21
	s_cbranch_execz .LBB6_5335
; %bb.5334:                             ;   in Loop: Header=BB6_53 Depth=1
	s_waitcnt vmcnt(0)
	s_waitcnt_vscnt null, 0x0
	flat_store_b32 v[82:83], v145
.LBB6_5335:                             ;   in Loop: Header=BB6_53 Depth=1
	s_or_b32 exec_lo, exec_lo, s11
	v_and_b32_e32 v10, 48, v103
	s_mov_b32 s11, exec_lo
	s_delay_alu instid0(VALU_DEP_1)
	v_cmpx_ne_u32_e32 0, v10
	s_cbranch_execz .LBB6_5337
; %bb.5336:                             ;   in Loop: Header=BB6_53 Depth=1
	v_add_co_u32 v8, vcc_lo, v8, 1
	v_add_co_ci_u32_e32 v9, vcc_lo, 0, v9, vcc_lo
	s_waitcnt vmcnt(0) lgkmcnt(0)
	s_waitcnt_vscnt null, 0x0
	flat_store_b64 v[64:65], v[8:9]
.LBB6_5337:                             ;   in Loop: Header=BB6_53 Depth=1
	s_or_b32 exec_lo, exec_lo, s11
.LBB6_5338:                             ;   in Loop: Header=BB6_53 Depth=1
	s_delay_alu instid0(SALU_CYCLE_1) | instskip(SKIP_2) | instid1(VALU_DEP_1)
	s_or_b32 exec_lo, exec_lo, s12
	v_add_co_u32 v84, vcc_lo, v84, v80
	v_add_co_ci_u32_e32 v85, vcc_lo, 0, v85, vcc_lo
	v_cmp_ge_u64_e32 vcc_lo, v[84:85], v[4:5]
	s_or_b32 s18, vcc_lo, s18
	s_delay_alu instid0(SALU_CYCLE_1)
	s_and_not1_b32 exec_lo, exec_lo, s18
	s_cbranch_execz .LBB6_5339
; %bb.11229:                            ;   in Loop: Header=BB6_53 Depth=1
	s_getpc_b64 s[34:35]
.Lpost_getpc133:
	s_add_u32 s34, s34, (.LBB6_53-.Lpost_getpc133)&4294967295
	s_addc_u32 s35, s35, (.LBB6_53-.Lpost_getpc133)>>32
	s_setpc_b64 s[34:35]
.LBB6_5339:
	s_or_b32 exec_lo, exec_lo, s18
.LBB6_5340:
	s_delay_alu instid0(SALU_CYCLE_1)
	s_or_b32 exec_lo, exec_lo, s17
                                        ; implicit-def: $vgpr52_vgpr53
                                        ; implicit-def: $vgpr4_vgpr5
                                        ; implicit-def: $vgpr113
                                        ; implicit-def: $vgpr68_vgpr69
                                        ; implicit-def: $vgpr66_vgpr67
                                        ; implicit-def: $vgpr64_vgpr65
                                        ; implicit-def: $vgpr0
                                        ; implicit-def: $vgpr26
                                        ; implicit-def: $vgpr80_vgpr81
.LBB6_5341:
	s_and_not1_saveexec_b32 s11, s16
	s_cbranch_execnz .LBB6_5342
; %bb.11231:
	s_getpc_b64 s[34:35]
.Lpost_getpc134:
	s_add_u32 s34, s34, (.LBB6_10621-.Lpost_getpc134)&4294967295
	s_addc_u32 s35, s35, (.LBB6_10621-.Lpost_getpc134)>>32
	s_setpc_b64 s[34:35]
.LBB6_5342:
	v_mov_b32_e32 v70, 0
	v_mov_b32_e32 v71, 0
	s_and_saveexec_b32 s12, s1
	s_cbranch_execnz .LBB6_5343
; %bb.11233:
	s_getpc_b64 s[34:35]
.Lpost_getpc135:
	s_add_u32 s34, s34, (.LBB6_10620-.Lpost_getpc135)&4294967295
	s_addc_u32 s35, s35, (.LBB6_10620-.Lpost_getpc135)>>32
	s_setpc_b64 s[34:35]
.LBB6_5343:
	v_cmp_ge_i32_e64 s1, v0, v1
	s_cbranch_execz .LBB6_5344
; %bb.11235:
	s_getpc_b64 s[34:35]
.Lpost_getpc136:
	s_add_u32 s34, s34, (.LBB6_10870-.Lpost_getpc136)&4294967295
	s_addc_u32 s35, s35, (.LBB6_10870-.Lpost_getpc136)>>32
	s_setpc_b64 s[34:35]
.LBB6_5344:
	v_ashrrev_i32_e32 v10, 31, v0
	v_lshrrev_b32_e32 v87, 5, v1
	v_dual_mov_b32 v30, 0 :: v_dual_and_b32 v11, 31, v31
	s_ashr_i32 s4, s14, 31
	s_delay_alu instid0(VALU_DEP_3)
	v_lshrrev_b32_e32 v10, 27, v10
	s_waitcnt lgkmcnt(2)
	v_dual_mov_b32 v82, 0 :: v_dual_lshlrev_b32 v101, 9, v87
	s_lshr_b32 s4, s4, 24
	v_and_b32_e32 v128, 0xffffffe0, v1
	v_dual_mov_b32 v83, 0 :: v_dual_add_nc_u32 v10, v0, v10
	s_delay_alu instid0(VALU_DEP_3) | instskip(SKIP_2) | instid1(VALU_DEP_3)
	v_add_nc_u32_e32 v14, 0xfffffe00, v101
	v_mov_b32_e32 v70, v82
	s_add_i32 s10, s14, s4
	v_dual_mov_b32 v71, v83 :: v_dual_and_b32 v12, 0xffffffe0, v10
	v_ashrrev_i32_e32 v100, 5, v10
	v_lshl_add_u32 v10, v87, 11, 0xfffff800
	v_cmp_eq_u32_e64 s4, 0, v11
	s_delay_alu instid0(VALU_DEP_4)
	v_sub_nc_u32_e32 v102, v0, v12
	v_lshl_add_u32 v11, v87, 10, 0xfffffc00
	v_lshlrev_b32_e32 v12, 11, v100
	v_ashrrev_i32_e32 v13, 31, v10
	v_add_co_u32 v115, s5, 0x800, v10
	v_ashrrev_i32_e32 v10, 31, v14
	v_add_co_u32 v118, s7, 0x200, v14
	v_lshl_add_u32 v114, v102, 4, v12
	v_cmp_eq_u32_e32 vcc_lo, 32, v1
	s_delay_alu instid0(VALU_DEP_4)
	v_add_co_ci_u32_e64 v119, s7, 0, v10, s7
	v_ashrrev_i32_e32 v10, 31, v11
	v_add_co_u32 v129, s7, 0x400, v11
	v_add_co_ci_u32_e64 v116, s5, 0, v13, s5
	v_cmp_ne_u32_e64 s2, 32, v1
	v_cmp_ne_u32_e64 s3, v112, v1
	v_cmp_le_i32_e64 s5, v102, v26
	v_cmp_gt_i32_e64 s6, 1, v102
	v_ashrrev_i32_e32 v117, 31, v114
	v_add_co_ci_u32_e64 v130, s7, 0, v10, s7
	v_ashrrev_i32_e32 v131, 31, v128
	v_mov_b32_e32 v132, 1
	s_ashr_i32 s17, s10, 8
	s_mov_b32 s16, 0
	s_xor_b32 s18, vcc_lo, -1
.LBB6_5345:                             ; =>This Loop Header: Depth=1
                                        ;     Child Loop BB6_5355 Depth 2
                                        ;     Child Loop BB6_5382 Depth 2
	;; [unrolled: 1-line block ×10, first 2 shown]
	v_sub_co_u32 v10, vcc_lo, v4, v82
	v_sub_co_ci_u32_e32 v11, vcc_lo, v5, v83, vcc_lo
	v_mov_b32_e32 v14, 0
	s_delay_alu instid0(VALU_DEP_2) | instskip(SKIP_2) | instid1(VALU_DEP_2)
	v_cmp_lt_u64_e32 vcc_lo, v[80:81], v[10:11]
	v_cndmask_b32_e32 v84, v10, v80, vcc_lo
	v_cndmask_b32_e64 v85, v11, 0, vcc_lo
	v_add_nc_u32_e32 v10, 15, v84
	s_delay_alu instid0(VALU_DEP_2) | instskip(NEXT) | instid1(VALU_DEP_2)
	v_cmp_eq_u64_e32 vcc_lo, 0, v[84:85]
	v_and_b32_e32 v10, 0x7ffffff0, v10
	s_or_b32 s19, s1, vcc_lo
	s_delay_alu instid0(SALU_CYCLE_1) | instskip(NEXT) | instid1(VALU_DEP_1)
	s_xor_b32 s7, s19, -1
	v_max_i32_e32 v133, s17, v10
	s_and_saveexec_b32 s20, s7
	s_cbranch_execnz .LBB6_5346
; %bb.11237:                            ;   in Loop: Header=BB6_5345 Depth=1
	s_getpc_b64 s[34:35]
.Lpost_getpc137:
	s_add_u32 s34, s34, (.LBB6_10565-.Lpost_getpc137)&4294967295
	s_addc_u32 s35, s35, (.LBB6_10565-.Lpost_getpc137)>>32
	s_setpc_b64 s[34:35]
.LBB6_5346:                             ;   in Loop: Header=BB6_5345 Depth=1
	s_and_saveexec_b32 s10, s0
	s_cbranch_execz .LBB6_5349
; %bb.5347:                             ;   in Loop: Header=BB6_5345 Depth=1
	s_cbranch_execz .LBB6_5348
; %bb.11239:
	s_getpc_b64 s[34:35]
.Lpost_getpc138:
	s_add_u32 s34, s34, (.LBB6_10904-.Lpost_getpc138)&4294967295
	s_addc_u32 s35, s35, (.LBB6_10904-.Lpost_getpc138)>>32
	s_setpc_b64 s[34:35]
.LBB6_5348:                             ;   in Loop: Header=BB6_5345 Depth=1
	ds_load_2addr_b64 v[10:13], v0 offset1:1
	ds_load_b64 v[14:15], v0
	v_add_co_u32 v16, vcc_lo, v82, v52
	v_add_co_ci_u32_e32 v17, vcc_lo, v83, v53, vcc_lo
	s_waitcnt lgkmcnt(1)
	s_delay_alu instid0(VALU_DEP_2) | instskip(NEXT) | instid1(VALU_DEP_2)
	v_add_co_u32 v10, vcc_lo, v10, v16
	v_add_co_ci_u32_e32 v11, vcc_lo, v11, v17, vcc_lo
	s_waitcnt lgkmcnt(0)
	v_add_co_u32 v18, vcc_lo, v14, v16
	s_waitcnt vmcnt(0)
	v_add_co_ci_u32_e32 v19, vcc_lo, v15, v17, vcc_lo
	v_cmp_ne_u64_e32 vcc_lo, 0, v[14:15]
	v_add_co_u32 v12, s7, v12, v16
	s_delay_alu instid0(VALU_DEP_1) | instskip(NEXT) | instid1(VALU_DEP_4)
	v_add_co_ci_u32_e64 v13, s7, v13, v17, s7
	v_dual_cndmask_b32 v15, 0, v19 :: v_dual_cndmask_b32 v14, 0, v18
	ds_store_b64 v0, v[10:11]
	ds_store_b64 v0, v[12:13]
	ds_store_b64 v0, v[14:15]
.LBB6_5349:                             ;   in Loop: Header=BB6_5345 Depth=1
	s_or_b32 exec_lo, exec_lo, s10
	v_and_b32_e32 v10, 4, v103
	s_mov_b32 s10, -1
	s_mov_b32 s7, exec_lo
	s_delay_alu instid0(VALU_DEP_1)
	v_cmpx_ne_u32_e32 0, v10
	s_cbranch_execz .LBB6_5363
; %bb.5350:                             ;   in Loop: Header=BB6_5345 Depth=1
	s_waitcnt lgkmcnt(0)
	v_add_co_u32 v10, vcc_lo, v8, 1
	v_add_co_ci_u32_e32 v11, vcc_lo, 0, v9, vcc_lo
	v_mov_b32_e32 v12, 1
	s_mov_b32 s10, exec_lo
	s_delay_alu instid0(VALU_DEP_2)
	v_cmpx_lt_u64_e64 v[68:69], v[10:11]
	s_cbranch_execz .LBB6_5362
; %bb.5351:                             ;   in Loop: Header=BB6_5345 Depth=1
	v_mov_b32_e32 v12, 0
	s_mov_b32 s21, 0
                                        ; implicit-def: $sgpr22
	s_branch .LBB6_5355
.LBB6_5352:                             ;   in Loop: Header=BB6_5355 Depth=2
	s_or_b32 exec_lo, exec_lo, s26
	v_mov_b32_e32 v13, 0
	s_or_not1_b32 s25, s25, exec_lo
.LBB6_5353:                             ;   in Loop: Header=BB6_5355 Depth=2
	s_or_b32 exec_lo, exec_lo, s24
	s_delay_alu instid0(VALU_DEP_1) | instskip(SKIP_2) | instid1(SALU_CYCLE_1)
	v_mov_b32_e32 v12, v13
	s_and_not1_b32 s22, s22, exec_lo
	s_and_b32 s24, s25, exec_lo
	s_or_b32 s22, s22, s24
.LBB6_5354:                             ;   in Loop: Header=BB6_5355 Depth=2
	s_or_b32 exec_lo, exec_lo, s23
	s_waitcnt vmcnt(0) lgkmcnt(0)
	v_cmp_ge_u64_e32 vcc_lo, v[68:69], v[10:11]
	s_xor_b32 s23, s22, -1
	s_delay_alu instid0(SALU_CYCLE_1) | instskip(NEXT) | instid1(SALU_CYCLE_1)
	s_or_b32 s23, s23, vcc_lo
	s_and_b32 s23, exec_lo, s23
	s_delay_alu instid0(SALU_CYCLE_1) | instskip(NEXT) | instid1(SALU_CYCLE_1)
	s_or_b32 s21, s23, s21
	s_and_not1_b32 exec_lo, exec_lo, s21
	s_cbranch_execz .LBB6_5361
.LBB6_5355:                             ;   Parent Loop BB6_5345 Depth=1
                                        ; =>  This Inner Loop Header: Depth=2
	s_sleep 1
	flat_load_b64 v[68:69], v[64:65] glc
	v_and_b32_e32 v13, 64, v103
	s_and_not1_b32 s22, s22, exec_lo
	s_mov_b32 s23, exec_lo
	s_delay_alu instid0(VALU_DEP_1)
	v_cmpx_eq_u32_e32 0, v13
	s_cbranch_execz .LBB6_5354
; %bb.5356:                             ;   in Loop: Header=BB6_5355 Depth=2
	v_add_nc_u32_e32 v13, 1, v12
	s_mov_b32 s25, -1
	s_mov_b32 s24, exec_lo
	v_cmpx_lt_i32_e32 0x270e, v12
	s_cbranch_execz .LBB6_5353
; %bb.5357:                             ;   in Loop: Header=BB6_5355 Depth=2
	s_cbranch_execz .LBB6_5358
; %bb.11241:
	s_getpc_b64 s[34:35]
.Lpost_getpc139:
	s_add_u32 s34, s34, (.LBB6_10927-.Lpost_getpc139)&4294967295
	s_addc_u32 s35, s35, (.LBB6_10927-.Lpost_getpc139)>>32
	s_setpc_b64 s[34:35]
.LBB6_5358:                             ;   in Loop: Header=BB6_5355 Depth=2
	ds_load_b64 v[12:13], v0
	s_mov_b32 s26, exec_lo
	s_waitcnt vmcnt(0) lgkmcnt(0)
	s_waitcnt_vscnt null, 0x0
	flat_load_b32 v12, v[12:13] glc
	s_waitcnt vmcnt(0) lgkmcnt(0)
	buffer_gl1_inv
	buffer_gl0_inv
	v_cmpx_ne_u32_e32 0, v12
	s_cbranch_execz .LBB6_5352
; %bb.5359:                             ;   in Loop: Header=BB6_5355 Depth=2
	ds_store_b32 v0, v12
	s_cbranch_execz .LBB6_5360
; %bb.11243:
	s_getpc_b64 s[34:35]
.Lpost_getpc140:
	s_add_u32 s34, s34, (.LBB6_10955-.Lpost_getpc140)&4294967295
	s_addc_u32 s35, s35, (.LBB6_10955-.Lpost_getpc140)>>32
	s_setpc_b64 s[34:35]
.LBB6_5360:                             ;   in Loop: Header=BB6_5355 Depth=2
	v_or_b32_e32 v103, 64, v103
	s_xor_b32 s25, exec_lo, -1
	s_branch .LBB6_5352
.LBB6_5361:                             ;   in Loop: Header=BB6_5345 Depth=1
	s_or_b32 exec_lo, exec_lo, s21
	v_and_b32_e32 v12, 4, v103
.LBB6_5362:                             ;   in Loop: Header=BB6_5345 Depth=1
	s_or_b32 exec_lo, exec_lo, s10
	s_delay_alu instid0(VALU_DEP_1)
	v_cmp_eq_u32_e32 vcc_lo, 0, v12
	;;#ASMSTART
	s_wakeup
	;;#ASMEND
	s_or_not1_b32 s10, vcc_lo, exec_lo
.LBB6_5363:                             ;   in Loop: Header=BB6_5345 Depth=1
	s_or_b32 exec_lo, exec_lo, s7
	s_xor_b32 s7, s10, -1
	s_delay_alu instid0(SALU_CYCLE_1)
	s_and_saveexec_b32 s10, s7
	s_cbranch_execz .LBB6_5373
; %bb.5364:                             ;   in Loop: Header=BB6_5345 Depth=1
	v_and_b32_e32 v10, 0x100, v103
	s_waitcnt lgkmcnt(0)
	v_and_b32_e32 v14, 7, v8
	s_mov_b32 s7, -1
	s_delay_alu instid0(VALU_DEP_2)
	v_cmp_ne_u32_e32 vcc_lo, 0, v10
                                        ; implicit-def: $vgpr10_vgpr11
	s_and_saveexec_b32 s21, vcc_lo
	s_cbranch_execz .LBB6_5368
; %bb.5365:                             ;   in Loop: Header=BB6_5345 Depth=1
	v_mad_u64_u32 v[12:13], null, v14, 24, v[6:7]
	flat_load_b32 v10, v[12:13]
	s_waitcnt vmcnt(0) lgkmcnt(0)
	v_cmp_ne_u32_e32 vcc_lo, 1, v10
	v_cmp_eq_u32_e64 s7, 1, v10
                                        ; implicit-def: $vgpr10_vgpr11
	s_delay_alu instid0(VALU_DEP_1)
	s_and_saveexec_b32 s22, s7
	s_cbranch_execz .LBB6_5367
; %bb.5366:                             ;   in Loop: Header=BB6_5345 Depth=1
	flat_load_b32 v10, v[12:13] offset:4 glc
	s_waitcnt vmcnt(0) lgkmcnt(0)
	v_ashrrev_i32_e32 v11, 31, v10
.LBB6_5367:                             ;   in Loop: Header=BB6_5345 Depth=1
	s_or_b32 exec_lo, exec_lo, s22
	s_delay_alu instid0(SALU_CYCLE_1)
	s_or_not1_b32 s7, vcc_lo, exec_lo
.LBB6_5368:                             ;   in Loop: Header=BB6_5345 Depth=1
	s_or_b32 exec_lo, exec_lo, s21
	s_and_saveexec_b32 s21, s7
; %bb.5369:                             ;   in Loop: Header=BB6_5345 Depth=1
	v_mad_i64_i32 v[10:11], null, v14, v113, 0
; %bb.5370:                             ;   in Loop: Header=BB6_5345 Depth=1
	s_or_b32 exec_lo, exec_lo, s21
	s_delay_alu instid0(VALU_DEP_1) | instskip(SKIP_1) | instid1(VALU_DEP_3)
	v_add_co_u32 v10, vcc_lo, v66, v10
	v_and_b32_e32 v12, 0x2000, v103
	v_add_co_ci_u32_e32 v11, vcc_lo, v67, v11, vcc_lo
	s_mov_b32 s7, exec_lo
	ds_store_b64 v0, v[10:11] offset:728
	v_cmpx_ne_u32_e32 0, v12
	s_cbranch_execz .LBB6_5372
; %bb.5371:                             ;   in Loop: Header=BB6_5345 Depth=1
	ds_load_b64 v[10:11], v0 offset:584
	s_waitcnt lgkmcnt(0)
	v_add_co_u32 v10, vcc_lo, v10, 1
	v_add_co_ci_u32_e32 v11, vcc_lo, 0, v11, vcc_lo
	ds_store_b64 v0, v[10:11] offset:584
.LBB6_5372:                             ;   in Loop: Header=BB6_5345 Depth=1
	s_or_b32 exec_lo, exec_lo, s7
	v_add_co_u32 v8, vcc_lo, v8, 1
	v_add_co_ci_u32_e32 v9, vcc_lo, 0, v9, vcc_lo
.LBB6_5373:                             ;   in Loop: Header=BB6_5345 Depth=1
	s_or_b32 exec_lo, exec_lo, s10
	s_and_saveexec_b32 s7, s2
	s_cbranch_execz .LBB6_5395
; %bb.5374:                             ;   in Loop: Header=BB6_5345 Depth=1
	s_and_saveexec_b32 s10, s3
	s_delay_alu instid0(SALU_CYCLE_1)
	s_xor_b32 s10, exec_lo, s10
	s_cbranch_execz .LBB6_5392
; %bb.5375:                             ;   in Loop: Header=BB6_5345 Depth=1
	s_and_saveexec_b32 s21, s4
	s_cbranch_execz .LBB6_5391
; %bb.5376:                             ;   in Loop: Header=BB6_5345 Depth=1
	s_mov_b32 s23, exec_lo
	s_mov_b32 s22, exec_lo
	v_mbcnt_lo_u32_b32 v10, s23, 0
	s_waitcnt vmcnt(0) lgkmcnt(0)
	s_waitcnt_vscnt null, 0x0
	buffer_gl1_inv
	buffer_gl0_inv
	v_cmpx_eq_u32_e32 0, v10
	s_cbranch_execz .LBB6_5378
; %bb.5377:                             ;   in Loop: Header=BB6_5345 Depth=1
	s_bcnt1_i32_b32 s23, s23
	s_delay_alu instid0(SALU_CYCLE_1)
	v_mov_b32_e32 v29, s23
	ds_add_u64 v0, v[29:30]
	s_cbranch_execz .LBB6_5378
; %bb.11245:
	s_getpc_b64 s[34:35]
.Lpost_getpc141:
	s_add_u32 s34, s34, (.LBB6_10977-.Lpost_getpc141)&4294967295
	s_addc_u32 s35, s35, (.LBB6_10977-.Lpost_getpc141)>>32
	s_setpc_b64 s[34:35]
.LBB6_5378:                             ;   in Loop: Header=BB6_5345 Depth=1
	s_or_b32 exec_lo, exec_lo, s22
	s_cbranch_execz .LBB6_5379
; %bb.11247:
	s_getpc_b64 s[34:35]
.Lpost_getpc142:
	s_add_u32 s34, s34, (.LBB6_10965-.Lpost_getpc142)&4294967295
	s_addc_u32 s35, s35, (.LBB6_10965-.Lpost_getpc142)>>32
	s_setpc_b64 s[34:35]
.LBB6_5379:                             ;   in Loop: Header=BB6_5345 Depth=1
	ds_load_b64 v[10:11], v0
	v_add_co_u32 v70, vcc_lo, v70, v87
	v_add_co_ci_u32_e32 v71, vcc_lo, 0, v71, vcc_lo
	s_mov_b32 s22, exec_lo
	s_waitcnt lgkmcnt(0)
	s_delay_alu instid0(VALU_DEP_1)
	v_cmpx_lt_u64_e64 v[10:11], v[70:71]
	s_cbranch_execz .LBB6_5390
; %bb.5380:                             ;   in Loop: Header=BB6_5345 Depth=1
	s_mov_b32 s23, 0
	s_mov_b32 s26, 0
                                        ; implicit-def: $sgpr24
                                        ; implicit-def: $sgpr25
	s_branch .LBB6_5382
.LBB6_5381:                             ;   in Loop: Header=BB6_5382 Depth=2
	s_or_b32 exec_lo, exec_lo, s29
	s_delay_alu instid0(SALU_CYCLE_1) | instskip(NEXT) | instid1(SALU_CYCLE_1)
	s_and_b32 s27, exec_lo, s28
	s_or_b32 s23, s27, s23
	s_and_not1_b32 s24, s24, exec_lo
	s_and_b32 s27, s25, exec_lo
	s_delay_alu instid0(SALU_CYCLE_1)
	s_or_b32 s24, s24, s27
	s_and_not1_b32 exec_lo, exec_lo, s23
	s_cbranch_execz .LBB6_5388
.LBB6_5382:                             ;   Parent Loop BB6_5345 Depth=1
                                        ; =>  This Inner Loop Header: Depth=2
	s_add_i32 s26, s26, 1
                                        ; implicit-def: $sgpr28
	s_delay_alu instid0(SALU_CYCLE_1) | instskip(SKIP_1) | instid1(SALU_CYCLE_1)
	s_cmpk_lg_i32 s26, 0x2710
	s_cselect_b32 s27, -1, 0
	s_and_b32 vcc_lo, exec_lo, s27
	s_cbranch_vccz .LBB6_5386
.LBB6_5383:                             ;   in Loop: Header=BB6_5382 Depth=2
	s_and_not1_b32 s25, s25, exec_lo
	s_and_b32 s29, s28, exec_lo
	s_mov_b32 s28, -1
	s_or_b32 s25, s25, s29
	s_and_saveexec_b32 s29, s27
	s_cbranch_execz .LBB6_5381
; %bb.5384:                             ;   in Loop: Header=BB6_5382 Depth=2
	s_sleep 1
	s_cbranch_execz .LBB6_5385
; %bb.11249:
	s_getpc_b64 s[34:35]
.Lpost_getpc143:
	s_add_u32 s34, s34, (.LBB6_11009-.Lpost_getpc143)&4294967295
	s_addc_u32 s35, s35, (.LBB6_11009-.Lpost_getpc143)>>32
	s_setpc_b64 s[34:35]
.LBB6_5385:                             ;   in Loop: Header=BB6_5382 Depth=2
	ds_load_b64 v[10:11], v0
	s_and_not1_b32 s25, s25, exec_lo
	s_waitcnt lgkmcnt(0)
	v_cmp_ge_u64_e32 vcc_lo, v[10:11], v[70:71]
	s_or_not1_b32 s28, vcc_lo, exec_lo
	s_branch .LBB6_5381
.LBB6_5386:                             ;   in Loop: Header=BB6_5382 Depth=2
	s_cbranch_execz .LBB6_5387
; %bb.11251:
	s_getpc_b64 s[34:35]
.Lpost_getpc144:
	s_add_u32 s34, s34, (.LBB6_11017-.Lpost_getpc144)&4294967295
	s_addc_u32 s35, s35, (.LBB6_11017-.Lpost_getpc144)>>32
	s_setpc_b64 s[34:35]
.LBB6_5387:                             ;   in Loop: Header=BB6_5382 Depth=2
	ds_load_b64 v[10:11], v0
	s_and_not1_b32 s27, s27, exec_lo
	s_mov_b32 s26, 0
	s_mov_b32 s28, -1
	s_waitcnt lgkmcnt(0)
	flat_load_b32 v10, v[10:11] glc
	s_waitcnt vmcnt(0) lgkmcnt(0)
	buffer_gl1_inv
	buffer_gl0_inv
	v_cmp_eq_u32_e32 vcc_lo, 0, v10
	s_and_b32 s29, vcc_lo, exec_lo
	s_delay_alu instid0(SALU_CYCLE_1)
	s_or_b32 s27, s27, s29
	s_branch .LBB6_5383
.LBB6_5388:                             ;   in Loop: Header=BB6_5345 Depth=1
	s_or_b32 exec_lo, exec_lo, s23
	s_and_saveexec_b32 s23, s24
	s_delay_alu instid0(SALU_CYCLE_1)
	s_xor_b32 s23, exec_lo, s23
	s_cbranch_execz .LBB6_5390
; %bb.5389:                             ;   in Loop: Header=BB6_5345 Depth=1
	ds_store_b32 v0, v132
	s_cbranch_execz .LBB6_5390
; %bb.11253:
	s_getpc_b64 s[34:35]
.Lpost_getpc145:
	s_add_u32 s34, s34, (.LBB6_11095-.Lpost_getpc145)&4294967295
	s_addc_u32 s35, s35, (.LBB6_11095-.Lpost_getpc145)>>32
	s_setpc_b64 s[34:35]
.LBB6_5390:                             ;   in Loop: Header=BB6_5345 Depth=1
	s_or_b32 exec_lo, exec_lo, s22
	;;#ASMSTART
	s_wakeup
	;;#ASMEND
.LBB6_5391:                             ;   in Loop: Header=BB6_5345 Depth=1
	s_or_b32 exec_lo, exec_lo, s21
.LBB6_5392:                             ;   in Loop: Header=BB6_5345 Depth=1
	s_and_not1_saveexec_b32 s10, s10
	s_cbranch_execz .LBB6_5394
; %bb.5393:                             ;   in Loop: Header=BB6_5345 Depth=1
	s_waitcnt vmcnt(0) lgkmcnt(0)
	s_waitcnt_vscnt null, 0x0
	buffer_gl1_inv
	buffer_gl0_inv
	s_barrier
.LBB6_5394:                             ;   in Loop: Header=BB6_5345 Depth=1
	s_or_b32 exec_lo, exec_lo, s10
.LBB6_5395:                             ;   in Loop: Header=BB6_5345 Depth=1
	s_delay_alu instid0(SALU_CYCLE_1)
	s_or_b32 exec_lo, exec_lo, s7
	s_cbranch_execz .LBB6_5396
; %bb.11255:
	s_getpc_b64 s[34:35]
.Lpost_getpc146:
	s_add_u32 s34, s34, (.LBB6_10898-.Lpost_getpc146)&4294967295
	s_addc_u32 s35, s35, (.LBB6_10898-.Lpost_getpc146)>>32
	s_setpc_b64 s[34:35]
.LBB6_5396:                             ;   in Loop: Header=BB6_5345 Depth=1
	ds_load_b32 v10, v0
	v_and_b32_e32 v11, 0x4000, v103
	s_delay_alu instid0(VALU_DEP_1) | instskip(SKIP_1) | instid1(SALU_CYCLE_1)
	v_cmp_ne_u32_e32 vcc_lo, 0, v11
	s_and_b32 s10, s18, vcc_lo
	s_and_saveexec_b32 s7, s10
	s_cbranch_execz .LBB6_5418
; %bb.5397:                             ;   in Loop: Header=BB6_5345 Depth=1
	s_and_saveexec_b32 s10, s3
	s_delay_alu instid0(SALU_CYCLE_1)
	s_xor_b32 s10, exec_lo, s10
	s_cbranch_execz .LBB6_5415
; %bb.5398:                             ;   in Loop: Header=BB6_5345 Depth=1
	s_and_saveexec_b32 s21, s4
	s_cbranch_execz .LBB6_5414
; %bb.5399:                             ;   in Loop: Header=BB6_5345 Depth=1
	s_mov_b32 s23, exec_lo
	s_mov_b32 s22, exec_lo
	v_mbcnt_lo_u32_b32 v11, s23, 0
	s_waitcnt vmcnt(0) lgkmcnt(0)
	s_waitcnt_vscnt null, 0x0
	buffer_gl1_inv
	buffer_gl0_inv
	v_cmpx_eq_u32_e32 0, v11
	s_cbranch_execz .LBB6_5401
; %bb.5400:                             ;   in Loop: Header=BB6_5345 Depth=1
	s_bcnt1_i32_b32 s23, s23
	s_delay_alu instid0(SALU_CYCLE_1)
	v_mov_b32_e32 v29, s23
	ds_add_u64 v0, v[29:30]
	s_cbranch_execz .LBB6_5401
; %bb.11257:
	s_getpc_b64 s[34:35]
.Lpost_getpc147:
	s_add_u32 s34, s34, (.LBB6_11005-.Lpost_getpc147)&4294967295
	s_addc_u32 s35, s35, (.LBB6_11005-.Lpost_getpc147)>>32
	s_setpc_b64 s[34:35]
.LBB6_5401:                             ;   in Loop: Header=BB6_5345 Depth=1
	s_or_b32 exec_lo, exec_lo, s22
	s_cbranch_execz .LBB6_5402
; %bb.11259:
	s_getpc_b64 s[34:35]
.Lpost_getpc148:
	s_add_u32 s34, s34, (.LBB6_10989-.Lpost_getpc148)&4294967295
	s_addc_u32 s35, s35, (.LBB6_10989-.Lpost_getpc148)>>32
	s_setpc_b64 s[34:35]
.LBB6_5402:                             ;   in Loop: Header=BB6_5345 Depth=1
	ds_load_b64 v[11:12], v0
	v_add_co_u32 v70, vcc_lo, v70, v87
	v_add_co_ci_u32_e32 v71, vcc_lo, 0, v71, vcc_lo
	s_mov_b32 s22, exec_lo
	s_waitcnt lgkmcnt(0)
	s_delay_alu instid0(VALU_DEP_1)
	v_cmpx_lt_u64_e64 v[11:12], v[70:71]
	s_cbranch_execz .LBB6_5413
; %bb.5403:                             ;   in Loop: Header=BB6_5345 Depth=1
	s_mov_b32 s23, 0
	s_mov_b32 s26, 0
                                        ; implicit-def: $sgpr24
                                        ; implicit-def: $sgpr25
	s_branch .LBB6_5405
.LBB6_5404:                             ;   in Loop: Header=BB6_5405 Depth=2
	s_or_b32 exec_lo, exec_lo, s29
	s_delay_alu instid0(SALU_CYCLE_1) | instskip(NEXT) | instid1(SALU_CYCLE_1)
	s_and_b32 s27, exec_lo, s28
	s_or_b32 s23, s27, s23
	s_and_not1_b32 s24, s24, exec_lo
	s_and_b32 s27, s25, exec_lo
	s_delay_alu instid0(SALU_CYCLE_1)
	s_or_b32 s24, s24, s27
	s_and_not1_b32 exec_lo, exec_lo, s23
	s_cbranch_execz .LBB6_5411
.LBB6_5405:                             ;   Parent Loop BB6_5345 Depth=1
                                        ; =>  This Inner Loop Header: Depth=2
	s_add_i32 s26, s26, 1
                                        ; implicit-def: $sgpr28
	s_delay_alu instid0(SALU_CYCLE_1) | instskip(SKIP_1) | instid1(SALU_CYCLE_1)
	s_cmpk_lg_i32 s26, 0x2710
	s_cselect_b32 s27, -1, 0
	s_and_b32 vcc_lo, exec_lo, s27
	s_cbranch_vccz .LBB6_5409
.LBB6_5406:                             ;   in Loop: Header=BB6_5405 Depth=2
	s_and_not1_b32 s25, s25, exec_lo
	s_and_b32 s29, s28, exec_lo
	s_mov_b32 s28, -1
	s_or_b32 s25, s25, s29
	s_and_saveexec_b32 s29, s27
	s_cbranch_execz .LBB6_5404
; %bb.5407:                             ;   in Loop: Header=BB6_5405 Depth=2
	s_sleep 1
	s_cbranch_execz .LBB6_5408
; %bb.11261:
	s_getpc_b64 s[34:35]
.Lpost_getpc149:
	s_add_u32 s34, s34, (.LBB6_11049-.Lpost_getpc149)&4294967295
	s_addc_u32 s35, s35, (.LBB6_11049-.Lpost_getpc149)>>32
	s_setpc_b64 s[34:35]
.LBB6_5408:                             ;   in Loop: Header=BB6_5405 Depth=2
	ds_load_b64 v[11:12], v0
	s_and_not1_b32 s25, s25, exec_lo
	s_waitcnt lgkmcnt(0)
	v_cmp_ge_u64_e32 vcc_lo, v[11:12], v[70:71]
	s_or_not1_b32 s28, vcc_lo, exec_lo
	s_branch .LBB6_5404
.LBB6_5409:                             ;   in Loop: Header=BB6_5405 Depth=2
	s_cbranch_execz .LBB6_5410
; %bb.11263:
	s_getpc_b64 s[34:35]
.Lpost_getpc150:
	s_add_u32 s34, s34, (.LBB6_11063-.Lpost_getpc150)&4294967295
	s_addc_u32 s35, s35, (.LBB6_11063-.Lpost_getpc150)>>32
	s_setpc_b64 s[34:35]
.LBB6_5410:                             ;   in Loop: Header=BB6_5405 Depth=2
	ds_load_b64 v[11:12], v0
	s_and_not1_b32 s27, s27, exec_lo
	s_mov_b32 s26, 0
	s_mov_b32 s28, -1
	s_waitcnt lgkmcnt(0)
	flat_load_b32 v11, v[11:12] glc
	s_waitcnt vmcnt(0) lgkmcnt(0)
	buffer_gl1_inv
	buffer_gl0_inv
	v_cmp_eq_u32_e32 vcc_lo, 0, v11
	s_and_b32 s29, vcc_lo, exec_lo
	s_delay_alu instid0(SALU_CYCLE_1)
	s_or_b32 s27, s27, s29
	s_branch .LBB6_5406
.LBB6_5411:                             ;   in Loop: Header=BB6_5345 Depth=1
	s_or_b32 exec_lo, exec_lo, s23
	s_and_saveexec_b32 s23, s24
	s_delay_alu instid0(SALU_CYCLE_1)
	s_xor_b32 s23, exec_lo, s23
	s_cbranch_execz .LBB6_5413
; %bb.5412:                             ;   in Loop: Header=BB6_5345 Depth=1
	ds_store_b32 v0, v132
	s_cbranch_execz .LBB6_5413
; %bb.11265:
	s_getpc_b64 s[34:35]
.Lpost_getpc151:
	s_add_u32 s34, s34, (.LBB6_11105-.Lpost_getpc151)&4294967295
	s_addc_u32 s35, s35, (.LBB6_11105-.Lpost_getpc151)>>32
	s_setpc_b64 s[34:35]
.LBB6_5413:                             ;   in Loop: Header=BB6_5345 Depth=1
	s_or_b32 exec_lo, exec_lo, s22
	;;#ASMSTART
	s_wakeup
	;;#ASMEND
.LBB6_5414:                             ;   in Loop: Header=BB6_5345 Depth=1
	s_or_b32 exec_lo, exec_lo, s21
.LBB6_5415:                             ;   in Loop: Header=BB6_5345 Depth=1
	s_and_not1_saveexec_b32 s10, s10
	s_cbranch_execz .LBB6_5417
; %bb.5416:                             ;   in Loop: Header=BB6_5345 Depth=1
	s_waitcnt vmcnt(0) lgkmcnt(0)
	s_waitcnt_vscnt null, 0x0
	buffer_gl1_inv
	buffer_gl0_inv
	s_barrier
.LBB6_5417:                             ;   in Loop: Header=BB6_5345 Depth=1
	s_or_b32 exec_lo, exec_lo, s10
.LBB6_5418:                             ;   in Loop: Header=BB6_5345 Depth=1
	s_delay_alu instid0(SALU_CYCLE_1)
	s_or_b32 exec_lo, exec_lo, s7
	s_cbranch_execz .LBB6_5419
; %bb.11267:
	s_getpc_b64 s[34:35]
.Lpost_getpc152:
	s_add_u32 s34, s34, (.LBB6_10931-.Lpost_getpc152)&4294967295
	s_addc_u32 s35, s35, (.LBB6_10931-.Lpost_getpc152)>>32
	s_setpc_b64 s[34:35]
.LBB6_5419:                             ;   in Loop: Header=BB6_5345 Depth=1
	ds_load_b64 v[11:12], v0
	v_min_u32_e32 v133, v133, v84
	s_waitcnt lgkmcnt(0)
	v_cmp_eq_u64_e32 vcc_lo, 0, v[11:12]
	s_or_b32 s7, vcc_lo, vcc_lo
	s_delay_alu instid0(SALU_CYCLE_1)
	s_and_b32 vcc_lo, exec_lo, s7
	s_mov_b32 s7, 0
	s_cbranch_vccz .LBB6_5420
; %bb.11269:                            ;   in Loop: Header=BB6_5345 Depth=1
	s_getpc_b64 s[34:35]
.Lpost_getpc153:
	s_add_u32 s34, s34, (.LBB6_10538-.Lpost_getpc153)&4294967295
	s_addc_u32 s35, s35, (.LBB6_10538-.Lpost_getpc153)>>32
	s_setpc_b64 s[34:35]
.LBB6_5420:                             ;   in Loop: Header=BB6_5345 Depth=1
	s_cbranch_execz .LBB6_5421
; %bb.11271:
	s_getpc_b64 s[34:35]
.Lpost_getpc154:
	s_add_u32 s34, s34, (.LBB6_10957-.Lpost_getpc154)&4294967295
	s_addc_u32 s35, s35, (.LBB6_10957-.Lpost_getpc154)>>32
	s_setpc_b64 s[34:35]
.LBB6_5421:                             ;   in Loop: Header=BB6_5345 Depth=1
	ds_load_b64 v[11:12], v0
	s_mov_b32 s7, -1
	s_waitcnt lgkmcnt(0)
	v_readfirstlane_b32 s21, v11
	s_and_saveexec_b32 s10, s5
	s_cbranch_execz .LBB6_5423
; %bb.5422:                             ;   in Loop: Header=BB6_5345 Depth=1
	ds_load_b32 v11, v0 offset:720
	s_waitcnt lgkmcnt(0)
	v_and_b32_e32 v11, 15, v11
	s_delay_alu instid0(VALU_DEP_1)
	v_cmp_eq_u32_e32 vcc_lo, 0, v11
	s_or_not1_b32 s7, vcc_lo, exec_lo
.LBB6_5423:                             ;   in Loop: Header=BB6_5345 Depth=1
	s_or_b32 exec_lo, exec_lo, s10
	s_and_saveexec_b32 s10, s6
	s_cbranch_execz .LBB6_5425
; %bb.5424:                             ;   in Loop: Header=BB6_5345 Depth=1
	ds_load_b32 v11, v0 offset:784
	s_waitcnt lgkmcnt(0)
	v_and_b32_e32 v11, 15, v11
	s_delay_alu instid0(VALU_DEP_1) | instskip(SKIP_3) | instid1(SALU_CYCLE_1)
	v_cmp_eq_u32_e32 vcc_lo, 0, v11
	s_and_b32 s22, s7, vcc_lo
	s_and_not1_b32 s7, s7, exec_lo
	s_and_b32 s22, s22, exec_lo
	s_or_b32 s7, s7, s22
.LBB6_5425:                             ;   in Loop: Header=BB6_5345 Depth=1
	s_or_b32 exec_lo, exec_lo, s10
	v_cmp_eq_u32_e32 vcc_lo, 0, v10
	s_xor_b32 s7, s7, -1
	v_mov_b32_e32 v18, v0
	v_cndmask_b32_e64 v11, 0, 1, s7
	;;#ASMSTART
	;;#ASMEND
	v_cndmask_b32_e32 v134, 0, v133, vcc_lo
	s_delay_alu instid0(VALU_DEP_2)
	v_cmp_ne_u32_e32 vcc_lo, 0, v11
	v_mov_b32_e32 v16, 0
	v_mov_b32_e32 v10, v100
	s_mov_b32 s7, -1
	v_mov_b32_e32 v17, v134
	s_cbranch_vccnz .LBB6_9041
; %bb.5426:                             ;   in Loop: Header=BB6_5345 Depth=1
	v_lshrrev_b32_e32 v10, 11, v134
	s_mov_b32 s10, exec_lo
	s_delay_alu instid0(VALU_DEP_1) | instskip(NEXT) | instid1(VALU_DEP_1)
	v_sub_nc_u32_e32 v135, v10, v100
	v_cmpx_lt_i32_e32 0, v135
	s_cbranch_execz .LBB6_8311
; %bb.5427:                             ;   in Loop: Header=BB6_5345 Depth=1
	s_cbranch_execz .LBB6_5428
; %bb.11273:
	s_getpc_b64 s[34:35]
.Lpost_getpc155:
	s_add_u32 s34, s34, (.LBB6_11057-.Lpost_getpc155)&4294967295
	s_addc_u32 s35, s35, (.LBB6_11057-.Lpost_getpc155)>>32
	s_setpc_b64 s[34:35]
.LBB6_5428:                             ;   in Loop: Header=BB6_5345 Depth=1
	ds_load_b128 v[10:13], v0
	ds_load_b64 v[14:15], v0
	s_bitcmp1_b32 s21, 0
	s_mov_b32 s22, 0
	s_cselect_b32 s23, -1, 0
	s_waitcnt lgkmcnt(1)
	v_add_co_u32 v85, vcc_lo, v10, v114
	v_add_co_ci_u32_e32 v86, vcc_lo, v11, v117, vcc_lo
	v_add_co_u32 v96, vcc_lo, v12, v114
	v_add_co_ci_u32_e32 v97, vcc_lo, v13, v117, vcc_lo
	s_waitcnt lgkmcnt(0)
	v_add_co_u32 v98, vcc_lo, v14, v114
	v_add_co_ci_u32_e32 v99, vcc_lo, v15, v117, vcc_lo
	s_branch .LBB6_5432
.LBB6_5429:                             ;   in Loop: Header=BB6_5432 Depth=2
	s_or_b32 exec_lo, exec_lo, s7
	s_delay_alu instid0(VALU_DEP_1) | instskip(NEXT) | instid1(VALU_DEP_2)
	v_lshrrev_b32_e32 v17, 20, v17
	v_min_i32_e32 v57, 15, v13
	v_cmp_gt_i32_e32 vcc_lo, 16, v13
	v_lshrrev_b32_e32 v58, 24, v59
	s_delay_alu instid0(VALU_DEP_3) | instskip(NEXT) | instid1(VALU_DEP_2)
	v_lshlrev_b32_e32 v57, 3, v57
	v_dual_cndmask_b32 v17, 7, v17 :: v_dual_and_b32 v58, 0x80, v58
	s_delay_alu instid0(VALU_DEP_2) | instskip(NEXT) | instid1(VALU_DEP_2)
	v_and_b32_e32 v57, 0xf8, v57
	v_and_b32_e32 v59, 7, v17
	v_or_b32_e32 v13, v13, v17
	s_delay_alu instid0(VALU_DEP_2) | instskip(NEXT) | instid1(VALU_DEP_2)
	v_or3_b32 v57, v58, v57, v59
	v_cmp_ne_u32_e32 vcc_lo, 0, v13
	s_delay_alu instid0(VALU_DEP_2) | instskip(NEXT) | instid1(VALU_DEP_1)
	v_lshlrev_b32_e32 v17, 8, v57
	v_cndmask_b32_e32 v13, 0, v17, vcc_lo
.LBB6_5430:                             ;   in Loop: Header=BB6_5432 Depth=2
	s_or_b32 exec_lo, exec_lo, s25
.LBB6_5431:                             ;   in Loop: Header=BB6_5432 Depth=2
	s_delay_alu instid0(SALU_CYCLE_1)
	s_or_b32 exec_lo, exec_lo, s24
	v_lshlrev_b32_e32 v17, 8, v179
	v_and_b32_e32 v178, 0xff, v178
	v_or_b32_e32 v19, v19, v180
	v_lshlrev_b32_e32 v179, 24, v18
	v_lshlrev_b32_e32 v18, 8, v177
	v_perm_b32 v17, v17, v22, 0xc0c0500
	v_lshlrev_b32_e32 v22, 16, v178
	v_and_b32_e32 v177, 0xff, v182
	v_lshlrev_b32_e32 v178, 8, v181
	v_lshlrev_b32_e32 v180, 8, v183
	;; [unrolled: 1-line block ×3, first 2 shown]
	v_or_b32_e32 v21, v21, v40
	v_lshlrev_b32_e32 v177, 16, v177
	v_perm_b32 v23, v178, v23, 0xc0c0500
	v_perm_b32 v24, v180, v24, 0xc0c0500
	;; [unrolled: 1-line block ×3, first 2 shown]
	v_lshl_or_b32 v18, v19, 16, v17
	v_lshlrev_b32_e32 v163, 8, v163
	v_or3_b32 v19, v20, v177, v23
	v_lshl_or_b32 v20, v21, 16, v24
	v_and_b32_e32 v23, 0xff, v162
	v_lshlrev_b32_e32 v24, 8, v161
	v_or3_b32 v17, v179, v22, v35
	v_or_b32_e32 v21, v27, v164
	v_perm_b32 v22, v163, v32, 0xc0c0500
	v_lshlrev_b32_e32 v26, 24, v26
	v_and_b32_e32 v27, 0xff, v166
	v_lshlrev_b32_e32 v32, 8, v165
	v_lshlrev_b32_e32 v23, 16, v23
	v_perm_b32 v24, v24, v51, 0xc0c0500
	v_lshlrev_b32_e32 v28, 24, v28
	v_lshlrev_b32_e32 v27, 16, v27
	v_perm_b32 v32, v32, v33, 0xc0c0500
	v_lshlrev_b32_e32 v33, 8, v167
	v_lshl_or_b32 v22, v21, 16, v22
	v_or3_b32 v21, v26, v23, v24
	v_lshlrev_b32_e32 v24, 8, v147
	v_or3_b32 v23, v28, v27, v32
	v_perm_b32 v26, v33, v34, 0xc0c0500
	v_or_b32_e32 v27, v29, v176
	v_or_b32_e32 v28, v37, v148
	v_perm_b32 v29, v24, v48, 0xc0c0500
	v_and_b32_e32 v24, 0xff, v146
	v_lshlrev_b32_e32 v32, 8, v145
	v_and_b32_e32 v34, 0xff, v150
	v_lshlrev_b32_e32 v35, 8, v149
	v_lshlrev_b32_e32 v33, 24, v36
	;; [unrolled: 1-line block ×3, first 2 shown]
	v_perm_b32 v32, v32, v144, 0xc0c0500
	v_lshlrev_b32_e32 v37, 24, v38
	v_lshlrev_b32_e32 v34, 16, v34
	v_perm_b32 v35, v35, v49, 0xc0c0500
	v_lshl_or_b32 v24, v27, 16, v26
	v_lshl_or_b32 v27, v28, 16, v29
	v_lshlrev_b32_e32 v29, 8, v43
	v_lshlrev_b32_e32 v38, 8, v151
	v_or3_b32 v26, v33, v36, v32
	v_or3_b32 v28, v37, v34, v35
	v_and_b32_e32 v34, 0xff, v42
	v_perm_b32 v14, v29, v14, 0xc0c0500
	v_lshlrev_b32_e32 v29, 8, v41
	v_and_b32_e32 v35, 0xff, v46
	v_lshlrev_b32_e32 v36, 8, v45
	v_lshlrev_b32_e32 v37, 8, v47
	v_perm_b32 v32, v38, v50, 0xc0c0500
	v_or_b32_e32 v33, v39, v160
	v_or_b32_e32 v11, v11, v44
	v_lshlrev_b32_e32 v10, 24, v10
	v_lshlrev_b32_e32 v34, 16, v34
	v_perm_b32 v25, v29, v25, 0xc0c0500
	v_lshlrev_b32_e32 v12, 24, v12
	v_lshlrev_b32_e32 v35, 16, v35
	v_perm_b32 v15, v36, v15, 0xc0c0500
	v_perm_b32 v16, v37, v16, 0xc0c0500
	v_or_b32_e32 v13, v13, v56
	v_add_co_u32 v85, vcc_lo, v85, v115
	v_lshl_or_b32 v29, v33, 16, v32
	v_sub_nc_u32_e32 v135, v135, v87
	v_add_co_ci_u32_e32 v86, vcc_lo, v86, v116, vcc_lo
	v_add_co_u32 v96, vcc_lo, v96, v115
	v_lshl_or_b32 v11, v11, 16, v14
	v_or3_b32 v10, v10, v34, v25
	v_or3_b32 v12, v12, v35, v15
	v_lshl_or_b32 v13, v13, 16, v16
	v_add_co_ci_u32_e32 v97, vcc_lo, v97, v116, vcc_lo
	s_clause 0x3
	global_store_b128 v[98:99], v[26:29], off glc slc dlc
	global_store_b128 v[98:99], v[21:24], off offset:512 glc slc dlc
	global_store_b128 v[98:99], v[17:20], off offset:1024 glc slc dlc
	;; [unrolled: 1-line block ×3, first 2 shown]
	v_cmp_gt_i32_e32 vcc_lo, 1, v135
	v_add_co_u32 v98, s7, v98, v115
	s_delay_alu instid0(VALU_DEP_1) | instskip(SKIP_1) | instid1(SALU_CYCLE_1)
	v_add_co_ci_u32_e64 v99, s7, v99, v116, s7
	s_or_b32 s22, vcc_lo, s22
	s_and_not1_b32 exec_lo, exec_lo, s22
	s_cbranch_execz .LBB6_8310
.LBB6_5432:                             ;   Parent Loop BB6_5345 Depth=1
                                        ; =>  This Inner Loop Header: Depth=2
	s_clause 0x3
	global_load_b128 v[48:51], v[85:86], off slc dlc
	global_load_b128 v[32:35], v[85:86], off offset:512 slc dlc
	global_load_b128 v[22:25], v[85:86], off offset:1024 slc dlc
	;; [unrolled: 1-line block ×3, first 2 shown]
	s_clause 0x3
	global_load_b128 v[36:39], v[96:97], off slc dlc
	global_load_b128 v[26:29], v[96:97], off offset:512 slc dlc
	global_load_b128 v[18:21], v[96:97], off offset:1024 slc dlc
	global_load_b128 v[10:13], v[96:97], off offset:1536 slc dlc
	s_and_b32 vcc_lo, exec_lo, s23
	s_cbranch_vccz .LBB6_5442
; %bb.5433:                             ;   in Loop: Header=BB6_5432 Depth=2
	s_waitcnt vmcnt(7)
	v_and_b32_e32 v145, 0xff, v48
	s_mov_b32 s7, 0
	s_mov_b32 s25, exec_lo
                                        ; implicit-def: $sgpr24
	s_delay_alu instid0(VALU_DEP_1)
	v_cmpx_lt_i16_e64 0x7f, v145
	s_xor_b32 s25, exec_lo, s25
	s_cbranch_execnz .LBB6_7286
; %bb.5434:                             ;   in Loop: Header=BB6_5432 Depth=2
	s_or_saveexec_b32 s25, s25
	v_mov_b32_e32 v144, s24
	s_xor_b32 exec_lo, exec_lo, s25
	s_cbranch_execnz .LBB6_7289
.LBB6_5435:                             ;   in Loop: Header=BB6_5432 Depth=2
	s_or_b32 exec_lo, exec_lo, s25
	s_and_saveexec_b32 s24, s7
	s_cbranch_execz .LBB6_5437
.LBB6_5436:                             ;   in Loop: Header=BB6_5432 Depth=2
	v_bfe_u32 v147, v48, 3, 4
	v_lshlrev_b32_e32 v148, 24, v48
	s_delay_alu instid0(VALU_DEP_2) | instskip(SKIP_1) | instid1(VALU_DEP_1)
	v_cmp_eq_u32_e32 vcc_lo, 0, v147
	v_and_b32_e32 v144, 7, v48
	v_clz_i32_u32_e32 v145, v144
	s_delay_alu instid0(VALU_DEP_1) | instskip(NEXT) | instid1(VALU_DEP_1)
	v_min_u32_e32 v145, 32, v145
	v_subrev_nc_u32_e32 v146, 28, v145
	v_sub_nc_u32_e32 v145, 29, v145
	s_delay_alu instid0(VALU_DEP_1) | instskip(NEXT) | instid1(VALU_DEP_1)
	v_dual_cndmask_b32 v145, v147, v145 :: v_dual_lshlrev_b32 v146, v146, v48
	v_and_b32_e32 v146, 7, v146
	s_delay_alu instid0(VALU_DEP_2) | instskip(NEXT) | instid1(VALU_DEP_2)
	v_lshl_add_u32 v145, v145, 23, 0x3b800000
	v_cndmask_b32_e32 v144, v144, v146, vcc_lo
	v_and_b32_e32 v146, 0x80000000, v148
	s_delay_alu instid0(VALU_DEP_2) | instskip(NEXT) | instid1(VALU_DEP_1)
	v_lshlrev_b32_e32 v144, 20, v144
	v_or3_b32 v144, v146, v145, v144
.LBB6_5437:                             ;   in Loop: Header=BB6_5432 Depth=2
	s_or_b32 exec_lo, exec_lo, s24
	s_waitcnt vmcnt(3)
	v_and_b32_e32 v146, 0xff, v36
	s_mov_b32 s7, 0
	s_mov_b32 s25, exec_lo
                                        ; implicit-def: $sgpr24
	s_delay_alu instid0(VALU_DEP_1)
	v_cmpx_lt_i16_e64 0x7f, v146
	s_xor_b32 s25, exec_lo, s25
	s_cbranch_execnz .LBB6_7290
; %bb.5438:                             ;   in Loop: Header=BB6_5432 Depth=2
	s_or_saveexec_b32 s25, s25
	v_mov_b32_e32 v145, s24
	s_xor_b32 exec_lo, exec_lo, s25
	s_cbranch_execnz .LBB6_7293
.LBB6_5439:                             ;   in Loop: Header=BB6_5432 Depth=2
	s_or_b32 exec_lo, exec_lo, s25
	s_and_saveexec_b32 s24, s7
	s_cbranch_execz .LBB6_5441
.LBB6_5440:                             ;   in Loop: Header=BB6_5432 Depth=2
	v_bfe_u32 v148, v36, 3, 4
	v_lshlrev_b32_e32 v149, 24, v36
	s_delay_alu instid0(VALU_DEP_2) | instskip(SKIP_1) | instid1(VALU_DEP_1)
	v_cmp_eq_u32_e32 vcc_lo, 0, v148
	v_and_b32_e32 v145, 7, v36
	v_clz_i32_u32_e32 v146, v145
	s_delay_alu instid0(VALU_DEP_1) | instskip(NEXT) | instid1(VALU_DEP_1)
	v_min_u32_e32 v146, 32, v146
	v_subrev_nc_u32_e32 v147, 28, v146
	v_sub_nc_u32_e32 v146, 29, v146
	s_delay_alu instid0(VALU_DEP_1) | instskip(NEXT) | instid1(VALU_DEP_1)
	v_dual_cndmask_b32 v146, v148, v146 :: v_dual_lshlrev_b32 v147, v147, v36
	v_and_b32_e32 v147, 7, v147
	s_delay_alu instid0(VALU_DEP_2) | instskip(NEXT) | instid1(VALU_DEP_2)
	v_lshl_add_u32 v146, v146, 23, 0x3b800000
	v_cndmask_b32_e32 v145, v145, v147, vcc_lo
	v_and_b32_e32 v147, 0x80000000, v149
	s_delay_alu instid0(VALU_DEP_2) | instskip(NEXT) | instid1(VALU_DEP_1)
	v_lshlrev_b32_e32 v145, 20, v145
	v_or3_b32 v145, v147, v146, v145
.LBB6_5441:                             ;   in Loop: Header=BB6_5432 Depth=2
	s_or_b32 exec_lo, exec_lo, s24
	s_delay_alu instid0(VALU_DEP_1) | instskip(SKIP_1) | instid1(VALU_DEP_1)
	v_dual_max_f32 v145, v145, v145 :: v_dual_max_f32 v144, v144, v144
	s_mov_b32 s7, 0
	v_max_f32_e32 v145, v144, v145
	s_branch .LBB6_5443
.LBB6_5442:                             ;   in Loop: Header=BB6_5432 Depth=2
	s_mov_b32 s7, -1
                                        ; implicit-def: $vgpr145
.LBB6_5443:                             ;   in Loop: Header=BB6_5432 Depth=2
	s_delay_alu instid0(SALU_CYCLE_1)
	s_and_b32 vcc_lo, exec_lo, s7
	s_cbranch_vccz .LBB6_5453
; %bb.5444:                             ;   in Loop: Header=BB6_5432 Depth=2
	s_waitcnt vmcnt(7)
	v_and_b32_e32 v145, 0xff, v48
	s_mov_b32 s7, 0
	s_mov_b32 s25, exec_lo
                                        ; implicit-def: $sgpr24
	s_delay_alu instid0(VALU_DEP_1)
	v_cmpx_lt_i16_e64 0x7f, v145
	s_xor_b32 s25, exec_lo, s25
	s_cbranch_execnz .LBB6_7294
; %bb.5445:                             ;   in Loop: Header=BB6_5432 Depth=2
	s_or_saveexec_b32 s25, s25
	v_mov_b32_e32 v144, s24
	s_xor_b32 exec_lo, exec_lo, s25
	s_cbranch_execnz .LBB6_7297
.LBB6_5446:                             ;   in Loop: Header=BB6_5432 Depth=2
	s_or_b32 exec_lo, exec_lo, s25
	s_and_saveexec_b32 s24, s7
	s_cbranch_execz .LBB6_5448
.LBB6_5447:                             ;   in Loop: Header=BB6_5432 Depth=2
	v_bfe_u32 v147, v48, 3, 4
	v_lshlrev_b32_e32 v148, 24, v48
	s_delay_alu instid0(VALU_DEP_2) | instskip(SKIP_1) | instid1(VALU_DEP_1)
	v_cmp_eq_u32_e32 vcc_lo, 0, v147
	v_and_b32_e32 v144, 7, v48
	v_clz_i32_u32_e32 v145, v144
	s_delay_alu instid0(VALU_DEP_1) | instskip(NEXT) | instid1(VALU_DEP_1)
	v_min_u32_e32 v145, 32, v145
	v_subrev_nc_u32_e32 v146, 28, v145
	v_sub_nc_u32_e32 v145, 29, v145
	s_delay_alu instid0(VALU_DEP_1) | instskip(NEXT) | instid1(VALU_DEP_1)
	v_dual_cndmask_b32 v145, v147, v145 :: v_dual_lshlrev_b32 v146, v146, v48
	v_and_b32_e32 v146, 7, v146
	s_delay_alu instid0(VALU_DEP_2) | instskip(NEXT) | instid1(VALU_DEP_2)
	v_lshl_add_u32 v145, v145, 23, 0x3b800000
	v_cndmask_b32_e32 v144, v144, v146, vcc_lo
	v_and_b32_e32 v146, 0x80000000, v148
	s_delay_alu instid0(VALU_DEP_2) | instskip(NEXT) | instid1(VALU_DEP_1)
	v_lshlrev_b32_e32 v144, 20, v144
	v_or3_b32 v144, v146, v145, v144
.LBB6_5448:                             ;   in Loop: Header=BB6_5432 Depth=2
	s_or_b32 exec_lo, exec_lo, s24
	s_waitcnt vmcnt(3)
	v_and_b32_e32 v146, 0xff, v36
	s_mov_b32 s7, 0
	s_mov_b32 s25, exec_lo
                                        ; implicit-def: $sgpr24
	s_delay_alu instid0(VALU_DEP_1)
	v_cmpx_lt_i16_e64 0x7f, v146
	s_xor_b32 s25, exec_lo, s25
	s_cbranch_execnz .LBB6_7298
; %bb.5449:                             ;   in Loop: Header=BB6_5432 Depth=2
	s_or_saveexec_b32 s25, s25
	v_mov_b32_e32 v145, s24
	s_xor_b32 exec_lo, exec_lo, s25
	s_cbranch_execnz .LBB6_7301
.LBB6_5450:                             ;   in Loop: Header=BB6_5432 Depth=2
	s_or_b32 exec_lo, exec_lo, s25
	s_and_saveexec_b32 s24, s7
	s_cbranch_execz .LBB6_5452
.LBB6_5451:                             ;   in Loop: Header=BB6_5432 Depth=2
	v_bfe_u32 v148, v36, 3, 4
	v_lshlrev_b32_e32 v149, 24, v36
	s_delay_alu instid0(VALU_DEP_2) | instskip(SKIP_1) | instid1(VALU_DEP_1)
	v_cmp_eq_u32_e32 vcc_lo, 0, v148
	v_and_b32_e32 v145, 7, v36
	v_clz_i32_u32_e32 v146, v145
	s_delay_alu instid0(VALU_DEP_1) | instskip(NEXT) | instid1(VALU_DEP_1)
	v_min_u32_e32 v146, 32, v146
	v_subrev_nc_u32_e32 v147, 28, v146
	v_sub_nc_u32_e32 v146, 29, v146
	s_delay_alu instid0(VALU_DEP_1) | instskip(NEXT) | instid1(VALU_DEP_1)
	v_dual_cndmask_b32 v146, v148, v146 :: v_dual_lshlrev_b32 v147, v147, v36
	v_and_b32_e32 v147, 7, v147
	s_delay_alu instid0(VALU_DEP_2) | instskip(NEXT) | instid1(VALU_DEP_2)
	v_lshl_add_u32 v146, v146, 23, 0x3b800000
	v_cndmask_b32_e32 v145, v145, v147, vcc_lo
	v_and_b32_e32 v147, 0x80000000, v149
	s_delay_alu instid0(VALU_DEP_2) | instskip(NEXT) | instid1(VALU_DEP_1)
	v_lshlrev_b32_e32 v145, 20, v145
	v_or3_b32 v145, v147, v146, v145
.LBB6_5452:                             ;   in Loop: Header=BB6_5432 Depth=2
	s_or_b32 exec_lo, exec_lo, s24
	s_delay_alu instid0(VALU_DEP_1) | instskip(NEXT) | instid1(VALU_DEP_1)
	v_dual_max_f32 v145, v145, v145 :: v_dual_max_f32 v144, v144, v144
	v_min_f32_e32 v145, v144, v145
.LBB6_5453:                             ;   in Loop: Header=BB6_5432 Depth=2
	s_delay_alu instid0(VALU_DEP_1) | instskip(NEXT) | instid1(VALU_DEP_1)
	v_and_b32_e32 v144, 0x7f800000, v145
	v_cmp_ne_u32_e32 vcc_lo, 0x7f800000, v144
	v_mov_b32_e32 v144, 0x80
	s_and_saveexec_b32 s24, vcc_lo
	s_cbranch_execz .LBB6_5461
; %bb.5454:                             ;   in Loop: Header=BB6_5432 Depth=2
	v_mov_b32_e32 v144, 0
	s_mov_b32 s25, exec_lo
	v_cmpx_ne_u32_e32 0, v145
	s_cbranch_execz .LBB6_5460
; %bb.5455:                             ;   in Loop: Header=BB6_5432 Depth=2
	v_bfe_u32 v144, v145, 23, 8
	s_delay_alu instid0(VALU_DEP_1) | instskip(SKIP_1) | instid1(VALU_DEP_2)
	v_sub_nc_u32_e32 v147, 0x78, v144
	v_cmp_gt_u32_e32 vcc_lo, 0x79, v144
	v_dual_cndmask_b32 v147, 0, v147 :: v_dual_and_b32 v146, 0x7fffff, v145
	s_delay_alu instid0(VALU_DEP_1) | instskip(SKIP_2) | instid1(VALU_DEP_4)
	v_or_b32_e32 v148, 0x800000, v146
	v_cmp_eq_u32_e32 vcc_lo, 0, v144
	v_add_nc_u32_e32 v144, 0xffffff89, v144
	v_cndmask_b32_e64 v147, v147, 0x77, vcc_lo
	s_delay_alu instid0(VALU_DEP_2) | instskip(SKIP_1) | instid1(VALU_DEP_3)
	v_cndmask_b32_e64 v144, v144, 0xffffff8a, vcc_lo
	v_cndmask_b32_e32 v146, v148, v146, vcc_lo
	v_lshl_add_u32 v148, 0x100000, v147, -1
	v_lshlrev_b32_e64 v151, v147, 0x80000
	s_delay_alu instid0(VALU_DEP_3) | instskip(SKIP_1) | instid1(VALU_DEP_4)
	v_lshrrev_b32_e32 v149, v147, v146
	v_add_nc_u32_e32 v147, v147, v144
	v_and_b32_e32 v146, v148, v146
	s_delay_alu instid0(VALU_DEP_3) | instskip(NEXT) | instid1(VALU_DEP_2)
	v_bfe_u32 v150, v149, 20, 1
	v_cmp_eq_u32_e64 s7, v146, v151
	s_delay_alu instid0(VALU_DEP_2) | instskip(NEXT) | instid1(VALU_DEP_1)
	v_add_nc_u32_e32 v148, -1, v150
	v_cndmask_b32_e64 v146, 0, v148, s7
	v_lshrrev_b32_e32 v148, 23, v149
	s_mov_b32 s7, exec_lo
	s_delay_alu instid0(VALU_DEP_2) | instskip(NEXT) | instid1(VALU_DEP_2)
	v_add_nc_u32_e32 v146, v146, v149
	v_xor_b32_e32 v148, 1, v148
	s_delay_alu instid0(VALU_DEP_2) | instskip(NEXT) | instid1(VALU_DEP_1)
	v_and_b32_e32 v144, 0xfffff, v146
	v_add_nc_u32_e32 v146, v144, v149
                                        ; implicit-def: $vgpr144
	s_delay_alu instid0(VALU_DEP_3)
	v_cmpx_ne_u32_e64 v147, v148
	s_xor_b32 s7, exec_lo, s7
; %bb.5456:                             ;   in Loop: Header=BB6_5432 Depth=2
	s_delay_alu instid0(VALU_DEP_2) | instskip(SKIP_2) | instid1(VALU_DEP_2)
	v_cmp_lt_u32_e32 vcc_lo, 0xffffff, v146
	v_sub_nc_u32_e32 v144, v147, v148
	v_cndmask_b32_e64 v147, 0, 1, vcc_lo
	v_add_co_ci_u32_e32 v144, vcc_lo, 0, v144, vcc_lo
	s_delay_alu instid0(VALU_DEP_2)
	v_lshrrev_b32_e32 v146, v147, v146
; %bb.5457:                             ;   in Loop: Header=BB6_5432 Depth=2
	s_and_not1_saveexec_b32 s7, s7
; %bb.5458:                             ;   in Loop: Header=BB6_5432 Depth=2
	s_delay_alu instid0(VALU_DEP_1)
	v_bfe_u32 v144, v146, 23, 1
; %bb.5459:                             ;   in Loop: Header=BB6_5432 Depth=2
	s_or_b32 exec_lo, exec_lo, s7
	v_lshrrev_b32_e32 v146, 20, v146
	s_delay_alu instid0(VALU_DEP_2) | instskip(SKIP_2) | instid1(VALU_DEP_2)
	v_cmp_gt_i32_e32 vcc_lo, 16, v144
	v_lshrrev_b32_e32 v145, 24, v145
	v_min_i32_e32 v147, 15, v144
	v_dual_cndmask_b32 v146, 7, v146 :: v_dual_and_b32 v145, 0x80, v145
	s_delay_alu instid0(VALU_DEP_1) | instskip(SKIP_1) | instid1(VALU_DEP_2)
	v_or_b32_e32 v144, v144, v146
	v_and_b32_e32 v148, 7, v146
	v_cmp_ne_u32_e32 vcc_lo, 0, v144
	v_lshlrev_b32_e32 v147, 3, v147
	s_delay_alu instid0(VALU_DEP_1) | instskip(NEXT) | instid1(VALU_DEP_1)
	v_or3_b32 v145, v147, v145, v148
	v_cndmask_b32_e32 v144, 0, v145, vcc_lo
.LBB6_5460:                             ;   in Loop: Header=BB6_5432 Depth=2
	s_or_b32 exec_lo, exec_lo, s25
.LBB6_5461:                             ;   in Loop: Header=BB6_5432 Depth=2
	s_delay_alu instid0(SALU_CYCLE_1)
	s_or_b32 exec_lo, exec_lo, s24
	s_waitcnt vmcnt(7)
	v_lshrrev_b16 v146, 8, v48
	s_waitcnt vmcnt(3)
	v_lshrrev_b16 v145, 8, v36
	s_and_b32 vcc_lo, exec_lo, s23
	s_cbranch_vccz .LBB6_5471
; %bb.5462:                             ;   in Loop: Header=BB6_5432 Depth=2
	s_mov_b32 s7, 0
	s_mov_b32 s25, exec_lo
                                        ; implicit-def: $sgpr24
	v_cmpx_lt_i16_e64 0x7f, v146
	s_xor_b32 s25, exec_lo, s25
	s_cbranch_execnz .LBB6_7302
; %bb.5463:                             ;   in Loop: Header=BB6_5432 Depth=2
	s_or_saveexec_b32 s25, s25
	v_mov_b32_e32 v147, s24
	s_xor_b32 exec_lo, exec_lo, s25
	s_cbranch_execnz .LBB6_7305
.LBB6_5464:                             ;   in Loop: Header=BB6_5432 Depth=2
	s_or_b32 exec_lo, exec_lo, s25
	s_and_saveexec_b32 s24, s7
	s_cbranch_execz .LBB6_5466
.LBB6_5465:                             ;   in Loop: Header=BB6_5432 Depth=2
	v_and_b32_e32 v147, 0xffff, v146
	s_delay_alu instid0(VALU_DEP_1) | instskip(NEXT) | instid1(VALU_DEP_1)
	v_and_b32_e32 v148, 7, v147
	v_clz_i32_u32_e32 v149, v148
	s_delay_alu instid0(VALU_DEP_1) | instskip(NEXT) | instid1(VALU_DEP_1)
	v_min_u32_e32 v149, 32, v149
	v_subrev_nc_u32_e32 v150, 28, v149
	v_sub_nc_u32_e32 v149, 29, v149
	s_delay_alu instid0(VALU_DEP_2) | instskip(SKIP_1) | instid1(VALU_DEP_2)
	v_lshlrev_b32_e32 v150, v150, v147
	v_bfe_u32 v147, v147, 3, 4
	v_and_b32_e32 v150, 7, v150
	s_delay_alu instid0(VALU_DEP_2) | instskip(SKIP_1) | instid1(VALU_DEP_3)
	v_cmp_eq_u32_e32 vcc_lo, 0, v147
	v_cndmask_b32_e32 v147, v147, v149, vcc_lo
	v_dual_cndmask_b32 v148, v148, v150 :: v_dual_lshlrev_b32 v151, 16, v48
	s_delay_alu instid0(VALU_DEP_2) | instskip(NEXT) | instid1(VALU_DEP_2)
	v_lshl_add_u32 v147, v147, 23, 0x3b800000
	v_and_b32_e32 v149, 0x80000000, v151
	s_delay_alu instid0(VALU_DEP_3) | instskip(NEXT) | instid1(VALU_DEP_1)
	v_lshlrev_b32_e32 v148, 20, v148
	v_or3_b32 v147, v149, v147, v148
.LBB6_5466:                             ;   in Loop: Header=BB6_5432 Depth=2
	s_or_b32 exec_lo, exec_lo, s24
	s_mov_b32 s7, 0
	s_mov_b32 s25, exec_lo
                                        ; implicit-def: $sgpr24
	v_cmpx_lt_i16_e64 0x7f, v145
	s_xor_b32 s25, exec_lo, s25
	s_cbranch_execnz .LBB6_7306
; %bb.5467:                             ;   in Loop: Header=BB6_5432 Depth=2
	s_or_saveexec_b32 s25, s25
	v_mov_b32_e32 v148, s24
	s_xor_b32 exec_lo, exec_lo, s25
	s_cbranch_execnz .LBB6_7309
.LBB6_5468:                             ;   in Loop: Header=BB6_5432 Depth=2
	s_or_b32 exec_lo, exec_lo, s25
	s_and_saveexec_b32 s24, s7
	s_cbranch_execz .LBB6_5470
.LBB6_5469:                             ;   in Loop: Header=BB6_5432 Depth=2
	v_and_b32_e32 v148, 0xffff, v145
	v_lshlrev_b32_e32 v160, 16, v36
	s_delay_alu instid0(VALU_DEP_2) | instskip(NEXT) | instid1(VALU_DEP_1)
	v_and_b32_e32 v149, 7, v148
	v_clz_i32_u32_e32 v150, v149
	s_delay_alu instid0(VALU_DEP_1) | instskip(NEXT) | instid1(VALU_DEP_1)
	v_min_u32_e32 v150, 32, v150
	v_subrev_nc_u32_e32 v151, 28, v150
	v_sub_nc_u32_e32 v150, 29, v150
	s_delay_alu instid0(VALU_DEP_2) | instskip(SKIP_1) | instid1(VALU_DEP_2)
	v_lshlrev_b32_e32 v151, v151, v148
	v_bfe_u32 v148, v148, 3, 4
	v_and_b32_e32 v151, 7, v151
	s_delay_alu instid0(VALU_DEP_2) | instskip(NEXT) | instid1(VALU_DEP_2)
	v_cmp_eq_u32_e32 vcc_lo, 0, v148
	v_dual_cndmask_b32 v148, v148, v150 :: v_dual_cndmask_b32 v149, v149, v151
	v_and_b32_e32 v150, 0x80000000, v160
	s_delay_alu instid0(VALU_DEP_2) | instskip(NEXT) | instid1(VALU_DEP_3)
	v_lshl_add_u32 v148, v148, 23, 0x3b800000
	v_lshlrev_b32_e32 v149, 20, v149
	s_delay_alu instid0(VALU_DEP_1)
	v_or3_b32 v148, v150, v148, v149
.LBB6_5470:                             ;   in Loop: Header=BB6_5432 Depth=2
	s_or_b32 exec_lo, exec_lo, s24
	s_delay_alu instid0(VALU_DEP_1) | instskip(SKIP_1) | instid1(VALU_DEP_1)
	v_dual_max_f32 v148, v148, v148 :: v_dual_max_f32 v147, v147, v147
	s_mov_b32 s7, 0
	v_max_f32_e32 v147, v147, v148
	s_branch .LBB6_5472
.LBB6_5471:                             ;   in Loop: Header=BB6_5432 Depth=2
	s_mov_b32 s7, -1
                                        ; implicit-def: $vgpr147
.LBB6_5472:                             ;   in Loop: Header=BB6_5432 Depth=2
	s_delay_alu instid0(SALU_CYCLE_1)
	s_and_b32 vcc_lo, exec_lo, s7
	s_cbranch_vccz .LBB6_5482
; %bb.5473:                             ;   in Loop: Header=BB6_5432 Depth=2
	s_mov_b32 s7, 0
	s_mov_b32 s25, exec_lo
                                        ; implicit-def: $sgpr24
	v_cmpx_lt_i16_e64 0x7f, v146
	s_xor_b32 s25, exec_lo, s25
	s_cbranch_execnz .LBB6_7310
; %bb.5474:                             ;   in Loop: Header=BB6_5432 Depth=2
	s_or_saveexec_b32 s25, s25
	v_mov_b32_e32 v147, s24
	s_xor_b32 exec_lo, exec_lo, s25
	s_cbranch_execnz .LBB6_7313
.LBB6_5475:                             ;   in Loop: Header=BB6_5432 Depth=2
	s_or_b32 exec_lo, exec_lo, s25
	s_and_saveexec_b32 s24, s7
	s_cbranch_execz .LBB6_5477
.LBB6_5476:                             ;   in Loop: Header=BB6_5432 Depth=2
	v_and_b32_e32 v146, 0xffff, v146
	v_lshlrev_b32_e32 v150, 16, v48
	s_delay_alu instid0(VALU_DEP_2) | instskip(NEXT) | instid1(VALU_DEP_1)
	v_and_b32_e32 v147, 7, v146
	v_clz_i32_u32_e32 v148, v147
	s_delay_alu instid0(VALU_DEP_1) | instskip(NEXT) | instid1(VALU_DEP_1)
	v_min_u32_e32 v148, 32, v148
	v_subrev_nc_u32_e32 v149, 28, v148
	v_sub_nc_u32_e32 v148, 29, v148
	s_delay_alu instid0(VALU_DEP_2) | instskip(SKIP_1) | instid1(VALU_DEP_2)
	v_lshlrev_b32_e32 v149, v149, v146
	v_bfe_u32 v146, v146, 3, 4
	v_and_b32_e32 v149, 7, v149
	s_delay_alu instid0(VALU_DEP_2) | instskip(NEXT) | instid1(VALU_DEP_2)
	v_cmp_eq_u32_e32 vcc_lo, 0, v146
	v_dual_cndmask_b32 v146, v146, v148 :: v_dual_cndmask_b32 v147, v147, v149
	v_and_b32_e32 v148, 0x80000000, v150
	s_delay_alu instid0(VALU_DEP_2) | instskip(NEXT) | instid1(VALU_DEP_3)
	v_lshl_add_u32 v146, v146, 23, 0x3b800000
	v_lshlrev_b32_e32 v147, 20, v147
	s_delay_alu instid0(VALU_DEP_1)
	v_or3_b32 v147, v148, v146, v147
.LBB6_5477:                             ;   in Loop: Header=BB6_5432 Depth=2
	s_or_b32 exec_lo, exec_lo, s24
	s_mov_b32 s7, 0
	s_mov_b32 s25, exec_lo
                                        ; implicit-def: $sgpr24
	v_cmpx_lt_i16_e64 0x7f, v145
	s_xor_b32 s25, exec_lo, s25
	s_cbranch_execnz .LBB6_7314
; %bb.5478:                             ;   in Loop: Header=BB6_5432 Depth=2
	s_or_saveexec_b32 s25, s25
	v_mov_b32_e32 v146, s24
	s_xor_b32 exec_lo, exec_lo, s25
	s_cbranch_execnz .LBB6_7317
.LBB6_5479:                             ;   in Loop: Header=BB6_5432 Depth=2
	s_or_b32 exec_lo, exec_lo, s25
	s_and_saveexec_b32 s24, s7
	s_cbranch_execz .LBB6_5481
.LBB6_5480:                             ;   in Loop: Header=BB6_5432 Depth=2
	v_and_b32_e32 v145, 0xffff, v145
	v_lshlrev_b32_e32 v150, 16, v36
	s_delay_alu instid0(VALU_DEP_2) | instskip(NEXT) | instid1(VALU_DEP_1)
	v_and_b32_e32 v146, 7, v145
	v_clz_i32_u32_e32 v148, v146
	s_delay_alu instid0(VALU_DEP_1) | instskip(NEXT) | instid1(VALU_DEP_1)
	v_min_u32_e32 v148, 32, v148
	v_subrev_nc_u32_e32 v149, 28, v148
	v_sub_nc_u32_e32 v148, 29, v148
	s_delay_alu instid0(VALU_DEP_2) | instskip(SKIP_1) | instid1(VALU_DEP_2)
	v_lshlrev_b32_e32 v149, v149, v145
	v_bfe_u32 v145, v145, 3, 4
	v_and_b32_e32 v149, 7, v149
	s_delay_alu instid0(VALU_DEP_2) | instskip(NEXT) | instid1(VALU_DEP_2)
	v_cmp_eq_u32_e32 vcc_lo, 0, v145
	v_dual_cndmask_b32 v145, v145, v148 :: v_dual_cndmask_b32 v146, v146, v149
	v_and_b32_e32 v148, 0x80000000, v150
	s_delay_alu instid0(VALU_DEP_2) | instskip(NEXT) | instid1(VALU_DEP_3)
	v_lshl_add_u32 v145, v145, 23, 0x3b800000
	v_lshlrev_b32_e32 v146, 20, v146
	s_delay_alu instid0(VALU_DEP_1)
	v_or3_b32 v146, v148, v145, v146
.LBB6_5481:                             ;   in Loop: Header=BB6_5432 Depth=2
	s_or_b32 exec_lo, exec_lo, s24
	s_delay_alu instid0(VALU_DEP_1) | instskip(NEXT) | instid1(VALU_DEP_1)
	v_dual_max_f32 v145, v146, v146 :: v_dual_max_f32 v146, v147, v147
	v_min_f32_e32 v147, v146, v145
.LBB6_5482:                             ;   in Loop: Header=BB6_5432 Depth=2
	s_delay_alu instid0(VALU_DEP_1) | instskip(NEXT) | instid1(VALU_DEP_1)
	v_and_b32_e32 v145, 0x7f800000, v147
	v_cmp_ne_u32_e32 vcc_lo, 0x7f800000, v145
	v_mov_b32_e32 v145, 0x80
	s_and_saveexec_b32 s24, vcc_lo
	s_cbranch_execz .LBB6_5490
; %bb.5483:                             ;   in Loop: Header=BB6_5432 Depth=2
	v_mov_b32_e32 v145, 0
	s_mov_b32 s25, exec_lo
	v_cmpx_ne_u32_e32 0, v147
	s_cbranch_execz .LBB6_5489
; %bb.5484:                             ;   in Loop: Header=BB6_5432 Depth=2
	v_bfe_u32 v145, v147, 23, 8
	v_and_b32_e32 v146, 0x7fffff, v147
	s_delay_alu instid0(VALU_DEP_2) | instskip(SKIP_1) | instid1(VALU_DEP_3)
	v_sub_nc_u32_e32 v148, 0x78, v145
	v_cmp_gt_u32_e32 vcc_lo, 0x79, v145
	v_or_b32_e32 v149, 0x800000, v146
	s_delay_alu instid0(VALU_DEP_3) | instskip(SKIP_2) | instid1(VALU_DEP_3)
	v_cndmask_b32_e32 v148, 0, v148, vcc_lo
	v_cmp_eq_u32_e32 vcc_lo, 0, v145
	v_add_nc_u32_e32 v145, 0xffffff89, v145
	v_cndmask_b32_e64 v148, v148, 0x77, vcc_lo
	v_cndmask_b32_e32 v146, v149, v146, vcc_lo
	s_delay_alu instid0(VALU_DEP_3) | instskip(NEXT) | instid1(VALU_DEP_3)
	v_cndmask_b32_e64 v145, v145, 0xffffff8a, vcc_lo
	v_lshl_add_u32 v149, 0x100000, v148, -1
	s_delay_alu instid0(VALU_DEP_3) | instskip(SKIP_1) | instid1(VALU_DEP_4)
	v_lshrrev_b32_e32 v150, v148, v146
	v_lshlrev_b32_e64 v160, v148, 0x80000
	v_add_nc_u32_e32 v148, v148, v145
	s_delay_alu instid0(VALU_DEP_4) | instskip(NEXT) | instid1(VALU_DEP_4)
	v_and_b32_e32 v146, v149, v146
	v_bfe_u32 v151, v150, 20, 1
	s_delay_alu instid0(VALU_DEP_2) | instskip(NEXT) | instid1(VALU_DEP_2)
	v_cmp_eq_u32_e64 s7, v146, v160
	v_add_nc_u32_e32 v149, -1, v151
	s_delay_alu instid0(VALU_DEP_1) | instskip(SKIP_2) | instid1(VALU_DEP_2)
	v_cndmask_b32_e64 v146, 0, v149, s7
	v_lshrrev_b32_e32 v149, 23, v150
	s_mov_b32 s7, exec_lo
	v_add_nc_u32_e32 v146, v146, v150
	s_delay_alu instid0(VALU_DEP_2) | instskip(NEXT) | instid1(VALU_DEP_2)
	v_xor_b32_e32 v149, 1, v149
	v_and_b32_e32 v145, 0xfffff, v146
	s_delay_alu instid0(VALU_DEP_1) | instskip(NEXT) | instid1(VALU_DEP_3)
	v_add_nc_u32_e32 v146, v145, v150
                                        ; implicit-def: $vgpr145
	v_cmpx_ne_u32_e64 v148, v149
	s_xor_b32 s7, exec_lo, s7
; %bb.5485:                             ;   in Loop: Header=BB6_5432 Depth=2
	s_delay_alu instid0(VALU_DEP_2) | instskip(SKIP_2) | instid1(VALU_DEP_2)
	v_cmp_lt_u32_e32 vcc_lo, 0xffffff, v146
	v_sub_nc_u32_e32 v145, v148, v149
	v_cndmask_b32_e64 v148, 0, 1, vcc_lo
	v_add_co_ci_u32_e32 v145, vcc_lo, 0, v145, vcc_lo
	s_delay_alu instid0(VALU_DEP_2)
	v_lshrrev_b32_e32 v146, v148, v146
; %bb.5486:                             ;   in Loop: Header=BB6_5432 Depth=2
	s_and_not1_saveexec_b32 s7, s7
; %bb.5487:                             ;   in Loop: Header=BB6_5432 Depth=2
	s_delay_alu instid0(VALU_DEP_1)
	v_bfe_u32 v145, v146, 23, 1
; %bb.5488:                             ;   in Loop: Header=BB6_5432 Depth=2
	s_or_b32 exec_lo, exec_lo, s7
	v_lshrrev_b32_e32 v146, 20, v146
	s_delay_alu instid0(VALU_DEP_2) | instskip(SKIP_2) | instid1(VALU_DEP_2)
	v_cmp_gt_i32_e32 vcc_lo, 16, v145
	v_lshrrev_b32_e32 v147, 24, v147
	v_min_i32_e32 v148, 15, v145
	v_dual_cndmask_b32 v146, 7, v146 :: v_dual_and_b32 v147, 0x80, v147
	s_delay_alu instid0(VALU_DEP_1) | instskip(SKIP_1) | instid1(VALU_DEP_2)
	v_or_b32_e32 v145, v145, v146
	v_and_b32_e32 v149, 7, v146
	v_cmp_ne_u32_e32 vcc_lo, 0, v145
	v_lshlrev_b32_e32 v148, 3, v148
	s_delay_alu instid0(VALU_DEP_1) | instskip(NEXT) | instid1(VALU_DEP_1)
	v_or3_b32 v146, v148, v147, v149
	v_cndmask_b32_e32 v145, 0, v146, vcc_lo
.LBB6_5489:                             ;   in Loop: Header=BB6_5432 Depth=2
	s_or_b32 exec_lo, exec_lo, s25
.LBB6_5490:                             ;   in Loop: Header=BB6_5432 Depth=2
	s_delay_alu instid0(SALU_CYCLE_1)
	s_or_b32 exec_lo, exec_lo, s24
	v_lshrrev_b32_e32 v147, 16, v48
	v_lshrrev_b32_e32 v146, 16, v36
	s_and_b32 vcc_lo, exec_lo, s23
	s_cbranch_vccz .LBB6_5500
; %bb.5491:                             ;   in Loop: Header=BB6_5432 Depth=2
	s_delay_alu instid0(VALU_DEP_2) | instskip(SKIP_2) | instid1(VALU_DEP_1)
	v_and_b32_e32 v149, 0xff, v147
	s_mov_b32 s7, 0
	s_mov_b32 s25, exec_lo
                                        ; implicit-def: $sgpr24
	v_cmpx_lt_i16_e64 0x7f, v149
	s_xor_b32 s25, exec_lo, s25
	s_cbranch_execnz .LBB6_7318
; %bb.5492:                             ;   in Loop: Header=BB6_5432 Depth=2
	s_or_saveexec_b32 s25, s25
	v_mov_b32_e32 v148, s24
	s_xor_b32 exec_lo, exec_lo, s25
	s_cbranch_execnz .LBB6_7321
.LBB6_5493:                             ;   in Loop: Header=BB6_5432 Depth=2
	s_or_b32 exec_lo, exec_lo, s25
	s_and_saveexec_b32 s24, s7
	s_cbranch_execz .LBB6_5495
.LBB6_5494:                             ;   in Loop: Header=BB6_5432 Depth=2
	v_bfe_u32 v148, v48, 16, 3
	v_bfe_u32 v151, v48, 19, 4
	v_lshlrev_b32_e32 v160, 24, v147
	s_delay_alu instid0(VALU_DEP_3) | instskip(NEXT) | instid1(VALU_DEP_3)
	v_clz_i32_u32_e32 v149, v148
	v_cmp_eq_u32_e32 vcc_lo, 0, v151
	s_delay_alu instid0(VALU_DEP_2) | instskip(NEXT) | instid1(VALU_DEP_1)
	v_min_u32_e32 v149, 32, v149
	v_subrev_nc_u32_e32 v150, 28, v149
	v_sub_nc_u32_e32 v149, 29, v149
	s_delay_alu instid0(VALU_DEP_1) | instskip(NEXT) | instid1(VALU_DEP_1)
	v_dual_cndmask_b32 v149, v151, v149 :: v_dual_lshlrev_b32 v150, v150, v147
	v_and_b32_e32 v150, 7, v150
	s_delay_alu instid0(VALU_DEP_2) | instskip(NEXT) | instid1(VALU_DEP_2)
	v_lshl_add_u32 v149, v149, 23, 0x3b800000
	v_cndmask_b32_e32 v148, v148, v150, vcc_lo
	v_and_b32_e32 v150, 0x80000000, v160
	s_delay_alu instid0(VALU_DEP_2) | instskip(NEXT) | instid1(VALU_DEP_1)
	v_lshlrev_b32_e32 v148, 20, v148
	v_or3_b32 v148, v150, v149, v148
.LBB6_5495:                             ;   in Loop: Header=BB6_5432 Depth=2
	s_or_b32 exec_lo, exec_lo, s24
	v_and_b32_e32 v150, 0xff, v146
	s_mov_b32 s7, 0
	s_mov_b32 s25, exec_lo
                                        ; implicit-def: $sgpr24
	s_delay_alu instid0(VALU_DEP_1)
	v_cmpx_lt_i16_e64 0x7f, v150
	s_xor_b32 s25, exec_lo, s25
	s_cbranch_execnz .LBB6_7322
; %bb.5496:                             ;   in Loop: Header=BB6_5432 Depth=2
	s_or_saveexec_b32 s25, s25
	v_mov_b32_e32 v149, s24
	s_xor_b32 exec_lo, exec_lo, s25
	s_cbranch_execnz .LBB6_7325
.LBB6_5497:                             ;   in Loop: Header=BB6_5432 Depth=2
	s_or_b32 exec_lo, exec_lo, s25
	s_and_saveexec_b32 s24, s7
	s_cbranch_execz .LBB6_5499
.LBB6_5498:                             ;   in Loop: Header=BB6_5432 Depth=2
	v_bfe_u32 v149, v36, 16, 3
	v_bfe_u32 v160, v36, 19, 4
	v_lshlrev_b32_e32 v161, 24, v146
	s_delay_alu instid0(VALU_DEP_3) | instskip(NEXT) | instid1(VALU_DEP_3)
	v_clz_i32_u32_e32 v150, v149
	v_cmp_eq_u32_e32 vcc_lo, 0, v160
	s_delay_alu instid0(VALU_DEP_2) | instskip(NEXT) | instid1(VALU_DEP_1)
	v_min_u32_e32 v150, 32, v150
	v_subrev_nc_u32_e32 v151, 28, v150
	v_sub_nc_u32_e32 v150, 29, v150
	s_delay_alu instid0(VALU_DEP_2) | instskip(NEXT) | instid1(VALU_DEP_1)
	v_lshlrev_b32_e32 v151, v151, v146
	v_dual_cndmask_b32 v150, v160, v150 :: v_dual_and_b32 v151, 7, v151
	s_delay_alu instid0(VALU_DEP_1) | instskip(NEXT) | instid1(VALU_DEP_2)
	v_lshl_add_u32 v150, v150, 23, 0x3b800000
	v_cndmask_b32_e32 v149, v149, v151, vcc_lo
	v_and_b32_e32 v151, 0x80000000, v161
	s_delay_alu instid0(VALU_DEP_2) | instskip(NEXT) | instid1(VALU_DEP_1)
	v_lshlrev_b32_e32 v149, 20, v149
	v_or3_b32 v149, v151, v150, v149
.LBB6_5499:                             ;   in Loop: Header=BB6_5432 Depth=2
	s_or_b32 exec_lo, exec_lo, s24
	s_delay_alu instid0(VALU_DEP_1) | instskip(SKIP_1) | instid1(VALU_DEP_1)
	v_dual_max_f32 v149, v149, v149 :: v_dual_max_f32 v148, v148, v148
	s_mov_b32 s7, 0
	v_max_f32_e32 v148, v148, v149
	s_branch .LBB6_5501
.LBB6_5500:                             ;   in Loop: Header=BB6_5432 Depth=2
	s_mov_b32 s7, -1
                                        ; implicit-def: $vgpr148
.LBB6_5501:                             ;   in Loop: Header=BB6_5432 Depth=2
	s_delay_alu instid0(SALU_CYCLE_1)
	s_and_b32 vcc_lo, exec_lo, s7
	s_cbranch_vccz .LBB6_5511
; %bb.5502:                             ;   in Loop: Header=BB6_5432 Depth=2
	v_and_b32_e32 v149, 0xff, v147
	s_mov_b32 s7, 0
	s_mov_b32 s25, exec_lo
                                        ; implicit-def: $sgpr24
	s_delay_alu instid0(VALU_DEP_1)
	v_cmpx_lt_i16_e64 0x7f, v149
	s_xor_b32 s25, exec_lo, s25
	s_cbranch_execnz .LBB6_7326
; %bb.5503:                             ;   in Loop: Header=BB6_5432 Depth=2
	s_or_saveexec_b32 s25, s25
	v_mov_b32_e32 v148, s24
	s_xor_b32 exec_lo, exec_lo, s25
	s_cbranch_execnz .LBB6_7329
.LBB6_5504:                             ;   in Loop: Header=BB6_5432 Depth=2
	s_or_b32 exec_lo, exec_lo, s25
	s_and_saveexec_b32 s24, s7
	s_cbranch_execz .LBB6_5506
.LBB6_5505:                             ;   in Loop: Header=BB6_5432 Depth=2
	v_bfe_u32 v148, v48, 16, 3
	v_bfe_u32 v151, v48, 19, 4
	s_delay_alu instid0(VALU_DEP_2) | instskip(NEXT) | instid1(VALU_DEP_2)
	v_clz_i32_u32_e32 v149, v148
	v_cmp_eq_u32_e32 vcc_lo, 0, v151
	s_delay_alu instid0(VALU_DEP_2) | instskip(NEXT) | instid1(VALU_DEP_1)
	v_min_u32_e32 v149, 32, v149
	v_subrev_nc_u32_e32 v150, 28, v149
	v_sub_nc_u32_e32 v149, 29, v149
	s_delay_alu instid0(VALU_DEP_1) | instskip(NEXT) | instid1(VALU_DEP_1)
	v_dual_cndmask_b32 v149, v151, v149 :: v_dual_lshlrev_b32 v150, v150, v147
	v_and_b32_e32 v150, 7, v150
	v_lshlrev_b32_e32 v147, 24, v147
	s_delay_alu instid0(VALU_DEP_3) | instskip(NEXT) | instid1(VALU_DEP_2)
	v_lshl_add_u32 v149, v149, 23, 0x3b800000
	v_dual_cndmask_b32 v148, v148, v150 :: v_dual_and_b32 v147, 0x80000000, v147
	s_delay_alu instid0(VALU_DEP_1) | instskip(NEXT) | instid1(VALU_DEP_1)
	v_lshlrev_b32_e32 v148, 20, v148
	v_or3_b32 v148, v147, v149, v148
.LBB6_5506:                             ;   in Loop: Header=BB6_5432 Depth=2
	s_or_b32 exec_lo, exec_lo, s24
	v_and_b32_e32 v149, 0xff, v146
	s_mov_b32 s7, 0
	s_mov_b32 s25, exec_lo
                                        ; implicit-def: $sgpr24
	s_delay_alu instid0(VALU_DEP_1)
	v_cmpx_lt_i16_e64 0x7f, v149
	s_xor_b32 s25, exec_lo, s25
	s_cbranch_execnz .LBB6_7330
; %bb.5507:                             ;   in Loop: Header=BB6_5432 Depth=2
	s_or_saveexec_b32 s25, s25
	v_mov_b32_e32 v147, s24
	s_xor_b32 exec_lo, exec_lo, s25
	s_cbranch_execnz .LBB6_7333
.LBB6_5508:                             ;   in Loop: Header=BB6_5432 Depth=2
	s_or_b32 exec_lo, exec_lo, s25
	s_and_saveexec_b32 s24, s7
	s_cbranch_execz .LBB6_5510
.LBB6_5509:                             ;   in Loop: Header=BB6_5432 Depth=2
	v_bfe_u32 v147, v36, 16, 3
	v_bfe_u32 v151, v36, 19, 4
	s_delay_alu instid0(VALU_DEP_2) | instskip(NEXT) | instid1(VALU_DEP_2)
	v_clz_i32_u32_e32 v149, v147
	v_cmp_eq_u32_e32 vcc_lo, 0, v151
	s_delay_alu instid0(VALU_DEP_2) | instskip(NEXT) | instid1(VALU_DEP_1)
	v_min_u32_e32 v149, 32, v149
	v_subrev_nc_u32_e32 v150, 28, v149
	v_sub_nc_u32_e32 v149, 29, v149
	s_delay_alu instid0(VALU_DEP_1) | instskip(SKIP_1) | instid1(VALU_DEP_2)
	v_dual_cndmask_b32 v149, v151, v149 :: v_dual_lshlrev_b32 v150, v150, v146
	v_lshlrev_b32_e32 v146, 24, v146
	v_and_b32_e32 v150, 7, v150
	s_delay_alu instid0(VALU_DEP_3) | instskip(NEXT) | instid1(VALU_DEP_3)
	v_lshl_add_u32 v149, v149, 23, 0x3b800000
	v_and_b32_e32 v146, 0x80000000, v146
	s_delay_alu instid0(VALU_DEP_3) | instskip(NEXT) | instid1(VALU_DEP_1)
	v_cndmask_b32_e32 v147, v147, v150, vcc_lo
	v_lshlrev_b32_e32 v147, 20, v147
	s_delay_alu instid0(VALU_DEP_1)
	v_or3_b32 v147, v146, v149, v147
.LBB6_5510:                             ;   in Loop: Header=BB6_5432 Depth=2
	s_or_b32 exec_lo, exec_lo, s24
	s_delay_alu instid0(VALU_DEP_1) | instskip(NEXT) | instid1(VALU_DEP_1)
	v_dual_max_f32 v146, v147, v147 :: v_dual_max_f32 v147, v148, v148
	v_min_f32_e32 v148, v147, v146
.LBB6_5511:                             ;   in Loop: Header=BB6_5432 Depth=2
	s_delay_alu instid0(VALU_DEP_1) | instskip(NEXT) | instid1(VALU_DEP_1)
	v_and_b32_e32 v146, 0x7f800000, v148
	v_cmp_ne_u32_e32 vcc_lo, 0x7f800000, v146
	v_mov_b32_e32 v146, 0x80
	s_and_saveexec_b32 s24, vcc_lo
	s_cbranch_execz .LBB6_5519
; %bb.5512:                             ;   in Loop: Header=BB6_5432 Depth=2
	v_mov_b32_e32 v146, 0
	s_mov_b32 s25, exec_lo
	v_cmpx_ne_u32_e32 0, v148
	s_cbranch_execz .LBB6_5518
; %bb.5513:                             ;   in Loop: Header=BB6_5432 Depth=2
	v_bfe_u32 v146, v148, 23, 8
	v_and_b32_e32 v147, 0x7fffff, v148
	s_delay_alu instid0(VALU_DEP_2) | instskip(SKIP_1) | instid1(VALU_DEP_3)
	v_sub_nc_u32_e32 v149, 0x78, v146
	v_cmp_gt_u32_e32 vcc_lo, 0x79, v146
	v_or_b32_e32 v150, 0x800000, v147
	s_delay_alu instid0(VALU_DEP_3) | instskip(SKIP_2) | instid1(VALU_DEP_3)
	v_cndmask_b32_e32 v149, 0, v149, vcc_lo
	v_cmp_eq_u32_e32 vcc_lo, 0, v146
	v_add_nc_u32_e32 v146, 0xffffff89, v146
	v_cndmask_b32_e64 v149, v149, 0x77, vcc_lo
	v_cndmask_b32_e32 v147, v150, v147, vcc_lo
	s_delay_alu instid0(VALU_DEP_3) | instskip(NEXT) | instid1(VALU_DEP_3)
	v_cndmask_b32_e64 v146, v146, 0xffffff8a, vcc_lo
	v_lshl_add_u32 v150, 0x100000, v149, -1
	s_delay_alu instid0(VALU_DEP_3) | instskip(SKIP_1) | instid1(VALU_DEP_4)
	v_lshrrev_b32_e32 v151, v149, v147
	v_lshlrev_b32_e64 v161, v149, 0x80000
	v_add_nc_u32_e32 v149, v149, v146
	s_delay_alu instid0(VALU_DEP_4) | instskip(NEXT) | instid1(VALU_DEP_4)
	v_and_b32_e32 v147, v150, v147
	v_bfe_u32 v160, v151, 20, 1
	s_delay_alu instid0(VALU_DEP_2) | instskip(NEXT) | instid1(VALU_DEP_2)
	v_cmp_eq_u32_e64 s7, v147, v161
	v_add_nc_u32_e32 v150, -1, v160
	s_delay_alu instid0(VALU_DEP_1) | instskip(SKIP_2) | instid1(VALU_DEP_2)
	v_cndmask_b32_e64 v147, 0, v150, s7
	v_lshrrev_b32_e32 v150, 23, v151
	s_mov_b32 s7, exec_lo
	v_add_nc_u32_e32 v147, v147, v151
	s_delay_alu instid0(VALU_DEP_2) | instskip(NEXT) | instid1(VALU_DEP_2)
	v_xor_b32_e32 v150, 1, v150
	v_and_b32_e32 v146, 0xfffff, v147
	s_delay_alu instid0(VALU_DEP_1) | instskip(NEXT) | instid1(VALU_DEP_3)
	v_add_nc_u32_e32 v147, v146, v151
                                        ; implicit-def: $vgpr146
	v_cmpx_ne_u32_e64 v149, v150
	s_xor_b32 s7, exec_lo, s7
; %bb.5514:                             ;   in Loop: Header=BB6_5432 Depth=2
	s_delay_alu instid0(VALU_DEP_2) | instskip(SKIP_2) | instid1(VALU_DEP_2)
	v_cmp_lt_u32_e32 vcc_lo, 0xffffff, v147
	v_sub_nc_u32_e32 v146, v149, v150
	v_cndmask_b32_e64 v149, 0, 1, vcc_lo
	v_add_co_ci_u32_e32 v146, vcc_lo, 0, v146, vcc_lo
	s_delay_alu instid0(VALU_DEP_2)
	v_lshrrev_b32_e32 v147, v149, v147
; %bb.5515:                             ;   in Loop: Header=BB6_5432 Depth=2
	s_and_not1_saveexec_b32 s7, s7
; %bb.5516:                             ;   in Loop: Header=BB6_5432 Depth=2
	s_delay_alu instid0(VALU_DEP_1)
	v_bfe_u32 v146, v147, 23, 1
; %bb.5517:                             ;   in Loop: Header=BB6_5432 Depth=2
	s_or_b32 exec_lo, exec_lo, s7
	v_lshrrev_b32_e32 v147, 20, v147
	s_delay_alu instid0(VALU_DEP_2) | instskip(SKIP_2) | instid1(VALU_DEP_2)
	v_cmp_gt_i32_e32 vcc_lo, 16, v146
	v_lshrrev_b32_e32 v148, 24, v148
	v_min_i32_e32 v149, 15, v146
	v_dual_cndmask_b32 v147, 7, v147 :: v_dual_and_b32 v148, 0x80, v148
	s_delay_alu instid0(VALU_DEP_1) | instskip(SKIP_1) | instid1(VALU_DEP_2)
	v_or_b32_e32 v146, v146, v147
	v_and_b32_e32 v150, 7, v147
	v_cmp_ne_u32_e32 vcc_lo, 0, v146
	v_lshlrev_b32_e32 v149, 3, v149
	s_delay_alu instid0(VALU_DEP_1) | instskip(NEXT) | instid1(VALU_DEP_1)
	v_or3_b32 v147, v149, v148, v150
	v_cndmask_b32_e32 v146, 0, v147, vcc_lo
.LBB6_5518:                             ;   in Loop: Header=BB6_5432 Depth=2
	s_or_b32 exec_lo, exec_lo, s25
.LBB6_5519:                             ;   in Loop: Header=BB6_5432 Depth=2
	s_delay_alu instid0(SALU_CYCLE_1)
	s_or_b32 exec_lo, exec_lo, s24
	v_lshrrev_b32_e32 v148, 24, v48
	v_lshrrev_b32_e32 v147, 24, v36
	s_and_b32 vcc_lo, exec_lo, s23
	s_cbranch_vccz .LBB6_5529
; %bb.5520:                             ;   in Loop: Header=BB6_5432 Depth=2
	s_mov_b32 s7, 0
	s_mov_b32 s25, exec_lo
                                        ; implicit-def: $sgpr24
	v_cmpx_lt_i16_e64 0x7f, v148
	s_xor_b32 s25, exec_lo, s25
	s_cbranch_execnz .LBB6_7334
; %bb.5521:                             ;   in Loop: Header=BB6_5432 Depth=2
	s_or_saveexec_b32 s25, s25
	v_mov_b32_e32 v149, s24
	s_xor_b32 exec_lo, exec_lo, s25
	s_cbranch_execnz .LBB6_7337
.LBB6_5522:                             ;   in Loop: Header=BB6_5432 Depth=2
	s_or_b32 exec_lo, exec_lo, s25
	s_and_saveexec_b32 s24, s7
	s_cbranch_execz .LBB6_5524
.LBB6_5523:                             ;   in Loop: Header=BB6_5432 Depth=2
	v_bfe_u32 v149, v48, 24, 3
	v_bfe_u32 v160, v48, 27, 4
	s_delay_alu instid0(VALU_DEP_2) | instskip(NEXT) | instid1(VALU_DEP_2)
	v_clz_i32_u32_e32 v150, v149
	v_cmp_eq_u32_e32 vcc_lo, 0, v160
	s_delay_alu instid0(VALU_DEP_2) | instskip(NEXT) | instid1(VALU_DEP_1)
	v_min_u32_e32 v150, 32, v150
	v_subrev_nc_u32_e32 v151, 28, v150
	v_sub_nc_u32_e32 v150, 29, v150
	s_delay_alu instid0(VALU_DEP_1) | instskip(NEXT) | instid1(VALU_DEP_1)
	v_dual_cndmask_b32 v150, v160, v150 :: v_dual_lshlrev_b32 v151, v151, v148
	v_and_b32_e32 v151, 7, v151
	s_delay_alu instid0(VALU_DEP_2) | instskip(NEXT) | instid1(VALU_DEP_2)
	v_lshl_add_u32 v150, v150, 23, 0x3b800000
	v_cndmask_b32_e32 v149, v149, v151, vcc_lo
	v_and_b32_e32 v151, 0x80000000, v48
	s_delay_alu instid0(VALU_DEP_2) | instskip(NEXT) | instid1(VALU_DEP_1)
	v_lshlrev_b32_e32 v149, 20, v149
	v_or3_b32 v149, v151, v150, v149
.LBB6_5524:                             ;   in Loop: Header=BB6_5432 Depth=2
	s_or_b32 exec_lo, exec_lo, s24
	s_mov_b32 s7, 0
	s_mov_b32 s25, exec_lo
                                        ; implicit-def: $sgpr24
	v_cmpx_lt_i16_e64 0x7f, v147
	s_xor_b32 s25, exec_lo, s25
	s_cbranch_execnz .LBB6_7338
; %bb.5525:                             ;   in Loop: Header=BB6_5432 Depth=2
	s_or_saveexec_b32 s25, s25
	v_mov_b32_e32 v150, s24
	s_xor_b32 exec_lo, exec_lo, s25
	s_cbranch_execnz .LBB6_7341
.LBB6_5526:                             ;   in Loop: Header=BB6_5432 Depth=2
	s_or_b32 exec_lo, exec_lo, s25
	s_and_saveexec_b32 s24, s7
	s_cbranch_execz .LBB6_5528
.LBB6_5527:                             ;   in Loop: Header=BB6_5432 Depth=2
	v_bfe_u32 v150, v36, 24, 3
	v_bfe_u32 v161, v36, 27, 4
	s_delay_alu instid0(VALU_DEP_2) | instskip(NEXT) | instid1(VALU_DEP_2)
	v_clz_i32_u32_e32 v151, v150
	v_cmp_eq_u32_e32 vcc_lo, 0, v161
	s_delay_alu instid0(VALU_DEP_2) | instskip(NEXT) | instid1(VALU_DEP_1)
	v_min_u32_e32 v151, 32, v151
	v_subrev_nc_u32_e32 v160, 28, v151
	v_sub_nc_u32_e32 v151, 29, v151
	s_delay_alu instid0(VALU_DEP_2) | instskip(NEXT) | instid1(VALU_DEP_1)
	v_lshlrev_b32_e32 v160, v160, v147
	v_dual_cndmask_b32 v151, v161, v151 :: v_dual_and_b32 v160, 7, v160
	s_delay_alu instid0(VALU_DEP_1) | instskip(NEXT) | instid1(VALU_DEP_2)
	v_lshl_add_u32 v151, v151, 23, 0x3b800000
	v_cndmask_b32_e32 v150, v150, v160, vcc_lo
	v_and_b32_e32 v160, 0x80000000, v36
	s_delay_alu instid0(VALU_DEP_2) | instskip(NEXT) | instid1(VALU_DEP_1)
	v_lshlrev_b32_e32 v150, 20, v150
	v_or3_b32 v150, v160, v151, v150
.LBB6_5528:                             ;   in Loop: Header=BB6_5432 Depth=2
	s_or_b32 exec_lo, exec_lo, s24
	s_delay_alu instid0(VALU_DEP_1) | instskip(SKIP_1) | instid1(VALU_DEP_1)
	v_dual_max_f32 v150, v150, v150 :: v_dual_max_f32 v149, v149, v149
	s_mov_b32 s7, 0
	v_max_f32_e32 v149, v149, v150
	s_branch .LBB6_5530
.LBB6_5529:                             ;   in Loop: Header=BB6_5432 Depth=2
	s_mov_b32 s7, -1
                                        ; implicit-def: $vgpr149
.LBB6_5530:                             ;   in Loop: Header=BB6_5432 Depth=2
	s_delay_alu instid0(SALU_CYCLE_1)
	s_and_b32 vcc_lo, exec_lo, s7
	s_cbranch_vccz .LBB6_5540
; %bb.5531:                             ;   in Loop: Header=BB6_5432 Depth=2
	s_mov_b32 s7, 0
	s_mov_b32 s25, exec_lo
                                        ; implicit-def: $sgpr24
	v_cmpx_lt_i16_e64 0x7f, v148
	s_xor_b32 s25, exec_lo, s25
	s_cbranch_execnz .LBB6_7342
; %bb.5532:                             ;   in Loop: Header=BB6_5432 Depth=2
	s_or_saveexec_b32 s25, s25
	v_mov_b32_e32 v149, s24
	s_xor_b32 exec_lo, exec_lo, s25
	s_cbranch_execnz .LBB6_7345
.LBB6_5533:                             ;   in Loop: Header=BB6_5432 Depth=2
	s_or_b32 exec_lo, exec_lo, s25
	s_and_saveexec_b32 s24, s7
	s_cbranch_execz .LBB6_5535
.LBB6_5534:                             ;   in Loop: Header=BB6_5432 Depth=2
	v_bfe_u32 v149, v48, 24, 3
	s_delay_alu instid0(VALU_DEP_1) | instskip(NEXT) | instid1(VALU_DEP_1)
	v_clz_i32_u32_e32 v150, v149
	v_min_u32_e32 v150, 32, v150
	s_delay_alu instid0(VALU_DEP_1) | instskip(SKIP_1) | instid1(VALU_DEP_2)
	v_subrev_nc_u32_e32 v151, 28, v150
	v_sub_nc_u32_e32 v150, 29, v150
	v_lshlrev_b32_e32 v148, v151, v148
	v_bfe_u32 v151, v48, 27, 4
	v_and_b32_e32 v48, 0x80000000, v48
	s_delay_alu instid0(VALU_DEP_3) | instskip(NEXT) | instid1(VALU_DEP_3)
	v_and_b32_e32 v148, 7, v148
	v_cmp_eq_u32_e32 vcc_lo, 0, v151
	v_cndmask_b32_e32 v150, v151, v150, vcc_lo
	s_delay_alu instid0(VALU_DEP_3) | instskip(NEXT) | instid1(VALU_DEP_2)
	v_cndmask_b32_e32 v148, v149, v148, vcc_lo
	v_lshl_add_u32 v149, v150, 23, 0x3b800000
	s_delay_alu instid0(VALU_DEP_2) | instskip(NEXT) | instid1(VALU_DEP_1)
	v_lshlrev_b32_e32 v148, 20, v148
	v_or3_b32 v149, v48, v149, v148
.LBB6_5535:                             ;   in Loop: Header=BB6_5432 Depth=2
	s_or_b32 exec_lo, exec_lo, s24
	s_mov_b32 s7, 0
	s_mov_b32 s25, exec_lo
                                        ; implicit-def: $sgpr24
	v_cmpx_lt_i16_e64 0x7f, v147
	s_xor_b32 s25, exec_lo, s25
	s_cbranch_execnz .LBB6_7346
; %bb.5536:                             ;   in Loop: Header=BB6_5432 Depth=2
	s_or_saveexec_b32 s25, s25
	v_mov_b32_e32 v48, s24
	s_xor_b32 exec_lo, exec_lo, s25
	s_cbranch_execnz .LBB6_7349
.LBB6_5537:                             ;   in Loop: Header=BB6_5432 Depth=2
	s_or_b32 exec_lo, exec_lo, s25
	s_and_saveexec_b32 s24, s7
	s_cbranch_execz .LBB6_5539
.LBB6_5538:                             ;   in Loop: Header=BB6_5432 Depth=2
	v_bfe_u32 v48, v36, 24, 3
	s_delay_alu instid0(VALU_DEP_1) | instskip(NEXT) | instid1(VALU_DEP_1)
	v_clz_i32_u32_e32 v148, v48
	v_min_u32_e32 v148, 32, v148
	s_delay_alu instid0(VALU_DEP_1) | instskip(SKIP_1) | instid1(VALU_DEP_2)
	v_subrev_nc_u32_e32 v150, 28, v148
	v_sub_nc_u32_e32 v148, 29, v148
	v_lshlrev_b32_e32 v147, v150, v147
	v_bfe_u32 v150, v36, 27, 4
	v_and_b32_e32 v36, 0x80000000, v36
	s_delay_alu instid0(VALU_DEP_2) | instskip(NEXT) | instid1(VALU_DEP_4)
	v_cmp_eq_u32_e32 vcc_lo, 0, v150
	v_dual_cndmask_b32 v148, v150, v148 :: v_dual_and_b32 v147, 7, v147
	s_delay_alu instid0(VALU_DEP_1) | instskip(NEXT) | instid1(VALU_DEP_2)
	v_cndmask_b32_e32 v48, v48, v147, vcc_lo
	v_lshl_add_u32 v147, v148, 23, 0x3b800000
	s_delay_alu instid0(VALU_DEP_2) | instskip(NEXT) | instid1(VALU_DEP_1)
	v_lshlrev_b32_e32 v48, 20, v48
	v_or3_b32 v48, v36, v147, v48
.LBB6_5539:                             ;   in Loop: Header=BB6_5432 Depth=2
	s_or_b32 exec_lo, exec_lo, s24
	s_delay_alu instid0(VALU_DEP_1) | instskip(SKIP_1) | instid1(VALU_DEP_1)
	v_max_f32_e32 v36, v48, v48
	v_max_f32_e32 v48, v149, v149
	v_min_f32_e32 v149, v48, v36
.LBB6_5540:                             ;   in Loop: Header=BB6_5432 Depth=2
	s_delay_alu instid0(VALU_DEP_1) | instskip(NEXT) | instid1(VALU_DEP_1)
	v_and_b32_e32 v36, 0x7f800000, v149
	v_cmp_ne_u32_e32 vcc_lo, 0x7f800000, v36
	v_mov_b32_e32 v36, 0x80
	s_and_saveexec_b32 s24, vcc_lo
	s_cbranch_execz .LBB6_5548
; %bb.5541:                             ;   in Loop: Header=BB6_5432 Depth=2
	v_mov_b32_e32 v36, 0
	s_mov_b32 s25, exec_lo
	v_cmpx_ne_u32_e32 0, v149
	s_cbranch_execz .LBB6_5547
; %bb.5542:                             ;   in Loop: Header=BB6_5432 Depth=2
	v_bfe_u32 v36, v149, 23, 8
	s_delay_alu instid0(VALU_DEP_1) | instskip(SKIP_1) | instid1(VALU_DEP_2)
	v_sub_nc_u32_e32 v147, 0x78, v36
	v_cmp_gt_u32_e32 vcc_lo, 0x79, v36
	v_dual_cndmask_b32 v147, 0, v147 :: v_dual_and_b32 v48, 0x7fffff, v149
	s_delay_alu instid0(VALU_DEP_1) | instskip(SKIP_2) | instid1(VALU_DEP_4)
	v_or_b32_e32 v148, 0x800000, v48
	v_cmp_eq_u32_e32 vcc_lo, 0, v36
	v_add_nc_u32_e32 v36, 0xffffff89, v36
	v_cndmask_b32_e64 v147, v147, 0x77, vcc_lo
	s_delay_alu instid0(VALU_DEP_4) | instskip(NEXT) | instid1(VALU_DEP_3)
	v_cndmask_b32_e32 v48, v148, v48, vcc_lo
	v_cndmask_b32_e64 v36, v36, 0xffffff8a, vcc_lo
	s_delay_alu instid0(VALU_DEP_3) | instskip(NEXT) | instid1(VALU_DEP_3)
	v_lshl_add_u32 v148, 0x100000, v147, -1
	v_lshrrev_b32_e32 v150, v147, v48
	v_lshlrev_b32_e64 v160, v147, 0x80000
	s_delay_alu instid0(VALU_DEP_4) | instskip(NEXT) | instid1(VALU_DEP_4)
	v_add_nc_u32_e32 v147, v147, v36
	v_and_b32_e32 v48, v148, v48
	s_delay_alu instid0(VALU_DEP_4) | instskip(NEXT) | instid1(VALU_DEP_2)
	v_bfe_u32 v151, v150, 20, 1
	v_cmp_eq_u32_e64 s7, v48, v160
	s_delay_alu instid0(VALU_DEP_2) | instskip(NEXT) | instid1(VALU_DEP_1)
	v_add_nc_u32_e32 v148, -1, v151
	v_cndmask_b32_e64 v48, 0, v148, s7
	v_lshrrev_b32_e32 v148, 23, v150
	s_mov_b32 s7, exec_lo
	s_delay_alu instid0(VALU_DEP_2) | instskip(NEXT) | instid1(VALU_DEP_2)
	v_add_nc_u32_e32 v48, v48, v150
	v_xor_b32_e32 v148, 1, v148
	s_delay_alu instid0(VALU_DEP_2) | instskip(NEXT) | instid1(VALU_DEP_1)
	v_and_b32_e32 v36, 0xfffff, v48
	v_add_nc_u32_e32 v48, v36, v150
                                        ; implicit-def: $vgpr36
	s_delay_alu instid0(VALU_DEP_3)
	v_cmpx_ne_u32_e64 v147, v148
	s_xor_b32 s7, exec_lo, s7
; %bb.5543:                             ;   in Loop: Header=BB6_5432 Depth=2
	s_delay_alu instid0(VALU_DEP_2) | instskip(SKIP_2) | instid1(VALU_DEP_2)
	v_cmp_lt_u32_e32 vcc_lo, 0xffffff, v48
	v_sub_nc_u32_e32 v36, v147, v148
	v_cndmask_b32_e64 v147, 0, 1, vcc_lo
	v_add_co_ci_u32_e32 v36, vcc_lo, 0, v36, vcc_lo
	s_delay_alu instid0(VALU_DEP_2)
	v_lshrrev_b32_e32 v48, v147, v48
; %bb.5544:                             ;   in Loop: Header=BB6_5432 Depth=2
	s_and_not1_saveexec_b32 s7, s7
; %bb.5545:                             ;   in Loop: Header=BB6_5432 Depth=2
	s_delay_alu instid0(VALU_DEP_1)
	v_bfe_u32 v36, v48, 23, 1
; %bb.5546:                             ;   in Loop: Header=BB6_5432 Depth=2
	s_or_b32 exec_lo, exec_lo, s7
	v_lshrrev_b32_e32 v48, 20, v48
	s_delay_alu instid0(VALU_DEP_2) | instskip(SKIP_2) | instid1(VALU_DEP_2)
	v_cmp_gt_i32_e32 vcc_lo, 16, v36
	v_lshrrev_b32_e32 v147, 24, v149
	v_min_i32_e32 v148, 15, v36
	v_dual_cndmask_b32 v48, 7, v48 :: v_dual_and_b32 v147, 0x80, v147
	s_delay_alu instid0(VALU_DEP_2) | instskip(NEXT) | instid1(VALU_DEP_2)
	v_lshlrev_b32_e32 v148, 3, v148
	v_and_b32_e32 v149, 7, v48
	v_or_b32_e32 v36, v36, v48
	s_delay_alu instid0(VALU_DEP_2) | instskip(NEXT) | instid1(VALU_DEP_2)
	v_or3_b32 v48, v148, v147, v149
	v_cmp_ne_u32_e32 vcc_lo, 0, v36
	s_delay_alu instid0(VALU_DEP_2)
	v_cndmask_b32_e32 v36, 0, v48, vcc_lo
.LBB6_5547:                             ;   in Loop: Header=BB6_5432 Depth=2
	s_or_b32 exec_lo, exec_lo, s25
.LBB6_5548:                             ;   in Loop: Header=BB6_5432 Depth=2
	s_delay_alu instid0(SALU_CYCLE_1) | instskip(NEXT) | instid1(SALU_CYCLE_1)
	s_or_b32 exec_lo, exec_lo, s24
	s_and_b32 vcc_lo, exec_lo, s23
	s_cbranch_vccz .LBB6_5558
; %bb.5549:                             ;   in Loop: Header=BB6_5432 Depth=2
	v_and_b32_e32 v147, 0xff, v49
	s_mov_b32 s7, 0
	s_mov_b32 s25, exec_lo
                                        ; implicit-def: $sgpr24
	s_delay_alu instid0(VALU_DEP_1)
	v_cmpx_lt_i16_e64 0x7f, v147
	s_xor_b32 s25, exec_lo, s25
	s_cbranch_execnz .LBB6_7350
; %bb.5550:                             ;   in Loop: Header=BB6_5432 Depth=2
	s_or_saveexec_b32 s25, s25
	v_mov_b32_e32 v48, s24
	s_xor_b32 exec_lo, exec_lo, s25
	s_cbranch_execnz .LBB6_7353
.LBB6_5551:                             ;   in Loop: Header=BB6_5432 Depth=2
	s_or_b32 exec_lo, exec_lo, s25
	s_and_saveexec_b32 s24, s7
	s_cbranch_execz .LBB6_5553
.LBB6_5552:                             ;   in Loop: Header=BB6_5432 Depth=2
	v_bfe_u32 v149, v49, 3, 4
	v_lshlrev_b32_e32 v150, 24, v49
	s_delay_alu instid0(VALU_DEP_2) | instskip(SKIP_1) | instid1(VALU_DEP_1)
	v_cmp_eq_u32_e32 vcc_lo, 0, v149
	v_and_b32_e32 v48, 7, v49
	v_clz_i32_u32_e32 v147, v48
	s_delay_alu instid0(VALU_DEP_1) | instskip(NEXT) | instid1(VALU_DEP_1)
	v_min_u32_e32 v147, 32, v147
	v_subrev_nc_u32_e32 v148, 28, v147
	v_sub_nc_u32_e32 v147, 29, v147
	s_delay_alu instid0(VALU_DEP_1) | instskip(NEXT) | instid1(VALU_DEP_1)
	v_dual_cndmask_b32 v147, v149, v147 :: v_dual_lshlrev_b32 v148, v148, v49
	v_and_b32_e32 v148, 7, v148
	s_delay_alu instid0(VALU_DEP_2) | instskip(NEXT) | instid1(VALU_DEP_2)
	v_lshl_add_u32 v147, v147, 23, 0x3b800000
	v_cndmask_b32_e32 v48, v48, v148, vcc_lo
	v_and_b32_e32 v148, 0x80000000, v150
	s_delay_alu instid0(VALU_DEP_2) | instskip(NEXT) | instid1(VALU_DEP_1)
	v_lshlrev_b32_e32 v48, 20, v48
	v_or3_b32 v48, v148, v147, v48
.LBB6_5553:                             ;   in Loop: Header=BB6_5432 Depth=2
	s_or_b32 exec_lo, exec_lo, s24
	v_and_b32_e32 v148, 0xff, v37
	s_mov_b32 s7, 0
	s_mov_b32 s25, exec_lo
                                        ; implicit-def: $sgpr24
	s_delay_alu instid0(VALU_DEP_1)
	v_cmpx_lt_i16_e64 0x7f, v148
	s_xor_b32 s25, exec_lo, s25
	s_cbranch_execnz .LBB6_7354
; %bb.5554:                             ;   in Loop: Header=BB6_5432 Depth=2
	s_or_saveexec_b32 s25, s25
	v_mov_b32_e32 v147, s24
	s_xor_b32 exec_lo, exec_lo, s25
	s_cbranch_execnz .LBB6_7357
.LBB6_5555:                             ;   in Loop: Header=BB6_5432 Depth=2
	s_or_b32 exec_lo, exec_lo, s25
	s_and_saveexec_b32 s24, s7
	s_cbranch_execz .LBB6_5557
.LBB6_5556:                             ;   in Loop: Header=BB6_5432 Depth=2
	v_bfe_u32 v150, v37, 3, 4
	v_lshlrev_b32_e32 v151, 24, v37
	s_delay_alu instid0(VALU_DEP_2) | instskip(SKIP_1) | instid1(VALU_DEP_1)
	v_cmp_eq_u32_e32 vcc_lo, 0, v150
	v_and_b32_e32 v147, 7, v37
	v_clz_i32_u32_e32 v148, v147
	s_delay_alu instid0(VALU_DEP_1) | instskip(NEXT) | instid1(VALU_DEP_1)
	v_min_u32_e32 v148, 32, v148
	v_subrev_nc_u32_e32 v149, 28, v148
	v_sub_nc_u32_e32 v148, 29, v148
	s_delay_alu instid0(VALU_DEP_1) | instskip(NEXT) | instid1(VALU_DEP_1)
	v_dual_cndmask_b32 v148, v150, v148 :: v_dual_lshlrev_b32 v149, v149, v37
	v_and_b32_e32 v149, 7, v149
	s_delay_alu instid0(VALU_DEP_2) | instskip(NEXT) | instid1(VALU_DEP_2)
	v_lshl_add_u32 v148, v148, 23, 0x3b800000
	v_cndmask_b32_e32 v147, v147, v149, vcc_lo
	v_and_b32_e32 v149, 0x80000000, v151
	s_delay_alu instid0(VALU_DEP_2) | instskip(NEXT) | instid1(VALU_DEP_1)
	v_lshlrev_b32_e32 v147, 20, v147
	v_or3_b32 v147, v149, v148, v147
.LBB6_5557:                             ;   in Loop: Header=BB6_5432 Depth=2
	s_or_b32 exec_lo, exec_lo, s24
	s_delay_alu instid0(VALU_DEP_1) | instskip(SKIP_1) | instid1(VALU_DEP_1)
	v_dual_max_f32 v147, v147, v147 :: v_dual_max_f32 v48, v48, v48
	s_mov_b32 s7, 0
	v_max_f32_e32 v147, v48, v147
	s_branch .LBB6_5559
.LBB6_5558:                             ;   in Loop: Header=BB6_5432 Depth=2
	s_mov_b32 s7, -1
                                        ; implicit-def: $vgpr147
.LBB6_5559:                             ;   in Loop: Header=BB6_5432 Depth=2
	s_delay_alu instid0(SALU_CYCLE_1)
	s_and_b32 vcc_lo, exec_lo, s7
	s_cbranch_vccz .LBB6_5569
; %bb.5560:                             ;   in Loop: Header=BB6_5432 Depth=2
	v_and_b32_e32 v147, 0xff, v49
	s_mov_b32 s7, 0
	s_mov_b32 s25, exec_lo
                                        ; implicit-def: $sgpr24
	s_delay_alu instid0(VALU_DEP_1)
	v_cmpx_lt_i16_e64 0x7f, v147
	s_xor_b32 s25, exec_lo, s25
	s_cbranch_execnz .LBB6_7358
; %bb.5561:                             ;   in Loop: Header=BB6_5432 Depth=2
	s_or_saveexec_b32 s25, s25
	v_mov_b32_e32 v48, s24
	s_xor_b32 exec_lo, exec_lo, s25
	s_cbranch_execnz .LBB6_7361
.LBB6_5562:                             ;   in Loop: Header=BB6_5432 Depth=2
	s_or_b32 exec_lo, exec_lo, s25
	s_and_saveexec_b32 s24, s7
	s_cbranch_execz .LBB6_5564
.LBB6_5563:                             ;   in Loop: Header=BB6_5432 Depth=2
	v_bfe_u32 v149, v49, 3, 4
	v_lshlrev_b32_e32 v150, 24, v49
	s_delay_alu instid0(VALU_DEP_2) | instskip(SKIP_1) | instid1(VALU_DEP_1)
	v_cmp_eq_u32_e32 vcc_lo, 0, v149
	v_and_b32_e32 v48, 7, v49
	v_clz_i32_u32_e32 v147, v48
	s_delay_alu instid0(VALU_DEP_1) | instskip(NEXT) | instid1(VALU_DEP_1)
	v_min_u32_e32 v147, 32, v147
	v_subrev_nc_u32_e32 v148, 28, v147
	v_sub_nc_u32_e32 v147, 29, v147
	s_delay_alu instid0(VALU_DEP_1) | instskip(NEXT) | instid1(VALU_DEP_1)
	v_dual_cndmask_b32 v147, v149, v147 :: v_dual_lshlrev_b32 v148, v148, v49
	v_and_b32_e32 v148, 7, v148
	s_delay_alu instid0(VALU_DEP_2) | instskip(NEXT) | instid1(VALU_DEP_2)
	v_lshl_add_u32 v147, v147, 23, 0x3b800000
	v_cndmask_b32_e32 v48, v48, v148, vcc_lo
	v_and_b32_e32 v148, 0x80000000, v150
	s_delay_alu instid0(VALU_DEP_2) | instskip(NEXT) | instid1(VALU_DEP_1)
	v_lshlrev_b32_e32 v48, 20, v48
	v_or3_b32 v48, v148, v147, v48
.LBB6_5564:                             ;   in Loop: Header=BB6_5432 Depth=2
	s_or_b32 exec_lo, exec_lo, s24
	v_and_b32_e32 v148, 0xff, v37
	s_mov_b32 s7, 0
	s_mov_b32 s25, exec_lo
                                        ; implicit-def: $sgpr24
	s_delay_alu instid0(VALU_DEP_1)
	v_cmpx_lt_i16_e64 0x7f, v148
	s_xor_b32 s25, exec_lo, s25
	s_cbranch_execnz .LBB6_7362
; %bb.5565:                             ;   in Loop: Header=BB6_5432 Depth=2
	s_or_saveexec_b32 s25, s25
	v_mov_b32_e32 v147, s24
	s_xor_b32 exec_lo, exec_lo, s25
	s_cbranch_execnz .LBB6_7365
.LBB6_5566:                             ;   in Loop: Header=BB6_5432 Depth=2
	s_or_b32 exec_lo, exec_lo, s25
	s_and_saveexec_b32 s24, s7
	s_cbranch_execz .LBB6_5568
.LBB6_5567:                             ;   in Loop: Header=BB6_5432 Depth=2
	v_bfe_u32 v150, v37, 3, 4
	v_lshlrev_b32_e32 v151, 24, v37
	s_delay_alu instid0(VALU_DEP_2) | instskip(SKIP_1) | instid1(VALU_DEP_1)
	v_cmp_eq_u32_e32 vcc_lo, 0, v150
	v_and_b32_e32 v147, 7, v37
	v_clz_i32_u32_e32 v148, v147
	s_delay_alu instid0(VALU_DEP_1) | instskip(NEXT) | instid1(VALU_DEP_1)
	v_min_u32_e32 v148, 32, v148
	v_subrev_nc_u32_e32 v149, 28, v148
	v_sub_nc_u32_e32 v148, 29, v148
	s_delay_alu instid0(VALU_DEP_1) | instskip(NEXT) | instid1(VALU_DEP_1)
	v_dual_cndmask_b32 v148, v150, v148 :: v_dual_lshlrev_b32 v149, v149, v37
	v_and_b32_e32 v149, 7, v149
	s_delay_alu instid0(VALU_DEP_2) | instskip(NEXT) | instid1(VALU_DEP_2)
	v_lshl_add_u32 v148, v148, 23, 0x3b800000
	v_cndmask_b32_e32 v147, v147, v149, vcc_lo
	v_and_b32_e32 v149, 0x80000000, v151
	s_delay_alu instid0(VALU_DEP_2) | instskip(NEXT) | instid1(VALU_DEP_1)
	v_lshlrev_b32_e32 v147, 20, v147
	v_or3_b32 v147, v149, v148, v147
.LBB6_5568:                             ;   in Loop: Header=BB6_5432 Depth=2
	s_or_b32 exec_lo, exec_lo, s24
	s_delay_alu instid0(VALU_DEP_1) | instskip(NEXT) | instid1(VALU_DEP_1)
	v_dual_max_f32 v147, v147, v147 :: v_dual_max_f32 v48, v48, v48
	v_min_f32_e32 v147, v48, v147
.LBB6_5569:                             ;   in Loop: Header=BB6_5432 Depth=2
	s_delay_alu instid0(VALU_DEP_1) | instskip(NEXT) | instid1(VALU_DEP_1)
	v_and_b32_e32 v48, 0x7f800000, v147
	v_cmp_ne_u32_e32 vcc_lo, 0x7f800000, v48
	v_mov_b32_e32 v48, 0x80
	s_and_saveexec_b32 s24, vcc_lo
	s_cbranch_execz .LBB6_5577
; %bb.5570:                             ;   in Loop: Header=BB6_5432 Depth=2
	v_mov_b32_e32 v48, 0
	s_mov_b32 s25, exec_lo
	v_cmpx_ne_u32_e32 0, v147
	s_cbranch_execz .LBB6_5576
; %bb.5571:                             ;   in Loop: Header=BB6_5432 Depth=2
	v_bfe_u32 v48, v147, 23, 8
	s_delay_alu instid0(VALU_DEP_1) | instskip(SKIP_1) | instid1(VALU_DEP_2)
	v_sub_nc_u32_e32 v149, 0x78, v48
	v_cmp_gt_u32_e32 vcc_lo, 0x79, v48
	v_dual_cndmask_b32 v149, 0, v149 :: v_dual_and_b32 v148, 0x7fffff, v147
	s_delay_alu instid0(VALU_DEP_1) | instskip(SKIP_2) | instid1(VALU_DEP_4)
	v_or_b32_e32 v150, 0x800000, v148
	v_cmp_eq_u32_e32 vcc_lo, 0, v48
	v_add_nc_u32_e32 v48, 0xffffff89, v48
	v_cndmask_b32_e64 v149, v149, 0x77, vcc_lo
	s_delay_alu instid0(VALU_DEP_4) | instskip(NEXT) | instid1(VALU_DEP_3)
	v_cndmask_b32_e32 v148, v150, v148, vcc_lo
	v_cndmask_b32_e64 v48, v48, 0xffffff8a, vcc_lo
	s_delay_alu instid0(VALU_DEP_3) | instskip(NEXT) | instid1(VALU_DEP_3)
	v_lshl_add_u32 v150, 0x100000, v149, -1
	v_lshrrev_b32_e32 v151, v149, v148
	v_lshlrev_b32_e64 v161, v149, 0x80000
	s_delay_alu instid0(VALU_DEP_4) | instskip(NEXT) | instid1(VALU_DEP_4)
	v_add_nc_u32_e32 v149, v149, v48
	v_and_b32_e32 v148, v150, v148
	s_delay_alu instid0(VALU_DEP_4) | instskip(NEXT) | instid1(VALU_DEP_2)
	v_bfe_u32 v160, v151, 20, 1
	v_cmp_eq_u32_e64 s7, v148, v161
	s_delay_alu instid0(VALU_DEP_2) | instskip(NEXT) | instid1(VALU_DEP_1)
	v_add_nc_u32_e32 v150, -1, v160
	v_cndmask_b32_e64 v148, 0, v150, s7
	v_lshrrev_b32_e32 v150, 23, v151
	s_mov_b32 s7, exec_lo
	s_delay_alu instid0(VALU_DEP_2) | instskip(NEXT) | instid1(VALU_DEP_2)
	v_add_nc_u32_e32 v148, v148, v151
	v_xor_b32_e32 v150, 1, v150
	s_delay_alu instid0(VALU_DEP_2) | instskip(NEXT) | instid1(VALU_DEP_1)
	v_and_b32_e32 v48, 0xfffff, v148
	v_add_nc_u32_e32 v148, v48, v151
                                        ; implicit-def: $vgpr48
	s_delay_alu instid0(VALU_DEP_3)
	v_cmpx_ne_u32_e64 v149, v150
	s_xor_b32 s7, exec_lo, s7
; %bb.5572:                             ;   in Loop: Header=BB6_5432 Depth=2
	s_delay_alu instid0(VALU_DEP_2) | instskip(SKIP_2) | instid1(VALU_DEP_2)
	v_cmp_lt_u32_e32 vcc_lo, 0xffffff, v148
	v_sub_nc_u32_e32 v48, v149, v150
	v_cndmask_b32_e64 v149, 0, 1, vcc_lo
	v_add_co_ci_u32_e32 v48, vcc_lo, 0, v48, vcc_lo
	s_delay_alu instid0(VALU_DEP_2)
	v_lshrrev_b32_e32 v148, v149, v148
; %bb.5573:                             ;   in Loop: Header=BB6_5432 Depth=2
	s_and_not1_saveexec_b32 s7, s7
; %bb.5574:                             ;   in Loop: Header=BB6_5432 Depth=2
	s_delay_alu instid0(VALU_DEP_1)
	v_bfe_u32 v48, v148, 23, 1
; %bb.5575:                             ;   in Loop: Header=BB6_5432 Depth=2
	s_or_b32 exec_lo, exec_lo, s7
	v_lshrrev_b32_e32 v148, 20, v148
	s_delay_alu instid0(VALU_DEP_2) | instskip(SKIP_2) | instid1(VALU_DEP_2)
	v_cmp_gt_i32_e32 vcc_lo, 16, v48
	v_lshrrev_b32_e32 v147, 24, v147
	v_min_i32_e32 v149, 15, v48
	v_dual_cndmask_b32 v148, 7, v148 :: v_dual_and_b32 v147, 0x80, v147
	s_delay_alu instid0(VALU_DEP_1) | instskip(SKIP_1) | instid1(VALU_DEP_2)
	v_or_b32_e32 v48, v48, v148
	v_and_b32_e32 v150, 7, v148
	v_cmp_ne_u32_e32 vcc_lo, 0, v48
	v_lshlrev_b32_e32 v149, 3, v149
	s_delay_alu instid0(VALU_DEP_1) | instskip(NEXT) | instid1(VALU_DEP_1)
	v_or3_b32 v147, v149, v147, v150
	v_cndmask_b32_e32 v48, 0, v147, vcc_lo
.LBB6_5576:                             ;   in Loop: Header=BB6_5432 Depth=2
	s_or_b32 exec_lo, exec_lo, s25
.LBB6_5577:                             ;   in Loop: Header=BB6_5432 Depth=2
	s_delay_alu instid0(SALU_CYCLE_1)
	s_or_b32 exec_lo, exec_lo, s24
	v_lshrrev_b16 v148, 8, v49
	v_lshrrev_b16 v147, 8, v37
	s_and_b32 vcc_lo, exec_lo, s23
	s_cbranch_vccz .LBB6_5587
; %bb.5578:                             ;   in Loop: Header=BB6_5432 Depth=2
	s_mov_b32 s7, 0
	s_mov_b32 s25, exec_lo
                                        ; implicit-def: $sgpr24
	v_cmpx_lt_i16_e64 0x7f, v148
	s_xor_b32 s25, exec_lo, s25
	s_cbranch_execnz .LBB6_7366
; %bb.5579:                             ;   in Loop: Header=BB6_5432 Depth=2
	s_or_saveexec_b32 s25, s25
	v_mov_b32_e32 v149, s24
	s_xor_b32 exec_lo, exec_lo, s25
	s_cbranch_execnz .LBB6_7369
.LBB6_5580:                             ;   in Loop: Header=BB6_5432 Depth=2
	s_or_b32 exec_lo, exec_lo, s25
	s_and_saveexec_b32 s24, s7
	s_cbranch_execz .LBB6_5582
.LBB6_5581:                             ;   in Loop: Header=BB6_5432 Depth=2
	v_and_b32_e32 v149, 0xffff, v148
	s_delay_alu instid0(VALU_DEP_1) | instskip(NEXT) | instid1(VALU_DEP_1)
	v_and_b32_e32 v150, 7, v149
	v_clz_i32_u32_e32 v151, v150
	s_delay_alu instid0(VALU_DEP_1) | instskip(NEXT) | instid1(VALU_DEP_1)
	v_min_u32_e32 v151, 32, v151
	v_subrev_nc_u32_e32 v160, 28, v151
	v_sub_nc_u32_e32 v151, 29, v151
	s_delay_alu instid0(VALU_DEP_2) | instskip(SKIP_1) | instid1(VALU_DEP_2)
	v_lshlrev_b32_e32 v160, v160, v149
	v_bfe_u32 v149, v149, 3, 4
	v_and_b32_e32 v160, 7, v160
	s_delay_alu instid0(VALU_DEP_2) | instskip(SKIP_1) | instid1(VALU_DEP_3)
	v_cmp_eq_u32_e32 vcc_lo, 0, v149
	v_cndmask_b32_e32 v149, v149, v151, vcc_lo
	v_dual_cndmask_b32 v150, v150, v160 :: v_dual_lshlrev_b32 v161, 16, v49
	s_delay_alu instid0(VALU_DEP_2) | instskip(NEXT) | instid1(VALU_DEP_2)
	v_lshl_add_u32 v149, v149, 23, 0x3b800000
	v_and_b32_e32 v151, 0x80000000, v161
	s_delay_alu instid0(VALU_DEP_3) | instskip(NEXT) | instid1(VALU_DEP_1)
	v_lshlrev_b32_e32 v150, 20, v150
	v_or3_b32 v149, v151, v149, v150
.LBB6_5582:                             ;   in Loop: Header=BB6_5432 Depth=2
	s_or_b32 exec_lo, exec_lo, s24
	s_mov_b32 s7, 0
	s_mov_b32 s25, exec_lo
                                        ; implicit-def: $sgpr24
	v_cmpx_lt_i16_e64 0x7f, v147
	s_xor_b32 s25, exec_lo, s25
	s_cbranch_execnz .LBB6_7370
; %bb.5583:                             ;   in Loop: Header=BB6_5432 Depth=2
	s_or_saveexec_b32 s25, s25
	v_mov_b32_e32 v150, s24
	s_xor_b32 exec_lo, exec_lo, s25
	s_cbranch_execnz .LBB6_7373
.LBB6_5584:                             ;   in Loop: Header=BB6_5432 Depth=2
	s_or_b32 exec_lo, exec_lo, s25
	s_and_saveexec_b32 s24, s7
	s_cbranch_execz .LBB6_5586
.LBB6_5585:                             ;   in Loop: Header=BB6_5432 Depth=2
	v_and_b32_e32 v150, 0xffff, v147
	v_lshlrev_b32_e32 v162, 16, v37
	s_delay_alu instid0(VALU_DEP_2) | instskip(NEXT) | instid1(VALU_DEP_1)
	v_and_b32_e32 v151, 7, v150
	v_clz_i32_u32_e32 v160, v151
	s_delay_alu instid0(VALU_DEP_1) | instskip(NEXT) | instid1(VALU_DEP_1)
	v_min_u32_e32 v160, 32, v160
	v_subrev_nc_u32_e32 v161, 28, v160
	v_sub_nc_u32_e32 v160, 29, v160
	s_delay_alu instid0(VALU_DEP_2) | instskip(SKIP_1) | instid1(VALU_DEP_2)
	v_lshlrev_b32_e32 v161, v161, v150
	v_bfe_u32 v150, v150, 3, 4
	v_and_b32_e32 v161, 7, v161
	s_delay_alu instid0(VALU_DEP_2) | instskip(NEXT) | instid1(VALU_DEP_2)
	v_cmp_eq_u32_e32 vcc_lo, 0, v150
	v_dual_cndmask_b32 v150, v150, v160 :: v_dual_cndmask_b32 v151, v151, v161
	v_and_b32_e32 v160, 0x80000000, v162
	s_delay_alu instid0(VALU_DEP_2) | instskip(NEXT) | instid1(VALU_DEP_3)
	v_lshl_add_u32 v150, v150, 23, 0x3b800000
	v_lshlrev_b32_e32 v151, 20, v151
	s_delay_alu instid0(VALU_DEP_1)
	v_or3_b32 v150, v160, v150, v151
.LBB6_5586:                             ;   in Loop: Header=BB6_5432 Depth=2
	s_or_b32 exec_lo, exec_lo, s24
	s_delay_alu instid0(VALU_DEP_1) | instskip(SKIP_1) | instid1(VALU_DEP_1)
	v_dual_max_f32 v150, v150, v150 :: v_dual_max_f32 v149, v149, v149
	s_mov_b32 s7, 0
	v_max_f32_e32 v149, v149, v150
	s_branch .LBB6_5588
.LBB6_5587:                             ;   in Loop: Header=BB6_5432 Depth=2
	s_mov_b32 s7, -1
                                        ; implicit-def: $vgpr149
.LBB6_5588:                             ;   in Loop: Header=BB6_5432 Depth=2
	s_delay_alu instid0(SALU_CYCLE_1)
	s_and_b32 vcc_lo, exec_lo, s7
	s_cbranch_vccz .LBB6_5598
; %bb.5589:                             ;   in Loop: Header=BB6_5432 Depth=2
	s_mov_b32 s7, 0
	s_mov_b32 s25, exec_lo
                                        ; implicit-def: $sgpr24
	v_cmpx_lt_i16_e64 0x7f, v148
	s_xor_b32 s25, exec_lo, s25
	s_cbranch_execnz .LBB6_7374
; %bb.5590:                             ;   in Loop: Header=BB6_5432 Depth=2
	s_or_saveexec_b32 s25, s25
	v_mov_b32_e32 v149, s24
	s_xor_b32 exec_lo, exec_lo, s25
	s_cbranch_execnz .LBB6_7377
.LBB6_5591:                             ;   in Loop: Header=BB6_5432 Depth=2
	s_or_b32 exec_lo, exec_lo, s25
	s_and_saveexec_b32 s24, s7
	s_cbranch_execz .LBB6_5593
.LBB6_5592:                             ;   in Loop: Header=BB6_5432 Depth=2
	v_and_b32_e32 v148, 0xffff, v148
	v_lshlrev_b32_e32 v160, 16, v49
	s_delay_alu instid0(VALU_DEP_2) | instskip(NEXT) | instid1(VALU_DEP_1)
	v_and_b32_e32 v149, 7, v148
	v_clz_i32_u32_e32 v150, v149
	s_delay_alu instid0(VALU_DEP_1) | instskip(NEXT) | instid1(VALU_DEP_1)
	v_min_u32_e32 v150, 32, v150
	v_subrev_nc_u32_e32 v151, 28, v150
	v_sub_nc_u32_e32 v150, 29, v150
	s_delay_alu instid0(VALU_DEP_2) | instskip(SKIP_1) | instid1(VALU_DEP_2)
	v_lshlrev_b32_e32 v151, v151, v148
	v_bfe_u32 v148, v148, 3, 4
	v_and_b32_e32 v151, 7, v151
	s_delay_alu instid0(VALU_DEP_2) | instskip(NEXT) | instid1(VALU_DEP_2)
	v_cmp_eq_u32_e32 vcc_lo, 0, v148
	v_dual_cndmask_b32 v148, v148, v150 :: v_dual_cndmask_b32 v149, v149, v151
	v_and_b32_e32 v150, 0x80000000, v160
	s_delay_alu instid0(VALU_DEP_2) | instskip(NEXT) | instid1(VALU_DEP_3)
	v_lshl_add_u32 v148, v148, 23, 0x3b800000
	v_lshlrev_b32_e32 v149, 20, v149
	s_delay_alu instid0(VALU_DEP_1)
	v_or3_b32 v149, v150, v148, v149
.LBB6_5593:                             ;   in Loop: Header=BB6_5432 Depth=2
	s_or_b32 exec_lo, exec_lo, s24
	s_mov_b32 s7, 0
	s_mov_b32 s25, exec_lo
                                        ; implicit-def: $sgpr24
	v_cmpx_lt_i16_e64 0x7f, v147
	s_xor_b32 s25, exec_lo, s25
	s_cbranch_execnz .LBB6_7378
; %bb.5594:                             ;   in Loop: Header=BB6_5432 Depth=2
	s_or_saveexec_b32 s25, s25
	v_mov_b32_e32 v148, s24
	s_xor_b32 exec_lo, exec_lo, s25
	s_cbranch_execnz .LBB6_7381
.LBB6_5595:                             ;   in Loop: Header=BB6_5432 Depth=2
	s_or_b32 exec_lo, exec_lo, s25
	s_and_saveexec_b32 s24, s7
	s_cbranch_execz .LBB6_5597
.LBB6_5596:                             ;   in Loop: Header=BB6_5432 Depth=2
	v_and_b32_e32 v147, 0xffff, v147
	v_lshlrev_b32_e32 v160, 16, v37
	s_delay_alu instid0(VALU_DEP_2) | instskip(NEXT) | instid1(VALU_DEP_1)
	v_and_b32_e32 v148, 7, v147
	v_clz_i32_u32_e32 v150, v148
	s_delay_alu instid0(VALU_DEP_1) | instskip(NEXT) | instid1(VALU_DEP_1)
	v_min_u32_e32 v150, 32, v150
	v_subrev_nc_u32_e32 v151, 28, v150
	v_sub_nc_u32_e32 v150, 29, v150
	s_delay_alu instid0(VALU_DEP_2) | instskip(SKIP_1) | instid1(VALU_DEP_2)
	v_lshlrev_b32_e32 v151, v151, v147
	v_bfe_u32 v147, v147, 3, 4
	v_and_b32_e32 v151, 7, v151
	s_delay_alu instid0(VALU_DEP_2) | instskip(NEXT) | instid1(VALU_DEP_2)
	v_cmp_eq_u32_e32 vcc_lo, 0, v147
	v_dual_cndmask_b32 v147, v147, v150 :: v_dual_cndmask_b32 v148, v148, v151
	v_and_b32_e32 v150, 0x80000000, v160
	s_delay_alu instid0(VALU_DEP_2) | instskip(NEXT) | instid1(VALU_DEP_3)
	v_lshl_add_u32 v147, v147, 23, 0x3b800000
	v_lshlrev_b32_e32 v148, 20, v148
	s_delay_alu instid0(VALU_DEP_1)
	v_or3_b32 v148, v150, v147, v148
.LBB6_5597:                             ;   in Loop: Header=BB6_5432 Depth=2
	s_or_b32 exec_lo, exec_lo, s24
	s_delay_alu instid0(VALU_DEP_1) | instskip(NEXT) | instid1(VALU_DEP_1)
	v_dual_max_f32 v147, v148, v148 :: v_dual_max_f32 v148, v149, v149
	v_min_f32_e32 v149, v148, v147
.LBB6_5598:                             ;   in Loop: Header=BB6_5432 Depth=2
	s_delay_alu instid0(VALU_DEP_1) | instskip(NEXT) | instid1(VALU_DEP_1)
	v_and_b32_e32 v147, 0x7f800000, v149
	v_cmp_ne_u32_e32 vcc_lo, 0x7f800000, v147
	v_mov_b32_e32 v147, 0x80
	s_and_saveexec_b32 s24, vcc_lo
	s_cbranch_execz .LBB6_5606
; %bb.5599:                             ;   in Loop: Header=BB6_5432 Depth=2
	v_mov_b32_e32 v147, 0
	s_mov_b32 s25, exec_lo
	v_cmpx_ne_u32_e32 0, v149
	s_cbranch_execz .LBB6_5605
; %bb.5600:                             ;   in Loop: Header=BB6_5432 Depth=2
	v_bfe_u32 v147, v149, 23, 8
	v_and_b32_e32 v148, 0x7fffff, v149
	s_delay_alu instid0(VALU_DEP_2) | instskip(SKIP_1) | instid1(VALU_DEP_3)
	v_sub_nc_u32_e32 v150, 0x78, v147
	v_cmp_gt_u32_e32 vcc_lo, 0x79, v147
	v_or_b32_e32 v151, 0x800000, v148
	s_delay_alu instid0(VALU_DEP_3) | instskip(SKIP_2) | instid1(VALU_DEP_3)
	v_cndmask_b32_e32 v150, 0, v150, vcc_lo
	v_cmp_eq_u32_e32 vcc_lo, 0, v147
	v_add_nc_u32_e32 v147, 0xffffff89, v147
	v_cndmask_b32_e64 v150, v150, 0x77, vcc_lo
	v_cndmask_b32_e32 v148, v151, v148, vcc_lo
	s_delay_alu instid0(VALU_DEP_3) | instskip(NEXT) | instid1(VALU_DEP_3)
	v_cndmask_b32_e64 v147, v147, 0xffffff8a, vcc_lo
	v_lshl_add_u32 v151, 0x100000, v150, -1
	s_delay_alu instid0(VALU_DEP_3) | instskip(SKIP_1) | instid1(VALU_DEP_4)
	v_lshrrev_b32_e32 v160, v150, v148
	v_lshlrev_b32_e64 v162, v150, 0x80000
	v_add_nc_u32_e32 v150, v150, v147
	s_delay_alu instid0(VALU_DEP_4) | instskip(NEXT) | instid1(VALU_DEP_4)
	v_and_b32_e32 v148, v151, v148
	v_bfe_u32 v161, v160, 20, 1
	s_delay_alu instid0(VALU_DEP_2) | instskip(NEXT) | instid1(VALU_DEP_2)
	v_cmp_eq_u32_e64 s7, v148, v162
	v_add_nc_u32_e32 v151, -1, v161
	s_delay_alu instid0(VALU_DEP_1) | instskip(SKIP_2) | instid1(VALU_DEP_2)
	v_cndmask_b32_e64 v148, 0, v151, s7
	v_lshrrev_b32_e32 v151, 23, v160
	s_mov_b32 s7, exec_lo
	v_add_nc_u32_e32 v148, v148, v160
	s_delay_alu instid0(VALU_DEP_2) | instskip(NEXT) | instid1(VALU_DEP_2)
	v_xor_b32_e32 v151, 1, v151
	v_and_b32_e32 v147, 0xfffff, v148
	s_delay_alu instid0(VALU_DEP_1) | instskip(NEXT) | instid1(VALU_DEP_3)
	v_add_nc_u32_e32 v148, v147, v160
                                        ; implicit-def: $vgpr147
	v_cmpx_ne_u32_e64 v150, v151
	s_xor_b32 s7, exec_lo, s7
; %bb.5601:                             ;   in Loop: Header=BB6_5432 Depth=2
	s_delay_alu instid0(VALU_DEP_2) | instskip(SKIP_2) | instid1(VALU_DEP_2)
	v_cmp_lt_u32_e32 vcc_lo, 0xffffff, v148
	v_sub_nc_u32_e32 v147, v150, v151
	v_cndmask_b32_e64 v150, 0, 1, vcc_lo
	v_add_co_ci_u32_e32 v147, vcc_lo, 0, v147, vcc_lo
	s_delay_alu instid0(VALU_DEP_2)
	v_lshrrev_b32_e32 v148, v150, v148
; %bb.5602:                             ;   in Loop: Header=BB6_5432 Depth=2
	s_and_not1_saveexec_b32 s7, s7
; %bb.5603:                             ;   in Loop: Header=BB6_5432 Depth=2
	s_delay_alu instid0(VALU_DEP_1)
	v_bfe_u32 v147, v148, 23, 1
; %bb.5604:                             ;   in Loop: Header=BB6_5432 Depth=2
	s_or_b32 exec_lo, exec_lo, s7
	v_lshrrev_b32_e32 v148, 20, v148
	s_delay_alu instid0(VALU_DEP_2) | instskip(SKIP_2) | instid1(VALU_DEP_2)
	v_cmp_gt_i32_e32 vcc_lo, 16, v147
	v_lshrrev_b32_e32 v149, 24, v149
	v_min_i32_e32 v150, 15, v147
	v_dual_cndmask_b32 v148, 7, v148 :: v_dual_and_b32 v149, 0x80, v149
	s_delay_alu instid0(VALU_DEP_1) | instskip(SKIP_1) | instid1(VALU_DEP_2)
	v_or_b32_e32 v147, v147, v148
	v_and_b32_e32 v151, 7, v148
	v_cmp_ne_u32_e32 vcc_lo, 0, v147
	v_lshlrev_b32_e32 v150, 3, v150
	s_delay_alu instid0(VALU_DEP_1) | instskip(NEXT) | instid1(VALU_DEP_1)
	v_or3_b32 v148, v150, v149, v151
	v_cndmask_b32_e32 v147, 0, v148, vcc_lo
.LBB6_5605:                             ;   in Loop: Header=BB6_5432 Depth=2
	s_or_b32 exec_lo, exec_lo, s25
.LBB6_5606:                             ;   in Loop: Header=BB6_5432 Depth=2
	s_delay_alu instid0(SALU_CYCLE_1)
	s_or_b32 exec_lo, exec_lo, s24
	v_lshrrev_b32_e32 v149, 16, v49
	v_lshrrev_b32_e32 v148, 16, v37
	s_and_b32 vcc_lo, exec_lo, s23
	s_cbranch_vccz .LBB6_5616
; %bb.5607:                             ;   in Loop: Header=BB6_5432 Depth=2
	s_delay_alu instid0(VALU_DEP_2) | instskip(SKIP_2) | instid1(VALU_DEP_1)
	v_and_b32_e32 v151, 0xff, v149
	s_mov_b32 s7, 0
	s_mov_b32 s25, exec_lo
                                        ; implicit-def: $sgpr24
	v_cmpx_lt_i16_e64 0x7f, v151
	s_xor_b32 s25, exec_lo, s25
	s_cbranch_execnz .LBB6_7382
; %bb.5608:                             ;   in Loop: Header=BB6_5432 Depth=2
	s_or_saveexec_b32 s25, s25
	v_mov_b32_e32 v150, s24
	s_xor_b32 exec_lo, exec_lo, s25
	s_cbranch_execnz .LBB6_7385
.LBB6_5609:                             ;   in Loop: Header=BB6_5432 Depth=2
	s_or_b32 exec_lo, exec_lo, s25
	s_and_saveexec_b32 s24, s7
	s_cbranch_execz .LBB6_5611
.LBB6_5610:                             ;   in Loop: Header=BB6_5432 Depth=2
	v_bfe_u32 v150, v49, 16, 3
	v_bfe_u32 v161, v49, 19, 4
	v_lshlrev_b32_e32 v162, 24, v149
	s_delay_alu instid0(VALU_DEP_3) | instskip(NEXT) | instid1(VALU_DEP_3)
	v_clz_i32_u32_e32 v151, v150
	v_cmp_eq_u32_e32 vcc_lo, 0, v161
	s_delay_alu instid0(VALU_DEP_2) | instskip(NEXT) | instid1(VALU_DEP_1)
	v_min_u32_e32 v151, 32, v151
	v_subrev_nc_u32_e32 v160, 28, v151
	v_sub_nc_u32_e32 v151, 29, v151
	s_delay_alu instid0(VALU_DEP_1) | instskip(NEXT) | instid1(VALU_DEP_1)
	v_dual_cndmask_b32 v151, v161, v151 :: v_dual_lshlrev_b32 v160, v160, v149
	v_and_b32_e32 v160, 7, v160
	s_delay_alu instid0(VALU_DEP_2) | instskip(NEXT) | instid1(VALU_DEP_2)
	v_lshl_add_u32 v151, v151, 23, 0x3b800000
	v_cndmask_b32_e32 v150, v150, v160, vcc_lo
	v_and_b32_e32 v160, 0x80000000, v162
	s_delay_alu instid0(VALU_DEP_2) | instskip(NEXT) | instid1(VALU_DEP_1)
	v_lshlrev_b32_e32 v150, 20, v150
	v_or3_b32 v150, v160, v151, v150
.LBB6_5611:                             ;   in Loop: Header=BB6_5432 Depth=2
	s_or_b32 exec_lo, exec_lo, s24
	v_and_b32_e32 v160, 0xff, v148
	s_mov_b32 s7, 0
	s_mov_b32 s25, exec_lo
                                        ; implicit-def: $sgpr24
	s_delay_alu instid0(VALU_DEP_1)
	v_cmpx_lt_i16_e64 0x7f, v160
	s_xor_b32 s25, exec_lo, s25
	s_cbranch_execnz .LBB6_7386
; %bb.5612:                             ;   in Loop: Header=BB6_5432 Depth=2
	s_or_saveexec_b32 s25, s25
	v_mov_b32_e32 v151, s24
	s_xor_b32 exec_lo, exec_lo, s25
	s_cbranch_execnz .LBB6_7389
.LBB6_5613:                             ;   in Loop: Header=BB6_5432 Depth=2
	s_or_b32 exec_lo, exec_lo, s25
	s_and_saveexec_b32 s24, s7
	s_cbranch_execz .LBB6_5615
.LBB6_5614:                             ;   in Loop: Header=BB6_5432 Depth=2
	v_bfe_u32 v151, v37, 16, 3
	v_bfe_u32 v162, v37, 19, 4
	v_lshlrev_b32_e32 v163, 24, v148
	s_delay_alu instid0(VALU_DEP_3) | instskip(NEXT) | instid1(VALU_DEP_3)
	v_clz_i32_u32_e32 v160, v151
	v_cmp_eq_u32_e32 vcc_lo, 0, v162
	s_delay_alu instid0(VALU_DEP_2) | instskip(NEXT) | instid1(VALU_DEP_1)
	v_min_u32_e32 v160, 32, v160
	v_subrev_nc_u32_e32 v161, 28, v160
	v_sub_nc_u32_e32 v160, 29, v160
	s_delay_alu instid0(VALU_DEP_2) | instskip(NEXT) | instid1(VALU_DEP_1)
	v_lshlrev_b32_e32 v161, v161, v148
	v_dual_cndmask_b32 v160, v162, v160 :: v_dual_and_b32 v161, 7, v161
	s_delay_alu instid0(VALU_DEP_1) | instskip(NEXT) | instid1(VALU_DEP_2)
	v_lshl_add_u32 v160, v160, 23, 0x3b800000
	v_cndmask_b32_e32 v151, v151, v161, vcc_lo
	v_and_b32_e32 v161, 0x80000000, v163
	s_delay_alu instid0(VALU_DEP_2) | instskip(NEXT) | instid1(VALU_DEP_1)
	v_lshlrev_b32_e32 v151, 20, v151
	v_or3_b32 v151, v161, v160, v151
.LBB6_5615:                             ;   in Loop: Header=BB6_5432 Depth=2
	s_or_b32 exec_lo, exec_lo, s24
	s_delay_alu instid0(VALU_DEP_1) | instskip(SKIP_1) | instid1(VALU_DEP_1)
	v_dual_max_f32 v151, v151, v151 :: v_dual_max_f32 v150, v150, v150
	s_mov_b32 s7, 0
	v_max_f32_e32 v150, v150, v151
	s_branch .LBB6_5617
.LBB6_5616:                             ;   in Loop: Header=BB6_5432 Depth=2
	s_mov_b32 s7, -1
                                        ; implicit-def: $vgpr150
.LBB6_5617:                             ;   in Loop: Header=BB6_5432 Depth=2
	s_delay_alu instid0(SALU_CYCLE_1)
	s_and_b32 vcc_lo, exec_lo, s7
	s_cbranch_vccz .LBB6_5627
; %bb.5618:                             ;   in Loop: Header=BB6_5432 Depth=2
	v_and_b32_e32 v151, 0xff, v149
	s_mov_b32 s7, 0
	s_mov_b32 s25, exec_lo
                                        ; implicit-def: $sgpr24
	s_delay_alu instid0(VALU_DEP_1)
	v_cmpx_lt_i16_e64 0x7f, v151
	s_xor_b32 s25, exec_lo, s25
	s_cbranch_execnz .LBB6_7390
; %bb.5619:                             ;   in Loop: Header=BB6_5432 Depth=2
	s_or_saveexec_b32 s25, s25
	v_mov_b32_e32 v150, s24
	s_xor_b32 exec_lo, exec_lo, s25
	s_cbranch_execnz .LBB6_7393
.LBB6_5620:                             ;   in Loop: Header=BB6_5432 Depth=2
	s_or_b32 exec_lo, exec_lo, s25
	s_and_saveexec_b32 s24, s7
	s_cbranch_execz .LBB6_5622
.LBB6_5621:                             ;   in Loop: Header=BB6_5432 Depth=2
	v_bfe_u32 v150, v49, 16, 3
	v_bfe_u32 v161, v49, 19, 4
	s_delay_alu instid0(VALU_DEP_2) | instskip(NEXT) | instid1(VALU_DEP_2)
	v_clz_i32_u32_e32 v151, v150
	v_cmp_eq_u32_e32 vcc_lo, 0, v161
	s_delay_alu instid0(VALU_DEP_2) | instskip(NEXT) | instid1(VALU_DEP_1)
	v_min_u32_e32 v151, 32, v151
	v_subrev_nc_u32_e32 v160, 28, v151
	v_sub_nc_u32_e32 v151, 29, v151
	s_delay_alu instid0(VALU_DEP_1) | instskip(NEXT) | instid1(VALU_DEP_1)
	v_dual_cndmask_b32 v151, v161, v151 :: v_dual_lshlrev_b32 v160, v160, v149
	v_and_b32_e32 v160, 7, v160
	v_lshlrev_b32_e32 v149, 24, v149
	s_delay_alu instid0(VALU_DEP_3) | instskip(NEXT) | instid1(VALU_DEP_2)
	v_lshl_add_u32 v151, v151, 23, 0x3b800000
	v_dual_cndmask_b32 v150, v150, v160 :: v_dual_and_b32 v149, 0x80000000, v149
	s_delay_alu instid0(VALU_DEP_1) | instskip(NEXT) | instid1(VALU_DEP_1)
	v_lshlrev_b32_e32 v150, 20, v150
	v_or3_b32 v150, v149, v151, v150
.LBB6_5622:                             ;   in Loop: Header=BB6_5432 Depth=2
	s_or_b32 exec_lo, exec_lo, s24
	v_and_b32_e32 v151, 0xff, v148
	s_mov_b32 s7, 0
	s_mov_b32 s25, exec_lo
                                        ; implicit-def: $sgpr24
	s_delay_alu instid0(VALU_DEP_1)
	v_cmpx_lt_i16_e64 0x7f, v151
	s_xor_b32 s25, exec_lo, s25
	s_cbranch_execnz .LBB6_7394
; %bb.5623:                             ;   in Loop: Header=BB6_5432 Depth=2
	s_or_saveexec_b32 s25, s25
	v_mov_b32_e32 v149, s24
	s_xor_b32 exec_lo, exec_lo, s25
	s_cbranch_execnz .LBB6_7397
.LBB6_5624:                             ;   in Loop: Header=BB6_5432 Depth=2
	s_or_b32 exec_lo, exec_lo, s25
	s_and_saveexec_b32 s24, s7
	s_cbranch_execz .LBB6_5626
.LBB6_5625:                             ;   in Loop: Header=BB6_5432 Depth=2
	v_bfe_u32 v149, v37, 16, 3
	v_bfe_u32 v161, v37, 19, 4
	s_delay_alu instid0(VALU_DEP_2) | instskip(NEXT) | instid1(VALU_DEP_2)
	v_clz_i32_u32_e32 v151, v149
	v_cmp_eq_u32_e32 vcc_lo, 0, v161
	s_delay_alu instid0(VALU_DEP_2) | instskip(NEXT) | instid1(VALU_DEP_1)
	v_min_u32_e32 v151, 32, v151
	v_subrev_nc_u32_e32 v160, 28, v151
	v_sub_nc_u32_e32 v151, 29, v151
	s_delay_alu instid0(VALU_DEP_1) | instskip(SKIP_1) | instid1(VALU_DEP_2)
	v_dual_cndmask_b32 v151, v161, v151 :: v_dual_lshlrev_b32 v160, v160, v148
	v_lshlrev_b32_e32 v148, 24, v148
	v_and_b32_e32 v160, 7, v160
	s_delay_alu instid0(VALU_DEP_3) | instskip(NEXT) | instid1(VALU_DEP_3)
	v_lshl_add_u32 v151, v151, 23, 0x3b800000
	v_and_b32_e32 v148, 0x80000000, v148
	s_delay_alu instid0(VALU_DEP_3) | instskip(NEXT) | instid1(VALU_DEP_1)
	v_cndmask_b32_e32 v149, v149, v160, vcc_lo
	v_lshlrev_b32_e32 v149, 20, v149
	s_delay_alu instid0(VALU_DEP_1)
	v_or3_b32 v149, v148, v151, v149
.LBB6_5626:                             ;   in Loop: Header=BB6_5432 Depth=2
	s_or_b32 exec_lo, exec_lo, s24
	s_delay_alu instid0(VALU_DEP_1) | instskip(NEXT) | instid1(VALU_DEP_1)
	v_dual_max_f32 v148, v149, v149 :: v_dual_max_f32 v149, v150, v150
	v_min_f32_e32 v150, v149, v148
.LBB6_5627:                             ;   in Loop: Header=BB6_5432 Depth=2
	s_delay_alu instid0(VALU_DEP_1) | instskip(NEXT) | instid1(VALU_DEP_1)
	v_and_b32_e32 v148, 0x7f800000, v150
	v_cmp_ne_u32_e32 vcc_lo, 0x7f800000, v148
	v_mov_b32_e32 v148, 0x80
	s_and_saveexec_b32 s24, vcc_lo
	s_cbranch_execz .LBB6_5635
; %bb.5628:                             ;   in Loop: Header=BB6_5432 Depth=2
	v_mov_b32_e32 v148, 0
	s_mov_b32 s25, exec_lo
	v_cmpx_ne_u32_e32 0, v150
	s_cbranch_execz .LBB6_5634
; %bb.5629:                             ;   in Loop: Header=BB6_5432 Depth=2
	v_bfe_u32 v148, v150, 23, 8
	v_and_b32_e32 v149, 0x7fffff, v150
	s_delay_alu instid0(VALU_DEP_2) | instskip(SKIP_1) | instid1(VALU_DEP_3)
	v_sub_nc_u32_e32 v151, 0x78, v148
	v_cmp_gt_u32_e32 vcc_lo, 0x79, v148
	v_or_b32_e32 v160, 0x800000, v149
	s_delay_alu instid0(VALU_DEP_3) | instskip(SKIP_2) | instid1(VALU_DEP_3)
	v_cndmask_b32_e32 v151, 0, v151, vcc_lo
	v_cmp_eq_u32_e32 vcc_lo, 0, v148
	v_add_nc_u32_e32 v148, 0xffffff89, v148
	v_cndmask_b32_e64 v151, v151, 0x77, vcc_lo
	v_cndmask_b32_e32 v149, v160, v149, vcc_lo
	s_delay_alu instid0(VALU_DEP_3) | instskip(NEXT) | instid1(VALU_DEP_3)
	v_cndmask_b32_e64 v148, v148, 0xffffff8a, vcc_lo
	v_lshl_add_u32 v160, 0x100000, v151, -1
	s_delay_alu instid0(VALU_DEP_3) | instskip(SKIP_1) | instid1(VALU_DEP_4)
	v_lshrrev_b32_e32 v161, v151, v149
	v_lshlrev_b32_e64 v163, v151, 0x80000
	v_add_nc_u32_e32 v151, v151, v148
	s_delay_alu instid0(VALU_DEP_4) | instskip(NEXT) | instid1(VALU_DEP_4)
	v_and_b32_e32 v149, v160, v149
	v_bfe_u32 v162, v161, 20, 1
	s_delay_alu instid0(VALU_DEP_2) | instskip(NEXT) | instid1(VALU_DEP_2)
	v_cmp_eq_u32_e64 s7, v149, v163
	v_add_nc_u32_e32 v160, -1, v162
	s_delay_alu instid0(VALU_DEP_1) | instskip(SKIP_2) | instid1(VALU_DEP_2)
	v_cndmask_b32_e64 v149, 0, v160, s7
	v_lshrrev_b32_e32 v160, 23, v161
	s_mov_b32 s7, exec_lo
	v_add_nc_u32_e32 v149, v149, v161
	s_delay_alu instid0(VALU_DEP_2) | instskip(NEXT) | instid1(VALU_DEP_2)
	v_xor_b32_e32 v160, 1, v160
	v_and_b32_e32 v148, 0xfffff, v149
	s_delay_alu instid0(VALU_DEP_1) | instskip(NEXT) | instid1(VALU_DEP_3)
	v_add_nc_u32_e32 v149, v148, v161
                                        ; implicit-def: $vgpr148
	v_cmpx_ne_u32_e64 v151, v160
	s_xor_b32 s7, exec_lo, s7
; %bb.5630:                             ;   in Loop: Header=BB6_5432 Depth=2
	s_delay_alu instid0(VALU_DEP_2) | instskip(SKIP_2) | instid1(VALU_DEP_2)
	v_cmp_lt_u32_e32 vcc_lo, 0xffffff, v149
	v_sub_nc_u32_e32 v148, v151, v160
	v_cndmask_b32_e64 v151, 0, 1, vcc_lo
	v_add_co_ci_u32_e32 v148, vcc_lo, 0, v148, vcc_lo
	s_delay_alu instid0(VALU_DEP_2)
	v_lshrrev_b32_e32 v149, v151, v149
; %bb.5631:                             ;   in Loop: Header=BB6_5432 Depth=2
	s_and_not1_saveexec_b32 s7, s7
; %bb.5632:                             ;   in Loop: Header=BB6_5432 Depth=2
	s_delay_alu instid0(VALU_DEP_1)
	v_bfe_u32 v148, v149, 23, 1
; %bb.5633:                             ;   in Loop: Header=BB6_5432 Depth=2
	s_or_b32 exec_lo, exec_lo, s7
	v_lshrrev_b32_e32 v149, 20, v149
	s_delay_alu instid0(VALU_DEP_2) | instskip(SKIP_2) | instid1(VALU_DEP_2)
	v_cmp_gt_i32_e32 vcc_lo, 16, v148
	v_lshrrev_b32_e32 v150, 24, v150
	v_min_i32_e32 v151, 15, v148
	v_dual_cndmask_b32 v149, 7, v149 :: v_dual_and_b32 v150, 0x80, v150
	s_delay_alu instid0(VALU_DEP_1) | instskip(SKIP_1) | instid1(VALU_DEP_2)
	v_or_b32_e32 v148, v148, v149
	v_and_b32_e32 v160, 7, v149
	v_cmp_ne_u32_e32 vcc_lo, 0, v148
	v_lshlrev_b32_e32 v151, 3, v151
	s_delay_alu instid0(VALU_DEP_1) | instskip(NEXT) | instid1(VALU_DEP_1)
	v_and_b32_e32 v151, 0xf8, v151
	v_or3_b32 v149, v151, v150, v160
	s_delay_alu instid0(VALU_DEP_1)
	v_cndmask_b32_e32 v148, 0, v149, vcc_lo
.LBB6_5634:                             ;   in Loop: Header=BB6_5432 Depth=2
	s_or_b32 exec_lo, exec_lo, s25
.LBB6_5635:                             ;   in Loop: Header=BB6_5432 Depth=2
	s_delay_alu instid0(SALU_CYCLE_1)
	s_or_b32 exec_lo, exec_lo, s24
	v_lshrrev_b32_e32 v150, 24, v49
	v_lshrrev_b32_e32 v149, 24, v37
	s_and_b32 vcc_lo, exec_lo, s23
	s_cbranch_vccz .LBB6_5645
; %bb.5636:                             ;   in Loop: Header=BB6_5432 Depth=2
	s_mov_b32 s7, 0
	s_mov_b32 s25, exec_lo
                                        ; implicit-def: $sgpr24
	v_cmpx_lt_i16_e64 0x7f, v150
	s_xor_b32 s25, exec_lo, s25
	s_cbranch_execnz .LBB6_7398
; %bb.5637:                             ;   in Loop: Header=BB6_5432 Depth=2
	s_or_saveexec_b32 s25, s25
	v_mov_b32_e32 v151, s24
	s_xor_b32 exec_lo, exec_lo, s25
	s_cbranch_execnz .LBB6_7401
.LBB6_5638:                             ;   in Loop: Header=BB6_5432 Depth=2
	s_or_b32 exec_lo, exec_lo, s25
	s_and_saveexec_b32 s24, s7
	s_cbranch_execz .LBB6_5640
.LBB6_5639:                             ;   in Loop: Header=BB6_5432 Depth=2
	v_bfe_u32 v151, v49, 24, 3
	v_bfe_u32 v162, v49, 27, 4
	s_delay_alu instid0(VALU_DEP_2) | instskip(NEXT) | instid1(VALU_DEP_2)
	v_clz_i32_u32_e32 v160, v151
	v_cmp_eq_u32_e32 vcc_lo, 0, v162
	s_delay_alu instid0(VALU_DEP_2) | instskip(NEXT) | instid1(VALU_DEP_1)
	v_min_u32_e32 v160, 32, v160
	v_subrev_nc_u32_e32 v161, 28, v160
	v_sub_nc_u32_e32 v160, 29, v160
	s_delay_alu instid0(VALU_DEP_1) | instskip(NEXT) | instid1(VALU_DEP_1)
	v_dual_cndmask_b32 v160, v162, v160 :: v_dual_lshlrev_b32 v161, v161, v150
	v_and_b32_e32 v161, 7, v161
	s_delay_alu instid0(VALU_DEP_2) | instskip(NEXT) | instid1(VALU_DEP_2)
	v_lshl_add_u32 v160, v160, 23, 0x3b800000
	v_cndmask_b32_e32 v151, v151, v161, vcc_lo
	v_and_b32_e32 v161, 0x80000000, v49
	s_delay_alu instid0(VALU_DEP_2) | instskip(NEXT) | instid1(VALU_DEP_1)
	v_lshlrev_b32_e32 v151, 20, v151
	v_or3_b32 v151, v161, v160, v151
.LBB6_5640:                             ;   in Loop: Header=BB6_5432 Depth=2
	s_or_b32 exec_lo, exec_lo, s24
	s_mov_b32 s7, 0
	s_mov_b32 s25, exec_lo
                                        ; implicit-def: $sgpr24
	v_cmpx_lt_i16_e64 0x7f, v149
	s_xor_b32 s25, exec_lo, s25
	s_cbranch_execnz .LBB6_7402
; %bb.5641:                             ;   in Loop: Header=BB6_5432 Depth=2
	s_or_saveexec_b32 s25, s25
	v_mov_b32_e32 v160, s24
	s_xor_b32 exec_lo, exec_lo, s25
	s_cbranch_execnz .LBB6_7405
.LBB6_5642:                             ;   in Loop: Header=BB6_5432 Depth=2
	s_or_b32 exec_lo, exec_lo, s25
	s_and_saveexec_b32 s24, s7
	s_cbranch_execz .LBB6_5644
.LBB6_5643:                             ;   in Loop: Header=BB6_5432 Depth=2
	v_bfe_u32 v160, v37, 24, 3
	v_bfe_u32 v163, v37, 27, 4
	s_delay_alu instid0(VALU_DEP_2) | instskip(NEXT) | instid1(VALU_DEP_2)
	v_clz_i32_u32_e32 v161, v160
	v_cmp_eq_u32_e32 vcc_lo, 0, v163
	s_delay_alu instid0(VALU_DEP_2) | instskip(NEXT) | instid1(VALU_DEP_1)
	v_min_u32_e32 v161, 32, v161
	v_subrev_nc_u32_e32 v162, 28, v161
	v_sub_nc_u32_e32 v161, 29, v161
	s_delay_alu instid0(VALU_DEP_2) | instskip(NEXT) | instid1(VALU_DEP_1)
	v_lshlrev_b32_e32 v162, v162, v149
	v_dual_cndmask_b32 v161, v163, v161 :: v_dual_and_b32 v162, 7, v162
	s_delay_alu instid0(VALU_DEP_1) | instskip(NEXT) | instid1(VALU_DEP_2)
	v_lshl_add_u32 v161, v161, 23, 0x3b800000
	v_cndmask_b32_e32 v160, v160, v162, vcc_lo
	v_and_b32_e32 v162, 0x80000000, v37
	s_delay_alu instid0(VALU_DEP_2) | instskip(NEXT) | instid1(VALU_DEP_1)
	v_lshlrev_b32_e32 v160, 20, v160
	v_or3_b32 v160, v162, v161, v160
.LBB6_5644:                             ;   in Loop: Header=BB6_5432 Depth=2
	s_or_b32 exec_lo, exec_lo, s24
	s_delay_alu instid0(VALU_DEP_1) | instskip(SKIP_1) | instid1(VALU_DEP_1)
	v_dual_max_f32 v160, v160, v160 :: v_dual_max_f32 v151, v151, v151
	s_mov_b32 s7, 0
	v_max_f32_e32 v151, v151, v160
	s_branch .LBB6_5646
.LBB6_5645:                             ;   in Loop: Header=BB6_5432 Depth=2
	s_mov_b32 s7, -1
                                        ; implicit-def: $vgpr151
.LBB6_5646:                             ;   in Loop: Header=BB6_5432 Depth=2
	s_delay_alu instid0(SALU_CYCLE_1)
	s_and_b32 vcc_lo, exec_lo, s7
	s_cbranch_vccz .LBB6_5656
; %bb.5647:                             ;   in Loop: Header=BB6_5432 Depth=2
	s_mov_b32 s7, 0
	s_mov_b32 s25, exec_lo
                                        ; implicit-def: $sgpr24
	v_cmpx_lt_i16_e64 0x7f, v150
	s_xor_b32 s25, exec_lo, s25
	s_cbranch_execnz .LBB6_7406
; %bb.5648:                             ;   in Loop: Header=BB6_5432 Depth=2
	s_or_saveexec_b32 s25, s25
	v_mov_b32_e32 v151, s24
	s_xor_b32 exec_lo, exec_lo, s25
	s_cbranch_execnz .LBB6_7409
.LBB6_5649:                             ;   in Loop: Header=BB6_5432 Depth=2
	s_or_b32 exec_lo, exec_lo, s25
	s_and_saveexec_b32 s24, s7
	s_cbranch_execz .LBB6_5651
.LBB6_5650:                             ;   in Loop: Header=BB6_5432 Depth=2
	v_bfe_u32 v151, v49, 24, 3
	s_delay_alu instid0(VALU_DEP_1) | instskip(NEXT) | instid1(VALU_DEP_1)
	v_clz_i32_u32_e32 v160, v151
	v_min_u32_e32 v160, 32, v160
	s_delay_alu instid0(VALU_DEP_1) | instskip(SKIP_1) | instid1(VALU_DEP_2)
	v_subrev_nc_u32_e32 v161, 28, v160
	v_sub_nc_u32_e32 v160, 29, v160
	v_lshlrev_b32_e32 v150, v161, v150
	v_bfe_u32 v161, v49, 27, 4
	v_and_b32_e32 v49, 0x80000000, v49
	s_delay_alu instid0(VALU_DEP_3) | instskip(NEXT) | instid1(VALU_DEP_3)
	v_and_b32_e32 v150, 7, v150
	v_cmp_eq_u32_e32 vcc_lo, 0, v161
	v_cndmask_b32_e32 v160, v161, v160, vcc_lo
	s_delay_alu instid0(VALU_DEP_3) | instskip(NEXT) | instid1(VALU_DEP_2)
	v_cndmask_b32_e32 v150, v151, v150, vcc_lo
	v_lshl_add_u32 v151, v160, 23, 0x3b800000
	s_delay_alu instid0(VALU_DEP_2) | instskip(NEXT) | instid1(VALU_DEP_1)
	v_lshlrev_b32_e32 v150, 20, v150
	v_or3_b32 v151, v49, v151, v150
.LBB6_5651:                             ;   in Loop: Header=BB6_5432 Depth=2
	s_or_b32 exec_lo, exec_lo, s24
	s_mov_b32 s7, 0
	s_mov_b32 s25, exec_lo
                                        ; implicit-def: $sgpr24
	v_cmpx_lt_i16_e64 0x7f, v149
	s_xor_b32 s25, exec_lo, s25
	s_cbranch_execnz .LBB6_7410
; %bb.5652:                             ;   in Loop: Header=BB6_5432 Depth=2
	s_or_saveexec_b32 s25, s25
	v_mov_b32_e32 v49, s24
	s_xor_b32 exec_lo, exec_lo, s25
	s_cbranch_execnz .LBB6_7413
.LBB6_5653:                             ;   in Loop: Header=BB6_5432 Depth=2
	s_or_b32 exec_lo, exec_lo, s25
	s_and_saveexec_b32 s24, s7
	s_cbranch_execz .LBB6_5655
.LBB6_5654:                             ;   in Loop: Header=BB6_5432 Depth=2
	v_bfe_u32 v49, v37, 24, 3
	s_delay_alu instid0(VALU_DEP_1) | instskip(NEXT) | instid1(VALU_DEP_1)
	v_clz_i32_u32_e32 v150, v49
	v_min_u32_e32 v150, 32, v150
	s_delay_alu instid0(VALU_DEP_1) | instskip(SKIP_1) | instid1(VALU_DEP_2)
	v_subrev_nc_u32_e32 v160, 28, v150
	v_sub_nc_u32_e32 v150, 29, v150
	v_lshlrev_b32_e32 v149, v160, v149
	v_bfe_u32 v160, v37, 27, 4
	v_and_b32_e32 v37, 0x80000000, v37
	s_delay_alu instid0(VALU_DEP_2) | instskip(NEXT) | instid1(VALU_DEP_4)
	v_cmp_eq_u32_e32 vcc_lo, 0, v160
	v_dual_cndmask_b32 v150, v160, v150 :: v_dual_and_b32 v149, 7, v149
	s_delay_alu instid0(VALU_DEP_1) | instskip(NEXT) | instid1(VALU_DEP_2)
	v_cndmask_b32_e32 v49, v49, v149, vcc_lo
	v_lshl_add_u32 v149, v150, 23, 0x3b800000
	s_delay_alu instid0(VALU_DEP_2) | instskip(NEXT) | instid1(VALU_DEP_1)
	v_lshlrev_b32_e32 v49, 20, v49
	v_or3_b32 v49, v37, v149, v49
.LBB6_5655:                             ;   in Loop: Header=BB6_5432 Depth=2
	s_or_b32 exec_lo, exec_lo, s24
	s_delay_alu instid0(VALU_DEP_1) | instskip(SKIP_1) | instid1(VALU_DEP_1)
	v_max_f32_e32 v37, v49, v49
	v_max_f32_e32 v49, v151, v151
	v_min_f32_e32 v151, v49, v37
.LBB6_5656:                             ;   in Loop: Header=BB6_5432 Depth=2
	s_delay_alu instid0(VALU_DEP_1) | instskip(NEXT) | instid1(VALU_DEP_1)
	v_and_b32_e32 v37, 0x7f800000, v151
	v_cmp_ne_u32_e32 vcc_lo, 0x7f800000, v37
	v_mov_b32_e32 v37, 0x8000
	s_and_saveexec_b32 s24, vcc_lo
	s_cbranch_execz .LBB6_5664
; %bb.5657:                             ;   in Loop: Header=BB6_5432 Depth=2
	v_mov_b32_e32 v37, 0
	s_mov_b32 s25, exec_lo
	v_cmpx_ne_u32_e32 0, v151
	s_cbranch_execz .LBB6_5663
; %bb.5658:                             ;   in Loop: Header=BB6_5432 Depth=2
	v_bfe_u32 v37, v151, 23, 8
	v_and_b32_e32 v49, 0x7fffff, v151
	s_delay_alu instid0(VALU_DEP_2) | instskip(SKIP_1) | instid1(VALU_DEP_3)
	v_sub_nc_u32_e32 v149, 0x78, v37
	v_cmp_gt_u32_e32 vcc_lo, 0x79, v37
	v_or_b32_e32 v150, 0x800000, v49
	s_delay_alu instid0(VALU_DEP_3) | instskip(SKIP_2) | instid1(VALU_DEP_3)
	v_cndmask_b32_e32 v149, 0, v149, vcc_lo
	v_cmp_eq_u32_e32 vcc_lo, 0, v37
	v_add_nc_u32_e32 v37, 0xffffff89, v37
	v_cndmask_b32_e64 v149, v149, 0x77, vcc_lo
	v_cndmask_b32_e32 v49, v150, v49, vcc_lo
	s_delay_alu instid0(VALU_DEP_3) | instskip(NEXT) | instid1(VALU_DEP_3)
	v_cndmask_b32_e64 v37, v37, 0xffffff8a, vcc_lo
	v_lshl_add_u32 v150, 0x100000, v149, -1
	s_delay_alu instid0(VALU_DEP_3) | instskip(SKIP_1) | instid1(VALU_DEP_4)
	v_lshrrev_b32_e32 v160, v149, v49
	v_lshlrev_b32_e64 v162, v149, 0x80000
	v_add_nc_u32_e32 v149, v149, v37
	s_delay_alu instid0(VALU_DEP_4) | instskip(NEXT) | instid1(VALU_DEP_4)
	v_and_b32_e32 v49, v150, v49
	v_bfe_u32 v161, v160, 20, 1
	s_delay_alu instid0(VALU_DEP_2) | instskip(NEXT) | instid1(VALU_DEP_2)
	v_cmp_eq_u32_e64 s7, v49, v162
	v_add_nc_u32_e32 v150, -1, v161
	s_delay_alu instid0(VALU_DEP_1) | instskip(SKIP_2) | instid1(VALU_DEP_2)
	v_cndmask_b32_e64 v49, 0, v150, s7
	v_lshrrev_b32_e32 v150, 23, v160
	s_mov_b32 s7, exec_lo
	v_add_nc_u32_e32 v49, v49, v160
	s_delay_alu instid0(VALU_DEP_2) | instskip(NEXT) | instid1(VALU_DEP_2)
	v_xor_b32_e32 v150, 1, v150
	v_and_b32_e32 v37, 0xfffff, v49
	s_delay_alu instid0(VALU_DEP_1) | instskip(NEXT) | instid1(VALU_DEP_3)
	v_add_nc_u32_e32 v49, v37, v160
                                        ; implicit-def: $vgpr37
	v_cmpx_ne_u32_e64 v149, v150
	s_xor_b32 s7, exec_lo, s7
; %bb.5659:                             ;   in Loop: Header=BB6_5432 Depth=2
	s_delay_alu instid0(VALU_DEP_2) | instskip(SKIP_2) | instid1(VALU_DEP_2)
	v_cmp_lt_u32_e32 vcc_lo, 0xffffff, v49
	v_sub_nc_u32_e32 v37, v149, v150
	v_cndmask_b32_e64 v149, 0, 1, vcc_lo
	v_add_co_ci_u32_e32 v37, vcc_lo, 0, v37, vcc_lo
	s_delay_alu instid0(VALU_DEP_2)
	v_lshrrev_b32_e32 v49, v149, v49
; %bb.5660:                             ;   in Loop: Header=BB6_5432 Depth=2
	s_and_not1_saveexec_b32 s7, s7
; %bb.5661:                             ;   in Loop: Header=BB6_5432 Depth=2
	s_delay_alu instid0(VALU_DEP_1)
	v_bfe_u32 v37, v49, 23, 1
; %bb.5662:                             ;   in Loop: Header=BB6_5432 Depth=2
	s_or_b32 exec_lo, exec_lo, s7
	v_lshrrev_b32_e32 v49, 20, v49
	s_delay_alu instid0(VALU_DEP_2) | instskip(SKIP_2) | instid1(VALU_DEP_3)
	v_min_i32_e32 v149, 15, v37
	v_cmp_gt_i32_e32 vcc_lo, 16, v37
	v_lshrrev_b32_e32 v150, 24, v151
	v_lshlrev_b32_e32 v149, 3, v149
	s_delay_alu instid0(VALU_DEP_2) | instskip(NEXT) | instid1(VALU_DEP_2)
	v_dual_cndmask_b32 v49, 7, v49 :: v_dual_and_b32 v150, 0x80, v150
	v_and_b32_e32 v149, 0xf8, v149
	s_delay_alu instid0(VALU_DEP_2) | instskip(SKIP_1) | instid1(VALU_DEP_2)
	v_and_b32_e32 v151, 7, v49
	v_or_b32_e32 v37, v37, v49
	v_or3_b32 v149, v150, v149, v151
	s_delay_alu instid0(VALU_DEP_2) | instskip(NEXT) | instid1(VALU_DEP_2)
	v_cmp_ne_u32_e32 vcc_lo, 0, v37
	v_lshlrev_b32_e32 v49, 8, v149
	s_delay_alu instid0(VALU_DEP_1)
	v_cndmask_b32_e32 v37, 0, v49, vcc_lo
.LBB6_5663:                             ;   in Loop: Header=BB6_5432 Depth=2
	s_or_b32 exec_lo, exec_lo, s25
.LBB6_5664:                             ;   in Loop: Header=BB6_5432 Depth=2
	s_delay_alu instid0(SALU_CYCLE_1) | instskip(NEXT) | instid1(SALU_CYCLE_1)
	s_or_b32 exec_lo, exec_lo, s24
	s_and_b32 vcc_lo, exec_lo, s23
	s_cbranch_vccz .LBB6_5674
; %bb.5665:                             ;   in Loop: Header=BB6_5432 Depth=2
	v_and_b32_e32 v149, 0xff, v50
	s_mov_b32 s7, 0
	s_mov_b32 s25, exec_lo
                                        ; implicit-def: $sgpr24
	s_delay_alu instid0(VALU_DEP_1)
	v_cmpx_lt_i16_e64 0x7f, v149
	s_xor_b32 s25, exec_lo, s25
	s_cbranch_execnz .LBB6_7414
; %bb.5666:                             ;   in Loop: Header=BB6_5432 Depth=2
	s_or_saveexec_b32 s25, s25
	v_mov_b32_e32 v49, s24
	s_xor_b32 exec_lo, exec_lo, s25
	s_cbranch_execnz .LBB6_7417
.LBB6_5667:                             ;   in Loop: Header=BB6_5432 Depth=2
	s_or_b32 exec_lo, exec_lo, s25
	s_and_saveexec_b32 s24, s7
	s_cbranch_execz .LBB6_5669
.LBB6_5668:                             ;   in Loop: Header=BB6_5432 Depth=2
	v_and_b32_e32 v49, 7, v50
	v_bfe_u32 v151, v50, 3, 4
	v_lshlrev_b32_e32 v160, 24, v50
	s_delay_alu instid0(VALU_DEP_3) | instskip(NEXT) | instid1(VALU_DEP_3)
	v_clz_i32_u32_e32 v149, v49
	v_cmp_eq_u32_e32 vcc_lo, 0, v151
	s_delay_alu instid0(VALU_DEP_2) | instskip(NEXT) | instid1(VALU_DEP_1)
	v_min_u32_e32 v149, 32, v149
	v_subrev_nc_u32_e32 v150, 28, v149
	v_sub_nc_u32_e32 v149, 29, v149
	s_delay_alu instid0(VALU_DEP_1) | instskip(NEXT) | instid1(VALU_DEP_1)
	v_dual_cndmask_b32 v149, v151, v149 :: v_dual_lshlrev_b32 v150, v150, v50
	v_and_b32_e32 v150, 7, v150
	s_delay_alu instid0(VALU_DEP_2) | instskip(NEXT) | instid1(VALU_DEP_2)
	v_lshl_add_u32 v149, v149, 23, 0x3b800000
	v_dual_cndmask_b32 v49, v49, v150 :: v_dual_and_b32 v150, 0x80000000, v160
	s_delay_alu instid0(VALU_DEP_1) | instskip(NEXT) | instid1(VALU_DEP_1)
	v_lshlrev_b32_e32 v49, 20, v49
	v_or3_b32 v49, v150, v149, v49
.LBB6_5669:                             ;   in Loop: Header=BB6_5432 Depth=2
	s_or_b32 exec_lo, exec_lo, s24
	v_and_b32_e32 v150, 0xff, v38
	s_mov_b32 s7, 0
	s_mov_b32 s25, exec_lo
                                        ; implicit-def: $sgpr24
	s_delay_alu instid0(VALU_DEP_1)
	v_cmpx_lt_i16_e64 0x7f, v150
	s_xor_b32 s25, exec_lo, s25
	s_cbranch_execnz .LBB6_7418
; %bb.5670:                             ;   in Loop: Header=BB6_5432 Depth=2
	s_or_saveexec_b32 s25, s25
	v_mov_b32_e32 v149, s24
	s_xor_b32 exec_lo, exec_lo, s25
	s_cbranch_execnz .LBB6_7421
.LBB6_5671:                             ;   in Loop: Header=BB6_5432 Depth=2
	s_or_b32 exec_lo, exec_lo, s25
	s_and_saveexec_b32 s24, s7
	s_cbranch_execz .LBB6_5673
.LBB6_5672:                             ;   in Loop: Header=BB6_5432 Depth=2
	v_and_b32_e32 v149, 7, v38
	v_bfe_u32 v160, v38, 3, 4
	v_lshlrev_b32_e32 v161, 24, v38
	s_delay_alu instid0(VALU_DEP_3) | instskip(NEXT) | instid1(VALU_DEP_3)
	v_clz_i32_u32_e32 v150, v149
	v_cmp_eq_u32_e32 vcc_lo, 0, v160
	s_delay_alu instid0(VALU_DEP_2) | instskip(NEXT) | instid1(VALU_DEP_1)
	v_min_u32_e32 v150, 32, v150
	v_subrev_nc_u32_e32 v151, 28, v150
	v_sub_nc_u32_e32 v150, 29, v150
	s_delay_alu instid0(VALU_DEP_2) | instskip(NEXT) | instid1(VALU_DEP_1)
	v_lshlrev_b32_e32 v151, v151, v38
	v_dual_cndmask_b32 v150, v160, v150 :: v_dual_and_b32 v151, 7, v151
	s_delay_alu instid0(VALU_DEP_1) | instskip(NEXT) | instid1(VALU_DEP_2)
	v_lshl_add_u32 v150, v150, 23, 0x3b800000
	v_cndmask_b32_e32 v149, v149, v151, vcc_lo
	v_and_b32_e32 v151, 0x80000000, v161
	s_delay_alu instid0(VALU_DEP_2) | instskip(NEXT) | instid1(VALU_DEP_1)
	v_lshlrev_b32_e32 v149, 20, v149
	v_or3_b32 v149, v151, v150, v149
.LBB6_5673:                             ;   in Loop: Header=BB6_5432 Depth=2
	s_or_b32 exec_lo, exec_lo, s24
	s_delay_alu instid0(VALU_DEP_1) | instskip(SKIP_2) | instid1(VALU_DEP_1)
	v_max_f32_e32 v149, v149, v149
	v_max_f32_e32 v49, v49, v49
	s_mov_b32 s7, 0
	v_max_f32_e32 v149, v49, v149
	s_branch .LBB6_5675
.LBB6_5674:                             ;   in Loop: Header=BB6_5432 Depth=2
	s_mov_b32 s7, -1
                                        ; implicit-def: $vgpr149
.LBB6_5675:                             ;   in Loop: Header=BB6_5432 Depth=2
	s_delay_alu instid0(SALU_CYCLE_1)
	s_and_b32 vcc_lo, exec_lo, s7
	s_cbranch_vccz .LBB6_5685
; %bb.5676:                             ;   in Loop: Header=BB6_5432 Depth=2
	v_and_b32_e32 v149, 0xff, v50
	s_mov_b32 s7, 0
	s_mov_b32 s25, exec_lo
                                        ; implicit-def: $sgpr24
	s_delay_alu instid0(VALU_DEP_1)
	v_cmpx_lt_i16_e64 0x7f, v149
	s_xor_b32 s25, exec_lo, s25
	s_cbranch_execnz .LBB6_7422
; %bb.5677:                             ;   in Loop: Header=BB6_5432 Depth=2
	s_or_saveexec_b32 s25, s25
	v_mov_b32_e32 v49, s24
	s_xor_b32 exec_lo, exec_lo, s25
	s_cbranch_execnz .LBB6_7425
.LBB6_5678:                             ;   in Loop: Header=BB6_5432 Depth=2
	s_or_b32 exec_lo, exec_lo, s25
	s_and_saveexec_b32 s24, s7
	s_cbranch_execz .LBB6_5680
.LBB6_5679:                             ;   in Loop: Header=BB6_5432 Depth=2
	v_and_b32_e32 v49, 7, v50
	v_bfe_u32 v151, v50, 3, 4
	v_lshlrev_b32_e32 v160, 24, v50
	s_delay_alu instid0(VALU_DEP_3) | instskip(NEXT) | instid1(VALU_DEP_3)
	v_clz_i32_u32_e32 v149, v49
	v_cmp_eq_u32_e32 vcc_lo, 0, v151
	s_delay_alu instid0(VALU_DEP_2) | instskip(NEXT) | instid1(VALU_DEP_1)
	v_min_u32_e32 v149, 32, v149
	v_subrev_nc_u32_e32 v150, 28, v149
	v_sub_nc_u32_e32 v149, 29, v149
	s_delay_alu instid0(VALU_DEP_1) | instskip(NEXT) | instid1(VALU_DEP_1)
	v_dual_cndmask_b32 v149, v151, v149 :: v_dual_lshlrev_b32 v150, v150, v50
	v_and_b32_e32 v150, 7, v150
	s_delay_alu instid0(VALU_DEP_2) | instskip(NEXT) | instid1(VALU_DEP_2)
	v_lshl_add_u32 v149, v149, 23, 0x3b800000
	v_dual_cndmask_b32 v49, v49, v150 :: v_dual_and_b32 v150, 0x80000000, v160
	s_delay_alu instid0(VALU_DEP_1) | instskip(NEXT) | instid1(VALU_DEP_1)
	v_lshlrev_b32_e32 v49, 20, v49
	v_or3_b32 v49, v150, v149, v49
.LBB6_5680:                             ;   in Loop: Header=BB6_5432 Depth=2
	s_or_b32 exec_lo, exec_lo, s24
	v_and_b32_e32 v150, 0xff, v38
	s_mov_b32 s7, 0
	s_mov_b32 s25, exec_lo
                                        ; implicit-def: $sgpr24
	s_delay_alu instid0(VALU_DEP_1)
	v_cmpx_lt_i16_e64 0x7f, v150
	s_xor_b32 s25, exec_lo, s25
	s_cbranch_execnz .LBB6_7426
; %bb.5681:                             ;   in Loop: Header=BB6_5432 Depth=2
	s_or_saveexec_b32 s25, s25
	v_mov_b32_e32 v149, s24
	s_xor_b32 exec_lo, exec_lo, s25
	s_cbranch_execnz .LBB6_7429
.LBB6_5682:                             ;   in Loop: Header=BB6_5432 Depth=2
	s_or_b32 exec_lo, exec_lo, s25
	s_and_saveexec_b32 s24, s7
	s_cbranch_execz .LBB6_5684
.LBB6_5683:                             ;   in Loop: Header=BB6_5432 Depth=2
	v_and_b32_e32 v149, 7, v38
	v_bfe_u32 v160, v38, 3, 4
	v_lshlrev_b32_e32 v161, 24, v38
	s_delay_alu instid0(VALU_DEP_3) | instskip(NEXT) | instid1(VALU_DEP_3)
	v_clz_i32_u32_e32 v150, v149
	v_cmp_eq_u32_e32 vcc_lo, 0, v160
	s_delay_alu instid0(VALU_DEP_2) | instskip(NEXT) | instid1(VALU_DEP_1)
	v_min_u32_e32 v150, 32, v150
	v_subrev_nc_u32_e32 v151, 28, v150
	v_sub_nc_u32_e32 v150, 29, v150
	s_delay_alu instid0(VALU_DEP_2) | instskip(NEXT) | instid1(VALU_DEP_1)
	v_lshlrev_b32_e32 v151, v151, v38
	v_dual_cndmask_b32 v150, v160, v150 :: v_dual_and_b32 v151, 7, v151
	s_delay_alu instid0(VALU_DEP_1) | instskip(NEXT) | instid1(VALU_DEP_2)
	v_lshl_add_u32 v150, v150, 23, 0x3b800000
	v_cndmask_b32_e32 v149, v149, v151, vcc_lo
	v_and_b32_e32 v151, 0x80000000, v161
	s_delay_alu instid0(VALU_DEP_2) | instskip(NEXT) | instid1(VALU_DEP_1)
	v_lshlrev_b32_e32 v149, 20, v149
	v_or3_b32 v149, v151, v150, v149
.LBB6_5684:                             ;   in Loop: Header=BB6_5432 Depth=2
	s_or_b32 exec_lo, exec_lo, s24
	s_delay_alu instid0(VALU_DEP_1) | instskip(SKIP_1) | instid1(VALU_DEP_1)
	v_max_f32_e32 v149, v149, v149
	v_max_f32_e32 v49, v49, v49
	v_min_f32_e32 v149, v49, v149
.LBB6_5685:                             ;   in Loop: Header=BB6_5432 Depth=2
	s_delay_alu instid0(VALU_DEP_1) | instskip(NEXT) | instid1(VALU_DEP_1)
	v_and_b32_e32 v49, 0x7f800000, v149
	v_cmp_ne_u32_e32 vcc_lo, 0x7f800000, v49
	v_mov_b32_e32 v49, 0x80
	s_and_saveexec_b32 s24, vcc_lo
	s_cbranch_execz .LBB6_5693
; %bb.5686:                             ;   in Loop: Header=BB6_5432 Depth=2
	v_mov_b32_e32 v49, 0
	s_mov_b32 s25, exec_lo
	v_cmpx_ne_u32_e32 0, v149
	s_cbranch_execz .LBB6_5692
; %bb.5687:                             ;   in Loop: Header=BB6_5432 Depth=2
	v_bfe_u32 v49, v149, 23, 8
	s_delay_alu instid0(VALU_DEP_1) | instskip(SKIP_1) | instid1(VALU_DEP_2)
	v_sub_nc_u32_e32 v151, 0x78, v49
	v_cmp_gt_u32_e32 vcc_lo, 0x79, v49
	v_dual_cndmask_b32 v151, 0, v151 :: v_dual_and_b32 v150, 0x7fffff, v149
	s_delay_alu instid0(VALU_DEP_1) | instskip(SKIP_2) | instid1(VALU_DEP_4)
	v_or_b32_e32 v160, 0x800000, v150
	v_cmp_eq_u32_e32 vcc_lo, 0, v49
	v_add_nc_u32_e32 v49, 0xffffff89, v49
	v_cndmask_b32_e64 v151, v151, 0x77, vcc_lo
	s_delay_alu instid0(VALU_DEP_4) | instskip(NEXT) | instid1(VALU_DEP_3)
	v_cndmask_b32_e32 v150, v160, v150, vcc_lo
	v_cndmask_b32_e64 v49, v49, 0xffffff8a, vcc_lo
	s_delay_alu instid0(VALU_DEP_3) | instskip(NEXT) | instid1(VALU_DEP_3)
	v_lshl_add_u32 v160, 0x100000, v151, -1
	v_lshrrev_b32_e32 v161, v151, v150
	v_lshlrev_b32_e64 v163, v151, 0x80000
	s_delay_alu instid0(VALU_DEP_4) | instskip(NEXT) | instid1(VALU_DEP_4)
	v_add_nc_u32_e32 v151, v151, v49
	v_and_b32_e32 v150, v160, v150
	s_delay_alu instid0(VALU_DEP_4) | instskip(NEXT) | instid1(VALU_DEP_2)
	v_bfe_u32 v162, v161, 20, 1
	v_cmp_eq_u32_e64 s7, v150, v163
	s_delay_alu instid0(VALU_DEP_2) | instskip(NEXT) | instid1(VALU_DEP_1)
	v_add_nc_u32_e32 v160, -1, v162
	v_cndmask_b32_e64 v150, 0, v160, s7
	v_lshrrev_b32_e32 v160, 23, v161
	s_mov_b32 s7, exec_lo
	s_delay_alu instid0(VALU_DEP_2) | instskip(NEXT) | instid1(VALU_DEP_2)
	v_add_nc_u32_e32 v150, v150, v161
	v_xor_b32_e32 v160, 1, v160
	s_delay_alu instid0(VALU_DEP_2) | instskip(NEXT) | instid1(VALU_DEP_1)
	v_and_b32_e32 v49, 0xfffff, v150
	v_add_nc_u32_e32 v150, v49, v161
                                        ; implicit-def: $vgpr49
	s_delay_alu instid0(VALU_DEP_3)
	v_cmpx_ne_u32_e64 v151, v160
	s_xor_b32 s7, exec_lo, s7
; %bb.5688:                             ;   in Loop: Header=BB6_5432 Depth=2
	s_delay_alu instid0(VALU_DEP_2) | instskip(SKIP_2) | instid1(VALU_DEP_2)
	v_cmp_lt_u32_e32 vcc_lo, 0xffffff, v150
	v_sub_nc_u32_e32 v49, v151, v160
	v_cndmask_b32_e64 v151, 0, 1, vcc_lo
	v_add_co_ci_u32_e32 v49, vcc_lo, 0, v49, vcc_lo
	s_delay_alu instid0(VALU_DEP_2)
	v_lshrrev_b32_e32 v150, v151, v150
; %bb.5689:                             ;   in Loop: Header=BB6_5432 Depth=2
	s_and_not1_saveexec_b32 s7, s7
; %bb.5690:                             ;   in Loop: Header=BB6_5432 Depth=2
	s_delay_alu instid0(VALU_DEP_1)
	v_bfe_u32 v49, v150, 23, 1
; %bb.5691:                             ;   in Loop: Header=BB6_5432 Depth=2
	s_or_b32 exec_lo, exec_lo, s7
	v_lshrrev_b32_e32 v150, 20, v150
	s_delay_alu instid0(VALU_DEP_2) | instskip(SKIP_2) | instid1(VALU_DEP_2)
	v_cmp_gt_i32_e32 vcc_lo, 16, v49
	v_lshrrev_b32_e32 v149, 24, v149
	v_min_i32_e32 v151, 15, v49
	v_dual_cndmask_b32 v150, 7, v150 :: v_dual_and_b32 v149, 0x80, v149
	s_delay_alu instid0(VALU_DEP_2) | instskip(NEXT) | instid1(VALU_DEP_2)
	v_lshlrev_b32_e32 v151, 3, v151
	v_or_b32_e32 v49, v49, v150
	s_delay_alu instid0(VALU_DEP_1) | instskip(SKIP_1) | instid1(VALU_DEP_1)
	v_cmp_ne_u32_e32 vcc_lo, 0, v49
	v_and_b32_e32 v160, 7, v150
	v_or3_b32 v149, v151, v149, v160
	s_delay_alu instid0(VALU_DEP_1)
	v_cndmask_b32_e32 v49, 0, v149, vcc_lo
.LBB6_5692:                             ;   in Loop: Header=BB6_5432 Depth=2
	s_or_b32 exec_lo, exec_lo, s25
.LBB6_5693:                             ;   in Loop: Header=BB6_5432 Depth=2
	s_delay_alu instid0(SALU_CYCLE_1)
	s_or_b32 exec_lo, exec_lo, s24
	v_lshrrev_b16 v150, 8, v50
	v_lshrrev_b16 v149, 8, v38
	s_and_b32 vcc_lo, exec_lo, s23
	s_cbranch_vccz .LBB6_5703
; %bb.5694:                             ;   in Loop: Header=BB6_5432 Depth=2
	s_mov_b32 s7, 0
	s_mov_b32 s25, exec_lo
                                        ; implicit-def: $sgpr24
	v_cmpx_lt_i16_e64 0x7f, v150
	s_xor_b32 s25, exec_lo, s25
	s_cbranch_execnz .LBB6_7430
; %bb.5695:                             ;   in Loop: Header=BB6_5432 Depth=2
	s_or_saveexec_b32 s25, s25
	v_mov_b32_e32 v151, s24
	s_xor_b32 exec_lo, exec_lo, s25
	s_cbranch_execnz .LBB6_7433
.LBB6_5696:                             ;   in Loop: Header=BB6_5432 Depth=2
	s_or_b32 exec_lo, exec_lo, s25
	s_and_saveexec_b32 s24, s7
	s_cbranch_execz .LBB6_5698
.LBB6_5697:                             ;   in Loop: Header=BB6_5432 Depth=2
	v_and_b32_e32 v151, 0xffff, v150
	v_lshlrev_b32_e32 v163, 16, v50
	s_delay_alu instid0(VALU_DEP_2) | instskip(NEXT) | instid1(VALU_DEP_1)
	v_and_b32_e32 v160, 7, v151
	v_clz_i32_u32_e32 v161, v160
	s_delay_alu instid0(VALU_DEP_1) | instskip(NEXT) | instid1(VALU_DEP_1)
	v_min_u32_e32 v161, 32, v161
	v_subrev_nc_u32_e32 v162, 28, v161
	v_sub_nc_u32_e32 v161, 29, v161
	s_delay_alu instid0(VALU_DEP_2) | instskip(SKIP_1) | instid1(VALU_DEP_2)
	v_lshlrev_b32_e32 v162, v162, v151
	v_bfe_u32 v151, v151, 3, 4
	v_and_b32_e32 v162, 7, v162
	s_delay_alu instid0(VALU_DEP_2) | instskip(NEXT) | instid1(VALU_DEP_2)
	v_cmp_eq_u32_e32 vcc_lo, 0, v151
	v_dual_cndmask_b32 v151, v151, v161 :: v_dual_cndmask_b32 v160, v160, v162
	v_and_b32_e32 v161, 0x80000000, v163
	s_delay_alu instid0(VALU_DEP_2) | instskip(NEXT) | instid1(VALU_DEP_3)
	v_lshl_add_u32 v151, v151, 23, 0x3b800000
	v_lshlrev_b32_e32 v160, 20, v160
	s_delay_alu instid0(VALU_DEP_1)
	v_or3_b32 v151, v161, v151, v160
.LBB6_5698:                             ;   in Loop: Header=BB6_5432 Depth=2
	s_or_b32 exec_lo, exec_lo, s24
	s_mov_b32 s7, 0
	s_mov_b32 s25, exec_lo
                                        ; implicit-def: $sgpr24
	v_cmpx_lt_i16_e64 0x7f, v149
	s_xor_b32 s25, exec_lo, s25
	s_cbranch_execnz .LBB6_7434
; %bb.5699:                             ;   in Loop: Header=BB6_5432 Depth=2
	s_or_saveexec_b32 s25, s25
	v_mov_b32_e32 v160, s24
	s_xor_b32 exec_lo, exec_lo, s25
	s_cbranch_execnz .LBB6_7437
.LBB6_5700:                             ;   in Loop: Header=BB6_5432 Depth=2
	s_or_b32 exec_lo, exec_lo, s25
	s_and_saveexec_b32 s24, s7
	s_cbranch_execz .LBB6_5702
.LBB6_5701:                             ;   in Loop: Header=BB6_5432 Depth=2
	v_and_b32_e32 v160, 0xffff, v149
	v_lshlrev_b32_e32 v164, 16, v38
	s_delay_alu instid0(VALU_DEP_2) | instskip(NEXT) | instid1(VALU_DEP_1)
	v_and_b32_e32 v161, 7, v160
	v_clz_i32_u32_e32 v162, v161
	s_delay_alu instid0(VALU_DEP_1) | instskip(NEXT) | instid1(VALU_DEP_1)
	v_min_u32_e32 v162, 32, v162
	v_subrev_nc_u32_e32 v163, 28, v162
	v_sub_nc_u32_e32 v162, 29, v162
	s_delay_alu instid0(VALU_DEP_2) | instskip(SKIP_1) | instid1(VALU_DEP_2)
	v_lshlrev_b32_e32 v163, v163, v160
	v_bfe_u32 v160, v160, 3, 4
	v_and_b32_e32 v163, 7, v163
	s_delay_alu instid0(VALU_DEP_2) | instskip(NEXT) | instid1(VALU_DEP_2)
	v_cmp_eq_u32_e32 vcc_lo, 0, v160
	v_dual_cndmask_b32 v160, v160, v162 :: v_dual_cndmask_b32 v161, v161, v163
	v_and_b32_e32 v162, 0x80000000, v164
	s_delay_alu instid0(VALU_DEP_2) | instskip(NEXT) | instid1(VALU_DEP_3)
	v_lshl_add_u32 v160, v160, 23, 0x3b800000
	v_lshlrev_b32_e32 v161, 20, v161
	s_delay_alu instid0(VALU_DEP_1)
	v_or3_b32 v160, v162, v160, v161
.LBB6_5702:                             ;   in Loop: Header=BB6_5432 Depth=2
	s_or_b32 exec_lo, exec_lo, s24
	s_delay_alu instid0(VALU_DEP_1) | instskip(SKIP_1) | instid1(VALU_DEP_1)
	v_dual_max_f32 v160, v160, v160 :: v_dual_max_f32 v151, v151, v151
	s_mov_b32 s7, 0
	v_max_f32_e32 v151, v151, v160
	s_branch .LBB6_5704
.LBB6_5703:                             ;   in Loop: Header=BB6_5432 Depth=2
	s_mov_b32 s7, -1
                                        ; implicit-def: $vgpr151
.LBB6_5704:                             ;   in Loop: Header=BB6_5432 Depth=2
	s_delay_alu instid0(SALU_CYCLE_1)
	s_and_b32 vcc_lo, exec_lo, s7
	s_cbranch_vccz .LBB6_5714
; %bb.5705:                             ;   in Loop: Header=BB6_5432 Depth=2
	s_mov_b32 s7, 0
	s_mov_b32 s25, exec_lo
                                        ; implicit-def: $sgpr24
	v_cmpx_lt_i16_e64 0x7f, v150
	s_xor_b32 s25, exec_lo, s25
	s_cbranch_execnz .LBB6_7438
; %bb.5706:                             ;   in Loop: Header=BB6_5432 Depth=2
	s_or_saveexec_b32 s25, s25
	v_mov_b32_e32 v151, s24
	s_xor_b32 exec_lo, exec_lo, s25
	s_cbranch_execnz .LBB6_7441
.LBB6_5707:                             ;   in Loop: Header=BB6_5432 Depth=2
	s_or_b32 exec_lo, exec_lo, s25
	s_and_saveexec_b32 s24, s7
	s_cbranch_execz .LBB6_5709
.LBB6_5708:                             ;   in Loop: Header=BB6_5432 Depth=2
	v_and_b32_e32 v150, 0xffff, v150
	v_lshlrev_b32_e32 v162, 16, v50
	s_delay_alu instid0(VALU_DEP_2) | instskip(NEXT) | instid1(VALU_DEP_1)
	v_and_b32_e32 v151, 7, v150
	v_clz_i32_u32_e32 v160, v151
	s_delay_alu instid0(VALU_DEP_1) | instskip(NEXT) | instid1(VALU_DEP_1)
	v_min_u32_e32 v160, 32, v160
	v_subrev_nc_u32_e32 v161, 28, v160
	v_sub_nc_u32_e32 v160, 29, v160
	s_delay_alu instid0(VALU_DEP_2) | instskip(SKIP_1) | instid1(VALU_DEP_2)
	v_lshlrev_b32_e32 v161, v161, v150
	v_bfe_u32 v150, v150, 3, 4
	v_and_b32_e32 v161, 7, v161
	s_delay_alu instid0(VALU_DEP_2) | instskip(NEXT) | instid1(VALU_DEP_2)
	v_cmp_eq_u32_e32 vcc_lo, 0, v150
	v_dual_cndmask_b32 v150, v150, v160 :: v_dual_cndmask_b32 v151, v151, v161
	v_and_b32_e32 v160, 0x80000000, v162
	s_delay_alu instid0(VALU_DEP_2) | instskip(NEXT) | instid1(VALU_DEP_3)
	v_lshl_add_u32 v150, v150, 23, 0x3b800000
	v_lshlrev_b32_e32 v151, 20, v151
	s_delay_alu instid0(VALU_DEP_1)
	v_or3_b32 v151, v160, v150, v151
.LBB6_5709:                             ;   in Loop: Header=BB6_5432 Depth=2
	s_or_b32 exec_lo, exec_lo, s24
	s_mov_b32 s7, 0
	s_mov_b32 s25, exec_lo
                                        ; implicit-def: $sgpr24
	v_cmpx_lt_i16_e64 0x7f, v149
	s_xor_b32 s25, exec_lo, s25
	s_cbranch_execnz .LBB6_7442
; %bb.5710:                             ;   in Loop: Header=BB6_5432 Depth=2
	s_or_saveexec_b32 s25, s25
	v_mov_b32_e32 v150, s24
	s_xor_b32 exec_lo, exec_lo, s25
	s_cbranch_execnz .LBB6_7445
.LBB6_5711:                             ;   in Loop: Header=BB6_5432 Depth=2
	s_or_b32 exec_lo, exec_lo, s25
	s_and_saveexec_b32 s24, s7
	s_cbranch_execz .LBB6_5713
.LBB6_5712:                             ;   in Loop: Header=BB6_5432 Depth=2
	v_and_b32_e32 v149, 0xffff, v149
	v_lshlrev_b32_e32 v162, 16, v38
	s_delay_alu instid0(VALU_DEP_2) | instskip(NEXT) | instid1(VALU_DEP_1)
	v_and_b32_e32 v150, 7, v149
	v_clz_i32_u32_e32 v160, v150
	s_delay_alu instid0(VALU_DEP_1) | instskip(NEXT) | instid1(VALU_DEP_1)
	v_min_u32_e32 v160, 32, v160
	v_subrev_nc_u32_e32 v161, 28, v160
	v_sub_nc_u32_e32 v160, 29, v160
	s_delay_alu instid0(VALU_DEP_2) | instskip(SKIP_1) | instid1(VALU_DEP_2)
	v_lshlrev_b32_e32 v161, v161, v149
	v_bfe_u32 v149, v149, 3, 4
	v_and_b32_e32 v161, 7, v161
	s_delay_alu instid0(VALU_DEP_2) | instskip(NEXT) | instid1(VALU_DEP_2)
	v_cmp_eq_u32_e32 vcc_lo, 0, v149
	v_dual_cndmask_b32 v149, v149, v160 :: v_dual_cndmask_b32 v150, v150, v161
	v_and_b32_e32 v160, 0x80000000, v162
	s_delay_alu instid0(VALU_DEP_2) | instskip(NEXT) | instid1(VALU_DEP_3)
	v_lshl_add_u32 v149, v149, 23, 0x3b800000
	v_lshlrev_b32_e32 v150, 20, v150
	s_delay_alu instid0(VALU_DEP_1)
	v_or3_b32 v150, v160, v149, v150
.LBB6_5713:                             ;   in Loop: Header=BB6_5432 Depth=2
	s_or_b32 exec_lo, exec_lo, s24
	s_delay_alu instid0(VALU_DEP_1) | instskip(NEXT) | instid1(VALU_DEP_1)
	v_dual_max_f32 v149, v150, v150 :: v_dual_max_f32 v150, v151, v151
	v_min_f32_e32 v151, v150, v149
.LBB6_5714:                             ;   in Loop: Header=BB6_5432 Depth=2
	s_delay_alu instid0(VALU_DEP_1) | instskip(NEXT) | instid1(VALU_DEP_1)
	v_and_b32_e32 v149, 0x7f800000, v151
	v_cmp_ne_u32_e32 vcc_lo, 0x7f800000, v149
	v_mov_b32_e32 v149, 0x80
	s_and_saveexec_b32 s24, vcc_lo
	s_cbranch_execz .LBB6_5722
; %bb.5715:                             ;   in Loop: Header=BB6_5432 Depth=2
	v_mov_b32_e32 v149, 0
	s_mov_b32 s25, exec_lo
	v_cmpx_ne_u32_e32 0, v151
	s_cbranch_execz .LBB6_5721
; %bb.5716:                             ;   in Loop: Header=BB6_5432 Depth=2
	v_bfe_u32 v149, v151, 23, 8
	v_and_b32_e32 v150, 0x7fffff, v151
	s_delay_alu instid0(VALU_DEP_2) | instskip(SKIP_1) | instid1(VALU_DEP_3)
	v_sub_nc_u32_e32 v160, 0x78, v149
	v_cmp_gt_u32_e32 vcc_lo, 0x79, v149
	v_or_b32_e32 v161, 0x800000, v150
	s_delay_alu instid0(VALU_DEP_3) | instskip(SKIP_2) | instid1(VALU_DEP_3)
	v_cndmask_b32_e32 v160, 0, v160, vcc_lo
	v_cmp_eq_u32_e32 vcc_lo, 0, v149
	v_add_nc_u32_e32 v149, 0xffffff89, v149
	v_cndmask_b32_e64 v160, v160, 0x77, vcc_lo
	v_cndmask_b32_e32 v150, v161, v150, vcc_lo
	s_delay_alu instid0(VALU_DEP_3) | instskip(NEXT) | instid1(VALU_DEP_3)
	v_cndmask_b32_e64 v149, v149, 0xffffff8a, vcc_lo
	v_lshl_add_u32 v161, 0x100000, v160, -1
	s_delay_alu instid0(VALU_DEP_3) | instskip(SKIP_1) | instid1(VALU_DEP_4)
	v_lshrrev_b32_e32 v162, v160, v150
	v_lshlrev_b32_e64 v164, v160, 0x80000
	v_add_nc_u32_e32 v160, v160, v149
	s_delay_alu instid0(VALU_DEP_4) | instskip(NEXT) | instid1(VALU_DEP_4)
	v_and_b32_e32 v150, v161, v150
	v_bfe_u32 v163, v162, 20, 1
	s_delay_alu instid0(VALU_DEP_2) | instskip(NEXT) | instid1(VALU_DEP_2)
	v_cmp_eq_u32_e64 s7, v150, v164
	v_add_nc_u32_e32 v161, -1, v163
	s_delay_alu instid0(VALU_DEP_1) | instskip(SKIP_2) | instid1(VALU_DEP_2)
	v_cndmask_b32_e64 v150, 0, v161, s7
	v_lshrrev_b32_e32 v161, 23, v162
	s_mov_b32 s7, exec_lo
	v_add_nc_u32_e32 v150, v150, v162
	s_delay_alu instid0(VALU_DEP_2) | instskip(NEXT) | instid1(VALU_DEP_2)
	v_xor_b32_e32 v161, 1, v161
	v_and_b32_e32 v149, 0xfffff, v150
	s_delay_alu instid0(VALU_DEP_1) | instskip(NEXT) | instid1(VALU_DEP_3)
	v_add_nc_u32_e32 v150, v149, v162
                                        ; implicit-def: $vgpr149
	v_cmpx_ne_u32_e64 v160, v161
	s_xor_b32 s7, exec_lo, s7
; %bb.5717:                             ;   in Loop: Header=BB6_5432 Depth=2
	s_delay_alu instid0(VALU_DEP_2) | instskip(SKIP_2) | instid1(VALU_DEP_2)
	v_cmp_lt_u32_e32 vcc_lo, 0xffffff, v150
	v_sub_nc_u32_e32 v149, v160, v161
	v_cndmask_b32_e64 v160, 0, 1, vcc_lo
	v_add_co_ci_u32_e32 v149, vcc_lo, 0, v149, vcc_lo
	s_delay_alu instid0(VALU_DEP_2)
	v_lshrrev_b32_e32 v150, v160, v150
; %bb.5718:                             ;   in Loop: Header=BB6_5432 Depth=2
	s_and_not1_saveexec_b32 s7, s7
; %bb.5719:                             ;   in Loop: Header=BB6_5432 Depth=2
	s_delay_alu instid0(VALU_DEP_1)
	v_bfe_u32 v149, v150, 23, 1
; %bb.5720:                             ;   in Loop: Header=BB6_5432 Depth=2
	s_or_b32 exec_lo, exec_lo, s7
	v_lshrrev_b32_e32 v150, 20, v150
	s_delay_alu instid0(VALU_DEP_2) | instskip(SKIP_2) | instid1(VALU_DEP_2)
	v_cmp_gt_i32_e32 vcc_lo, 16, v149
	v_lshrrev_b32_e32 v151, 24, v151
	v_min_i32_e32 v160, 15, v149
	v_dual_cndmask_b32 v150, 7, v150 :: v_dual_and_b32 v151, 0x80, v151
	s_delay_alu instid0(VALU_DEP_1) | instskip(SKIP_1) | instid1(VALU_DEP_2)
	v_or_b32_e32 v149, v149, v150
	v_and_b32_e32 v161, 7, v150
	v_cmp_ne_u32_e32 vcc_lo, 0, v149
	v_lshlrev_b32_e32 v160, 3, v160
	s_delay_alu instid0(VALU_DEP_1) | instskip(NEXT) | instid1(VALU_DEP_1)
	v_or3_b32 v150, v160, v151, v161
	v_cndmask_b32_e32 v149, 0, v150, vcc_lo
.LBB6_5721:                             ;   in Loop: Header=BB6_5432 Depth=2
	s_or_b32 exec_lo, exec_lo, s25
.LBB6_5722:                             ;   in Loop: Header=BB6_5432 Depth=2
	s_delay_alu instid0(SALU_CYCLE_1)
	s_or_b32 exec_lo, exec_lo, s24
	v_lshrrev_b32_e32 v151, 16, v50
	v_lshrrev_b32_e32 v150, 16, v38
	s_and_b32 vcc_lo, exec_lo, s23
	s_cbranch_vccz .LBB6_5732
; %bb.5723:                             ;   in Loop: Header=BB6_5432 Depth=2
	s_delay_alu instid0(VALU_DEP_2) | instskip(SKIP_2) | instid1(VALU_DEP_1)
	v_and_b32_e32 v161, 0xff, v151
	s_mov_b32 s7, 0
	s_mov_b32 s25, exec_lo
                                        ; implicit-def: $sgpr24
	v_cmpx_lt_i16_e64 0x7f, v161
	s_xor_b32 s25, exec_lo, s25
	s_cbranch_execnz .LBB6_7446
; %bb.5724:                             ;   in Loop: Header=BB6_5432 Depth=2
	s_or_saveexec_b32 s25, s25
	v_mov_b32_e32 v160, s24
	s_xor_b32 exec_lo, exec_lo, s25
	s_cbranch_execnz .LBB6_7449
.LBB6_5725:                             ;   in Loop: Header=BB6_5432 Depth=2
	s_or_b32 exec_lo, exec_lo, s25
	s_and_saveexec_b32 s24, s7
	s_cbranch_execz .LBB6_5727
.LBB6_5726:                             ;   in Loop: Header=BB6_5432 Depth=2
	v_bfe_u32 v160, v50, 16, 3
	v_bfe_u32 v163, v50, 19, 4
	v_lshlrev_b32_e32 v164, 24, v151
	s_delay_alu instid0(VALU_DEP_3) | instskip(NEXT) | instid1(VALU_DEP_3)
	v_clz_i32_u32_e32 v161, v160
	v_cmp_eq_u32_e32 vcc_lo, 0, v163
	s_delay_alu instid0(VALU_DEP_2) | instskip(NEXT) | instid1(VALU_DEP_1)
	v_min_u32_e32 v161, 32, v161
	v_subrev_nc_u32_e32 v162, 28, v161
	v_sub_nc_u32_e32 v161, 29, v161
	s_delay_alu instid0(VALU_DEP_1) | instskip(NEXT) | instid1(VALU_DEP_1)
	v_dual_cndmask_b32 v161, v163, v161 :: v_dual_lshlrev_b32 v162, v162, v151
	v_and_b32_e32 v162, 7, v162
	s_delay_alu instid0(VALU_DEP_2) | instskip(NEXT) | instid1(VALU_DEP_2)
	v_lshl_add_u32 v161, v161, 23, 0x3b800000
	v_cndmask_b32_e32 v160, v160, v162, vcc_lo
	v_and_b32_e32 v162, 0x80000000, v164
	s_delay_alu instid0(VALU_DEP_2) | instskip(NEXT) | instid1(VALU_DEP_1)
	v_lshlrev_b32_e32 v160, 20, v160
	v_or3_b32 v160, v162, v161, v160
.LBB6_5727:                             ;   in Loop: Header=BB6_5432 Depth=2
	s_or_b32 exec_lo, exec_lo, s24
	v_and_b32_e32 v162, 0xff, v150
	s_mov_b32 s7, 0
	s_mov_b32 s25, exec_lo
                                        ; implicit-def: $sgpr24
	s_delay_alu instid0(VALU_DEP_1)
	v_cmpx_lt_i16_e64 0x7f, v162
	s_xor_b32 s25, exec_lo, s25
	s_cbranch_execnz .LBB6_7450
; %bb.5728:                             ;   in Loop: Header=BB6_5432 Depth=2
	s_or_saveexec_b32 s25, s25
	v_mov_b32_e32 v161, s24
	s_xor_b32 exec_lo, exec_lo, s25
	s_cbranch_execnz .LBB6_7453
.LBB6_5729:                             ;   in Loop: Header=BB6_5432 Depth=2
	s_or_b32 exec_lo, exec_lo, s25
	s_and_saveexec_b32 s24, s7
	s_cbranch_execz .LBB6_5731
.LBB6_5730:                             ;   in Loop: Header=BB6_5432 Depth=2
	v_bfe_u32 v161, v38, 16, 3
	v_bfe_u32 v164, v38, 19, 4
	v_lshlrev_b32_e32 v165, 24, v150
	s_delay_alu instid0(VALU_DEP_3) | instskip(NEXT) | instid1(VALU_DEP_3)
	v_clz_i32_u32_e32 v162, v161
	v_cmp_eq_u32_e32 vcc_lo, 0, v164
	s_delay_alu instid0(VALU_DEP_2) | instskip(NEXT) | instid1(VALU_DEP_1)
	v_min_u32_e32 v162, 32, v162
	v_subrev_nc_u32_e32 v163, 28, v162
	v_sub_nc_u32_e32 v162, 29, v162
	s_delay_alu instid0(VALU_DEP_2) | instskip(NEXT) | instid1(VALU_DEP_1)
	v_lshlrev_b32_e32 v163, v163, v150
	v_dual_cndmask_b32 v162, v164, v162 :: v_dual_and_b32 v163, 7, v163
	s_delay_alu instid0(VALU_DEP_1) | instskip(NEXT) | instid1(VALU_DEP_2)
	v_lshl_add_u32 v162, v162, 23, 0x3b800000
	v_cndmask_b32_e32 v161, v161, v163, vcc_lo
	v_and_b32_e32 v163, 0x80000000, v165
	s_delay_alu instid0(VALU_DEP_2) | instskip(NEXT) | instid1(VALU_DEP_1)
	v_lshlrev_b32_e32 v161, 20, v161
	v_or3_b32 v161, v163, v162, v161
.LBB6_5731:                             ;   in Loop: Header=BB6_5432 Depth=2
	s_or_b32 exec_lo, exec_lo, s24
	s_delay_alu instid0(VALU_DEP_1) | instskip(SKIP_1) | instid1(VALU_DEP_1)
	v_dual_max_f32 v161, v161, v161 :: v_dual_max_f32 v160, v160, v160
	s_mov_b32 s7, 0
	v_max_f32_e32 v160, v160, v161
	s_branch .LBB6_5733
.LBB6_5732:                             ;   in Loop: Header=BB6_5432 Depth=2
	s_mov_b32 s7, -1
                                        ; implicit-def: $vgpr160
.LBB6_5733:                             ;   in Loop: Header=BB6_5432 Depth=2
	s_delay_alu instid0(SALU_CYCLE_1)
	s_and_b32 vcc_lo, exec_lo, s7
	s_cbranch_vccz .LBB6_5743
; %bb.5734:                             ;   in Loop: Header=BB6_5432 Depth=2
	v_and_b32_e32 v161, 0xff, v151
	s_mov_b32 s7, 0
	s_mov_b32 s25, exec_lo
                                        ; implicit-def: $sgpr24
	s_delay_alu instid0(VALU_DEP_1)
	v_cmpx_lt_i16_e64 0x7f, v161
	s_xor_b32 s25, exec_lo, s25
	s_cbranch_execnz .LBB6_7454
; %bb.5735:                             ;   in Loop: Header=BB6_5432 Depth=2
	s_or_saveexec_b32 s25, s25
	v_mov_b32_e32 v160, s24
	s_xor_b32 exec_lo, exec_lo, s25
	s_cbranch_execnz .LBB6_7457
.LBB6_5736:                             ;   in Loop: Header=BB6_5432 Depth=2
	s_or_b32 exec_lo, exec_lo, s25
	s_and_saveexec_b32 s24, s7
	s_cbranch_execz .LBB6_5738
.LBB6_5737:                             ;   in Loop: Header=BB6_5432 Depth=2
	v_bfe_u32 v160, v50, 16, 3
	v_bfe_u32 v163, v50, 19, 4
	s_delay_alu instid0(VALU_DEP_2) | instskip(NEXT) | instid1(VALU_DEP_2)
	v_clz_i32_u32_e32 v161, v160
	v_cmp_eq_u32_e32 vcc_lo, 0, v163
	s_delay_alu instid0(VALU_DEP_2) | instskip(NEXT) | instid1(VALU_DEP_1)
	v_min_u32_e32 v161, 32, v161
	v_subrev_nc_u32_e32 v162, 28, v161
	v_sub_nc_u32_e32 v161, 29, v161
	s_delay_alu instid0(VALU_DEP_1) | instskip(NEXT) | instid1(VALU_DEP_1)
	v_dual_cndmask_b32 v161, v163, v161 :: v_dual_lshlrev_b32 v162, v162, v151
	v_and_b32_e32 v162, 7, v162
	v_lshlrev_b32_e32 v151, 24, v151
	s_delay_alu instid0(VALU_DEP_3) | instskip(NEXT) | instid1(VALU_DEP_2)
	v_lshl_add_u32 v161, v161, 23, 0x3b800000
	v_dual_cndmask_b32 v160, v160, v162 :: v_dual_and_b32 v151, 0x80000000, v151
	s_delay_alu instid0(VALU_DEP_1) | instskip(NEXT) | instid1(VALU_DEP_1)
	v_lshlrev_b32_e32 v160, 20, v160
	v_or3_b32 v160, v151, v161, v160
.LBB6_5738:                             ;   in Loop: Header=BB6_5432 Depth=2
	s_or_b32 exec_lo, exec_lo, s24
	v_and_b32_e32 v161, 0xff, v150
	s_mov_b32 s7, 0
	s_mov_b32 s25, exec_lo
                                        ; implicit-def: $sgpr24
	s_delay_alu instid0(VALU_DEP_1)
	v_cmpx_lt_i16_e64 0x7f, v161
	s_xor_b32 s25, exec_lo, s25
	s_cbranch_execnz .LBB6_7458
; %bb.5739:                             ;   in Loop: Header=BB6_5432 Depth=2
	s_or_saveexec_b32 s25, s25
	v_mov_b32_e32 v151, s24
	s_xor_b32 exec_lo, exec_lo, s25
	s_cbranch_execnz .LBB6_7461
.LBB6_5740:                             ;   in Loop: Header=BB6_5432 Depth=2
	s_or_b32 exec_lo, exec_lo, s25
	s_and_saveexec_b32 s24, s7
	s_cbranch_execz .LBB6_5742
.LBB6_5741:                             ;   in Loop: Header=BB6_5432 Depth=2
	v_bfe_u32 v151, v38, 16, 3
	v_bfe_u32 v163, v38, 19, 4
	s_delay_alu instid0(VALU_DEP_2) | instskip(NEXT) | instid1(VALU_DEP_2)
	v_clz_i32_u32_e32 v161, v151
	v_cmp_eq_u32_e32 vcc_lo, 0, v163
	s_delay_alu instid0(VALU_DEP_2) | instskip(NEXT) | instid1(VALU_DEP_1)
	v_min_u32_e32 v161, 32, v161
	v_subrev_nc_u32_e32 v162, 28, v161
	v_sub_nc_u32_e32 v161, 29, v161
	s_delay_alu instid0(VALU_DEP_1) | instskip(SKIP_1) | instid1(VALU_DEP_2)
	v_dual_cndmask_b32 v161, v163, v161 :: v_dual_lshlrev_b32 v162, v162, v150
	v_lshlrev_b32_e32 v150, 24, v150
	v_and_b32_e32 v162, 7, v162
	s_delay_alu instid0(VALU_DEP_3) | instskip(NEXT) | instid1(VALU_DEP_3)
	v_lshl_add_u32 v161, v161, 23, 0x3b800000
	v_and_b32_e32 v150, 0x80000000, v150
	s_delay_alu instid0(VALU_DEP_3) | instskip(NEXT) | instid1(VALU_DEP_1)
	v_cndmask_b32_e32 v151, v151, v162, vcc_lo
	v_lshlrev_b32_e32 v151, 20, v151
	s_delay_alu instid0(VALU_DEP_1)
	v_or3_b32 v151, v150, v161, v151
.LBB6_5742:                             ;   in Loop: Header=BB6_5432 Depth=2
	s_or_b32 exec_lo, exec_lo, s24
	s_delay_alu instid0(VALU_DEP_1) | instskip(NEXT) | instid1(VALU_DEP_1)
	v_dual_max_f32 v150, v151, v151 :: v_dual_max_f32 v151, v160, v160
	v_min_f32_e32 v160, v151, v150
.LBB6_5743:                             ;   in Loop: Header=BB6_5432 Depth=2
	s_delay_alu instid0(VALU_DEP_1) | instskip(NEXT) | instid1(VALU_DEP_1)
	v_and_b32_e32 v150, 0x7f800000, v160
	v_cmp_ne_u32_e32 vcc_lo, 0x7f800000, v150
	v_mov_b32_e32 v150, 0x80
	s_and_saveexec_b32 s24, vcc_lo
	s_cbranch_execz .LBB6_5751
; %bb.5744:                             ;   in Loop: Header=BB6_5432 Depth=2
	v_mov_b32_e32 v150, 0
	s_mov_b32 s25, exec_lo
	v_cmpx_ne_u32_e32 0, v160
	s_cbranch_execz .LBB6_5750
; %bb.5745:                             ;   in Loop: Header=BB6_5432 Depth=2
	v_bfe_u32 v150, v160, 23, 8
	v_and_b32_e32 v151, 0x7fffff, v160
	s_delay_alu instid0(VALU_DEP_2) | instskip(SKIP_1) | instid1(VALU_DEP_3)
	v_sub_nc_u32_e32 v161, 0x78, v150
	v_cmp_gt_u32_e32 vcc_lo, 0x79, v150
	v_or_b32_e32 v162, 0x800000, v151
	s_delay_alu instid0(VALU_DEP_3) | instskip(SKIP_2) | instid1(VALU_DEP_3)
	v_cndmask_b32_e32 v161, 0, v161, vcc_lo
	v_cmp_eq_u32_e32 vcc_lo, 0, v150
	v_add_nc_u32_e32 v150, 0xffffff89, v150
	v_cndmask_b32_e64 v161, v161, 0x77, vcc_lo
	v_cndmask_b32_e32 v151, v162, v151, vcc_lo
	s_delay_alu instid0(VALU_DEP_3) | instskip(NEXT) | instid1(VALU_DEP_3)
	v_cndmask_b32_e64 v150, v150, 0xffffff8a, vcc_lo
	v_lshl_add_u32 v162, 0x100000, v161, -1
	s_delay_alu instid0(VALU_DEP_3) | instskip(SKIP_1) | instid1(VALU_DEP_4)
	v_lshrrev_b32_e32 v163, v161, v151
	v_lshlrev_b32_e64 v165, v161, 0x80000
	v_add_nc_u32_e32 v161, v161, v150
	s_delay_alu instid0(VALU_DEP_4) | instskip(NEXT) | instid1(VALU_DEP_4)
	v_and_b32_e32 v151, v162, v151
	v_bfe_u32 v164, v163, 20, 1
	s_delay_alu instid0(VALU_DEP_2) | instskip(NEXT) | instid1(VALU_DEP_2)
	v_cmp_eq_u32_e64 s7, v151, v165
	v_add_nc_u32_e32 v162, -1, v164
	s_delay_alu instid0(VALU_DEP_1) | instskip(SKIP_2) | instid1(VALU_DEP_2)
	v_cndmask_b32_e64 v151, 0, v162, s7
	v_lshrrev_b32_e32 v162, 23, v163
	s_mov_b32 s7, exec_lo
	v_add_nc_u32_e32 v151, v151, v163
	s_delay_alu instid0(VALU_DEP_2) | instskip(NEXT) | instid1(VALU_DEP_2)
	v_xor_b32_e32 v162, 1, v162
	v_and_b32_e32 v150, 0xfffff, v151
	s_delay_alu instid0(VALU_DEP_1) | instskip(NEXT) | instid1(VALU_DEP_3)
	v_add_nc_u32_e32 v151, v150, v163
                                        ; implicit-def: $vgpr150
	v_cmpx_ne_u32_e64 v161, v162
	s_xor_b32 s7, exec_lo, s7
; %bb.5746:                             ;   in Loop: Header=BB6_5432 Depth=2
	s_delay_alu instid0(VALU_DEP_2) | instskip(SKIP_2) | instid1(VALU_DEP_2)
	v_cmp_lt_u32_e32 vcc_lo, 0xffffff, v151
	v_sub_nc_u32_e32 v150, v161, v162
	v_cndmask_b32_e64 v161, 0, 1, vcc_lo
	v_add_co_ci_u32_e32 v150, vcc_lo, 0, v150, vcc_lo
	s_delay_alu instid0(VALU_DEP_2)
	v_lshrrev_b32_e32 v151, v161, v151
; %bb.5747:                             ;   in Loop: Header=BB6_5432 Depth=2
	s_and_not1_saveexec_b32 s7, s7
; %bb.5748:                             ;   in Loop: Header=BB6_5432 Depth=2
	s_delay_alu instid0(VALU_DEP_1)
	v_bfe_u32 v150, v151, 23, 1
; %bb.5749:                             ;   in Loop: Header=BB6_5432 Depth=2
	s_or_b32 exec_lo, exec_lo, s7
	v_lshrrev_b32_e32 v151, 20, v151
	s_delay_alu instid0(VALU_DEP_2) | instskip(SKIP_2) | instid1(VALU_DEP_2)
	v_cmp_gt_i32_e32 vcc_lo, 16, v150
	v_lshrrev_b32_e32 v160, 24, v160
	v_min_i32_e32 v161, 15, v150
	v_dual_cndmask_b32 v151, 7, v151 :: v_dual_and_b32 v160, 0x80, v160
	s_delay_alu instid0(VALU_DEP_1) | instskip(SKIP_1) | instid1(VALU_DEP_2)
	v_or_b32_e32 v150, v150, v151
	v_and_b32_e32 v162, 7, v151
	v_cmp_ne_u32_e32 vcc_lo, 0, v150
	v_lshlrev_b32_e32 v161, 3, v161
	s_delay_alu instid0(VALU_DEP_1) | instskip(NEXT) | instid1(VALU_DEP_1)
	v_or3_b32 v151, v161, v160, v162
	v_cndmask_b32_e32 v150, 0, v151, vcc_lo
.LBB6_5750:                             ;   in Loop: Header=BB6_5432 Depth=2
	s_or_b32 exec_lo, exec_lo, s25
.LBB6_5751:                             ;   in Loop: Header=BB6_5432 Depth=2
	s_delay_alu instid0(SALU_CYCLE_1)
	s_or_b32 exec_lo, exec_lo, s24
	v_lshrrev_b32_e32 v160, 24, v50
	v_lshrrev_b32_e32 v151, 24, v38
	s_and_b32 vcc_lo, exec_lo, s23
	s_cbranch_vccz .LBB6_5761
; %bb.5752:                             ;   in Loop: Header=BB6_5432 Depth=2
	s_mov_b32 s7, 0
	s_mov_b32 s25, exec_lo
                                        ; implicit-def: $sgpr24
	v_cmpx_lt_i16_e64 0x7f, v160
	s_xor_b32 s25, exec_lo, s25
	s_cbranch_execnz .LBB6_7462
; %bb.5753:                             ;   in Loop: Header=BB6_5432 Depth=2
	s_or_saveexec_b32 s25, s25
	v_mov_b32_e32 v161, s24
	s_xor_b32 exec_lo, exec_lo, s25
	s_cbranch_execnz .LBB6_7465
.LBB6_5754:                             ;   in Loop: Header=BB6_5432 Depth=2
	s_or_b32 exec_lo, exec_lo, s25
	s_and_saveexec_b32 s24, s7
	s_cbranch_execz .LBB6_5756
.LBB6_5755:                             ;   in Loop: Header=BB6_5432 Depth=2
	v_bfe_u32 v161, v50, 24, 3
	v_bfe_u32 v164, v50, 27, 4
	s_delay_alu instid0(VALU_DEP_2) | instskip(NEXT) | instid1(VALU_DEP_2)
	v_clz_i32_u32_e32 v162, v161
	v_cmp_eq_u32_e32 vcc_lo, 0, v164
	s_delay_alu instid0(VALU_DEP_2) | instskip(NEXT) | instid1(VALU_DEP_1)
	v_min_u32_e32 v162, 32, v162
	v_subrev_nc_u32_e32 v163, 28, v162
	v_sub_nc_u32_e32 v162, 29, v162
	s_delay_alu instid0(VALU_DEP_1) | instskip(NEXT) | instid1(VALU_DEP_1)
	v_dual_cndmask_b32 v162, v164, v162 :: v_dual_lshlrev_b32 v163, v163, v160
	v_and_b32_e32 v163, 7, v163
	s_delay_alu instid0(VALU_DEP_2) | instskip(NEXT) | instid1(VALU_DEP_2)
	v_lshl_add_u32 v162, v162, 23, 0x3b800000
	v_cndmask_b32_e32 v161, v161, v163, vcc_lo
	v_and_b32_e32 v163, 0x80000000, v50
	s_delay_alu instid0(VALU_DEP_2) | instskip(NEXT) | instid1(VALU_DEP_1)
	v_lshlrev_b32_e32 v161, 20, v161
	v_or3_b32 v161, v163, v162, v161
.LBB6_5756:                             ;   in Loop: Header=BB6_5432 Depth=2
	s_or_b32 exec_lo, exec_lo, s24
	s_mov_b32 s7, 0
	s_mov_b32 s25, exec_lo
                                        ; implicit-def: $sgpr24
	v_cmpx_lt_i16_e64 0x7f, v151
	s_xor_b32 s25, exec_lo, s25
	s_cbranch_execnz .LBB6_7466
; %bb.5757:                             ;   in Loop: Header=BB6_5432 Depth=2
	s_or_saveexec_b32 s25, s25
	v_mov_b32_e32 v162, s24
	s_xor_b32 exec_lo, exec_lo, s25
	s_cbranch_execnz .LBB6_7469
.LBB6_5758:                             ;   in Loop: Header=BB6_5432 Depth=2
	s_or_b32 exec_lo, exec_lo, s25
	s_and_saveexec_b32 s24, s7
	s_cbranch_execz .LBB6_5760
.LBB6_5759:                             ;   in Loop: Header=BB6_5432 Depth=2
	v_bfe_u32 v162, v38, 24, 3
	v_bfe_u32 v165, v38, 27, 4
	s_delay_alu instid0(VALU_DEP_2) | instskip(NEXT) | instid1(VALU_DEP_2)
	v_clz_i32_u32_e32 v163, v162
	v_cmp_eq_u32_e32 vcc_lo, 0, v165
	s_delay_alu instid0(VALU_DEP_2) | instskip(NEXT) | instid1(VALU_DEP_1)
	v_min_u32_e32 v163, 32, v163
	v_subrev_nc_u32_e32 v164, 28, v163
	v_sub_nc_u32_e32 v163, 29, v163
	s_delay_alu instid0(VALU_DEP_2) | instskip(NEXT) | instid1(VALU_DEP_1)
	v_lshlrev_b32_e32 v164, v164, v151
	v_dual_cndmask_b32 v163, v165, v163 :: v_dual_and_b32 v164, 7, v164
	s_delay_alu instid0(VALU_DEP_1) | instskip(NEXT) | instid1(VALU_DEP_2)
	v_lshl_add_u32 v163, v163, 23, 0x3b800000
	v_cndmask_b32_e32 v162, v162, v164, vcc_lo
	v_and_b32_e32 v164, 0x80000000, v38
	s_delay_alu instid0(VALU_DEP_2) | instskip(NEXT) | instid1(VALU_DEP_1)
	v_lshlrev_b32_e32 v162, 20, v162
	v_or3_b32 v162, v164, v163, v162
.LBB6_5760:                             ;   in Loop: Header=BB6_5432 Depth=2
	s_or_b32 exec_lo, exec_lo, s24
	s_delay_alu instid0(VALU_DEP_1) | instskip(SKIP_1) | instid1(VALU_DEP_1)
	v_dual_max_f32 v162, v162, v162 :: v_dual_max_f32 v161, v161, v161
	s_mov_b32 s7, 0
	v_max_f32_e32 v161, v161, v162
	s_branch .LBB6_5762
.LBB6_5761:                             ;   in Loop: Header=BB6_5432 Depth=2
	s_mov_b32 s7, -1
                                        ; implicit-def: $vgpr161
.LBB6_5762:                             ;   in Loop: Header=BB6_5432 Depth=2
	s_delay_alu instid0(SALU_CYCLE_1)
	s_and_b32 vcc_lo, exec_lo, s7
	s_cbranch_vccz .LBB6_5772
; %bb.5763:                             ;   in Loop: Header=BB6_5432 Depth=2
	s_mov_b32 s7, 0
	s_mov_b32 s25, exec_lo
                                        ; implicit-def: $sgpr24
	v_cmpx_lt_i16_e64 0x7f, v160
	s_xor_b32 s25, exec_lo, s25
	s_cbranch_execnz .LBB6_7470
; %bb.5764:                             ;   in Loop: Header=BB6_5432 Depth=2
	s_or_saveexec_b32 s25, s25
	v_mov_b32_e32 v161, s24
	s_xor_b32 exec_lo, exec_lo, s25
	s_cbranch_execnz .LBB6_7473
.LBB6_5765:                             ;   in Loop: Header=BB6_5432 Depth=2
	s_or_b32 exec_lo, exec_lo, s25
	s_and_saveexec_b32 s24, s7
	s_cbranch_execz .LBB6_5767
.LBB6_5766:                             ;   in Loop: Header=BB6_5432 Depth=2
	v_bfe_u32 v161, v50, 24, 3
	s_delay_alu instid0(VALU_DEP_1) | instskip(NEXT) | instid1(VALU_DEP_1)
	v_clz_i32_u32_e32 v162, v161
	v_min_u32_e32 v162, 32, v162
	s_delay_alu instid0(VALU_DEP_1) | instskip(SKIP_1) | instid1(VALU_DEP_2)
	v_subrev_nc_u32_e32 v163, 28, v162
	v_sub_nc_u32_e32 v162, 29, v162
	v_lshlrev_b32_e32 v160, v163, v160
	v_bfe_u32 v163, v50, 27, 4
	v_and_b32_e32 v50, 0x80000000, v50
	s_delay_alu instid0(VALU_DEP_3) | instskip(NEXT) | instid1(VALU_DEP_3)
	v_and_b32_e32 v160, 7, v160
	v_cmp_eq_u32_e32 vcc_lo, 0, v163
	v_cndmask_b32_e32 v162, v163, v162, vcc_lo
	s_delay_alu instid0(VALU_DEP_3) | instskip(NEXT) | instid1(VALU_DEP_2)
	v_cndmask_b32_e32 v160, v161, v160, vcc_lo
	v_lshl_add_u32 v161, v162, 23, 0x3b800000
	s_delay_alu instid0(VALU_DEP_2) | instskip(NEXT) | instid1(VALU_DEP_1)
	v_lshlrev_b32_e32 v160, 20, v160
	v_or3_b32 v161, v50, v161, v160
.LBB6_5767:                             ;   in Loop: Header=BB6_5432 Depth=2
	s_or_b32 exec_lo, exec_lo, s24
	s_mov_b32 s7, 0
	s_mov_b32 s25, exec_lo
                                        ; implicit-def: $sgpr24
	v_cmpx_lt_i16_e64 0x7f, v151
	s_xor_b32 s25, exec_lo, s25
	s_cbranch_execnz .LBB6_7474
; %bb.5768:                             ;   in Loop: Header=BB6_5432 Depth=2
	s_or_saveexec_b32 s25, s25
	v_mov_b32_e32 v50, s24
	s_xor_b32 exec_lo, exec_lo, s25
	s_cbranch_execnz .LBB6_7477
.LBB6_5769:                             ;   in Loop: Header=BB6_5432 Depth=2
	s_or_b32 exec_lo, exec_lo, s25
	s_and_saveexec_b32 s24, s7
	s_cbranch_execz .LBB6_5771
.LBB6_5770:                             ;   in Loop: Header=BB6_5432 Depth=2
	v_bfe_u32 v50, v38, 24, 3
	s_delay_alu instid0(VALU_DEP_1) | instskip(NEXT) | instid1(VALU_DEP_1)
	v_clz_i32_u32_e32 v160, v50
	v_min_u32_e32 v160, 32, v160
	s_delay_alu instid0(VALU_DEP_1) | instskip(SKIP_1) | instid1(VALU_DEP_2)
	v_subrev_nc_u32_e32 v162, 28, v160
	v_sub_nc_u32_e32 v160, 29, v160
	v_lshlrev_b32_e32 v151, v162, v151
	v_bfe_u32 v162, v38, 27, 4
	v_and_b32_e32 v38, 0x80000000, v38
	s_delay_alu instid0(VALU_DEP_2) | instskip(NEXT) | instid1(VALU_DEP_4)
	v_cmp_eq_u32_e32 vcc_lo, 0, v162
	v_dual_cndmask_b32 v160, v162, v160 :: v_dual_and_b32 v151, 7, v151
	s_delay_alu instid0(VALU_DEP_1) | instskip(NEXT) | instid1(VALU_DEP_2)
	v_cndmask_b32_e32 v50, v50, v151, vcc_lo
	v_lshl_add_u32 v151, v160, 23, 0x3b800000
	s_delay_alu instid0(VALU_DEP_2) | instskip(NEXT) | instid1(VALU_DEP_1)
	v_lshlrev_b32_e32 v50, 20, v50
	v_or3_b32 v50, v38, v151, v50
.LBB6_5771:                             ;   in Loop: Header=BB6_5432 Depth=2
	s_or_b32 exec_lo, exec_lo, s24
	s_delay_alu instid0(VALU_DEP_1) | instskip(SKIP_1) | instid1(VALU_DEP_1)
	v_max_f32_e32 v38, v50, v50
	v_max_f32_e32 v50, v161, v161
	v_min_f32_e32 v161, v50, v38
.LBB6_5772:                             ;   in Loop: Header=BB6_5432 Depth=2
	s_delay_alu instid0(VALU_DEP_1) | instskip(NEXT) | instid1(VALU_DEP_1)
	v_and_b32_e32 v38, 0x7f800000, v161
	v_cmp_ne_u32_e32 vcc_lo, 0x7f800000, v38
	v_mov_b32_e32 v38, 0x80
	s_and_saveexec_b32 s24, vcc_lo
	s_cbranch_execz .LBB6_5780
; %bb.5773:                             ;   in Loop: Header=BB6_5432 Depth=2
	v_mov_b32_e32 v38, 0
	s_mov_b32 s25, exec_lo
	v_cmpx_ne_u32_e32 0, v161
	s_cbranch_execz .LBB6_5779
; %bb.5774:                             ;   in Loop: Header=BB6_5432 Depth=2
	v_bfe_u32 v38, v161, 23, 8
	s_delay_alu instid0(VALU_DEP_1) | instskip(SKIP_1) | instid1(VALU_DEP_2)
	v_sub_nc_u32_e32 v151, 0x78, v38
	v_cmp_gt_u32_e32 vcc_lo, 0x79, v38
	v_dual_cndmask_b32 v151, 0, v151 :: v_dual_and_b32 v50, 0x7fffff, v161
	s_delay_alu instid0(VALU_DEP_1) | instskip(SKIP_2) | instid1(VALU_DEP_4)
	v_or_b32_e32 v160, 0x800000, v50
	v_cmp_eq_u32_e32 vcc_lo, 0, v38
	v_add_nc_u32_e32 v38, 0xffffff89, v38
	v_cndmask_b32_e64 v151, v151, 0x77, vcc_lo
	s_delay_alu instid0(VALU_DEP_4) | instskip(NEXT) | instid1(VALU_DEP_3)
	v_cndmask_b32_e32 v50, v160, v50, vcc_lo
	v_cndmask_b32_e64 v38, v38, 0xffffff8a, vcc_lo
	s_delay_alu instid0(VALU_DEP_3) | instskip(NEXT) | instid1(VALU_DEP_3)
	v_lshl_add_u32 v160, 0x100000, v151, -1
	v_lshrrev_b32_e32 v162, v151, v50
	v_lshlrev_b32_e64 v164, v151, 0x80000
	s_delay_alu instid0(VALU_DEP_4) | instskip(NEXT) | instid1(VALU_DEP_4)
	v_add_nc_u32_e32 v151, v151, v38
	v_and_b32_e32 v50, v160, v50
	s_delay_alu instid0(VALU_DEP_4) | instskip(NEXT) | instid1(VALU_DEP_2)
	v_bfe_u32 v163, v162, 20, 1
	v_cmp_eq_u32_e64 s7, v50, v164
	s_delay_alu instid0(VALU_DEP_2) | instskip(NEXT) | instid1(VALU_DEP_1)
	v_add_nc_u32_e32 v160, -1, v163
	v_cndmask_b32_e64 v50, 0, v160, s7
	v_lshrrev_b32_e32 v160, 23, v162
	s_mov_b32 s7, exec_lo
	s_delay_alu instid0(VALU_DEP_2) | instskip(NEXT) | instid1(VALU_DEP_2)
	v_add_nc_u32_e32 v50, v50, v162
	v_xor_b32_e32 v160, 1, v160
	s_delay_alu instid0(VALU_DEP_2) | instskip(NEXT) | instid1(VALU_DEP_1)
	v_and_b32_e32 v38, 0xfffff, v50
	v_add_nc_u32_e32 v50, v38, v162
                                        ; implicit-def: $vgpr38
	s_delay_alu instid0(VALU_DEP_3)
	v_cmpx_ne_u32_e64 v151, v160
	s_xor_b32 s7, exec_lo, s7
; %bb.5775:                             ;   in Loop: Header=BB6_5432 Depth=2
	s_delay_alu instid0(VALU_DEP_2) | instskip(SKIP_2) | instid1(VALU_DEP_2)
	v_cmp_lt_u32_e32 vcc_lo, 0xffffff, v50
	v_sub_nc_u32_e32 v38, v151, v160
	v_cndmask_b32_e64 v151, 0, 1, vcc_lo
	v_add_co_ci_u32_e32 v38, vcc_lo, 0, v38, vcc_lo
	s_delay_alu instid0(VALU_DEP_2)
	v_lshrrev_b32_e32 v50, v151, v50
; %bb.5776:                             ;   in Loop: Header=BB6_5432 Depth=2
	s_and_not1_saveexec_b32 s7, s7
; %bb.5777:                             ;   in Loop: Header=BB6_5432 Depth=2
	s_delay_alu instid0(VALU_DEP_1)
	v_bfe_u32 v38, v50, 23, 1
; %bb.5778:                             ;   in Loop: Header=BB6_5432 Depth=2
	s_or_b32 exec_lo, exec_lo, s7
	v_lshrrev_b32_e32 v50, 20, v50
	s_delay_alu instid0(VALU_DEP_2) | instskip(SKIP_2) | instid1(VALU_DEP_2)
	v_cmp_gt_i32_e32 vcc_lo, 16, v38
	v_lshrrev_b32_e32 v151, 24, v161
	v_min_i32_e32 v160, 15, v38
	v_dual_cndmask_b32 v50, 7, v50 :: v_dual_and_b32 v151, 0x80, v151
	s_delay_alu instid0(VALU_DEP_2) | instskip(NEXT) | instid1(VALU_DEP_2)
	v_lshlrev_b32_e32 v160, 3, v160
	v_and_b32_e32 v161, 7, v50
	v_or_b32_e32 v38, v38, v50
	s_delay_alu instid0(VALU_DEP_2) | instskip(NEXT) | instid1(VALU_DEP_2)
	v_or3_b32 v50, v160, v151, v161
	v_cmp_ne_u32_e32 vcc_lo, 0, v38
	s_delay_alu instid0(VALU_DEP_2)
	v_cndmask_b32_e32 v38, 0, v50, vcc_lo
.LBB6_5779:                             ;   in Loop: Header=BB6_5432 Depth=2
	s_or_b32 exec_lo, exec_lo, s25
.LBB6_5780:                             ;   in Loop: Header=BB6_5432 Depth=2
	s_delay_alu instid0(SALU_CYCLE_1) | instskip(NEXT) | instid1(SALU_CYCLE_1)
	s_or_b32 exec_lo, exec_lo, s24
	s_and_b32 vcc_lo, exec_lo, s23
	s_cbranch_vccz .LBB6_5790
; %bb.5781:                             ;   in Loop: Header=BB6_5432 Depth=2
	v_and_b32_e32 v151, 0xff, v51
	s_mov_b32 s7, 0
	s_mov_b32 s25, exec_lo
                                        ; implicit-def: $sgpr24
	s_delay_alu instid0(VALU_DEP_1)
	v_cmpx_lt_i16_e64 0x7f, v151
	s_xor_b32 s25, exec_lo, s25
	s_cbranch_execnz .LBB6_7478
; %bb.5782:                             ;   in Loop: Header=BB6_5432 Depth=2
	s_or_saveexec_b32 s25, s25
	v_mov_b32_e32 v50, s24
	s_xor_b32 exec_lo, exec_lo, s25
	s_cbranch_execnz .LBB6_7481
.LBB6_5783:                             ;   in Loop: Header=BB6_5432 Depth=2
	s_or_b32 exec_lo, exec_lo, s25
	s_and_saveexec_b32 s24, s7
	s_cbranch_execz .LBB6_5785
.LBB6_5784:                             ;   in Loop: Header=BB6_5432 Depth=2
	v_and_b32_e32 v50, 7, v51
	v_bfe_u32 v161, v51, 3, 4
	v_lshlrev_b32_e32 v162, 24, v51
	s_delay_alu instid0(VALU_DEP_3) | instskip(NEXT) | instid1(VALU_DEP_3)
	v_clz_i32_u32_e32 v151, v50
	v_cmp_eq_u32_e32 vcc_lo, 0, v161
	s_delay_alu instid0(VALU_DEP_2) | instskip(NEXT) | instid1(VALU_DEP_1)
	v_min_u32_e32 v151, 32, v151
	v_subrev_nc_u32_e32 v160, 28, v151
	v_sub_nc_u32_e32 v151, 29, v151
	s_delay_alu instid0(VALU_DEP_2) | instskip(NEXT) | instid1(VALU_DEP_1)
	v_lshlrev_b32_e32 v160, v160, v51
	v_dual_cndmask_b32 v151, v161, v151 :: v_dual_and_b32 v160, 7, v160
	s_delay_alu instid0(VALU_DEP_1) | instskip(NEXT) | instid1(VALU_DEP_2)
	v_lshl_add_u32 v151, v151, 23, 0x3b800000
	v_cndmask_b32_e32 v50, v50, v160, vcc_lo
	v_and_b32_e32 v160, 0x80000000, v162
	s_delay_alu instid0(VALU_DEP_2) | instskip(NEXT) | instid1(VALU_DEP_1)
	v_lshlrev_b32_e32 v50, 20, v50
	v_or3_b32 v50, v160, v151, v50
.LBB6_5785:                             ;   in Loop: Header=BB6_5432 Depth=2
	s_or_b32 exec_lo, exec_lo, s24
	v_and_b32_e32 v160, 0xff, v39
	s_mov_b32 s7, 0
	s_mov_b32 s25, exec_lo
                                        ; implicit-def: $sgpr24
	s_delay_alu instid0(VALU_DEP_1)
	v_cmpx_lt_i16_e64 0x7f, v160
	s_xor_b32 s25, exec_lo, s25
	s_cbranch_execnz .LBB6_7482
; %bb.5786:                             ;   in Loop: Header=BB6_5432 Depth=2
	s_or_saveexec_b32 s25, s25
	v_mov_b32_e32 v151, s24
	s_xor_b32 exec_lo, exec_lo, s25
	s_cbranch_execnz .LBB6_7485
.LBB6_5787:                             ;   in Loop: Header=BB6_5432 Depth=2
	s_or_b32 exec_lo, exec_lo, s25
	s_and_saveexec_b32 s24, s7
	s_cbranch_execz .LBB6_5789
.LBB6_5788:                             ;   in Loop: Header=BB6_5432 Depth=2
	v_bfe_u32 v162, v39, 3, 4
	v_lshlrev_b32_e32 v163, 24, v39
	s_delay_alu instid0(VALU_DEP_2) | instskip(SKIP_1) | instid1(VALU_DEP_1)
	v_cmp_eq_u32_e32 vcc_lo, 0, v162
	v_and_b32_e32 v151, 7, v39
	v_clz_i32_u32_e32 v160, v151
	s_delay_alu instid0(VALU_DEP_1) | instskip(NEXT) | instid1(VALU_DEP_1)
	v_min_u32_e32 v160, 32, v160
	v_subrev_nc_u32_e32 v161, 28, v160
	v_sub_nc_u32_e32 v160, 29, v160
	s_delay_alu instid0(VALU_DEP_1) | instskip(NEXT) | instid1(VALU_DEP_1)
	v_dual_cndmask_b32 v160, v162, v160 :: v_dual_lshlrev_b32 v161, v161, v39
	v_and_b32_e32 v161, 7, v161
	s_delay_alu instid0(VALU_DEP_2) | instskip(NEXT) | instid1(VALU_DEP_2)
	v_lshl_add_u32 v160, v160, 23, 0x3b800000
	v_cndmask_b32_e32 v151, v151, v161, vcc_lo
	v_and_b32_e32 v161, 0x80000000, v163
	s_delay_alu instid0(VALU_DEP_2) | instskip(NEXT) | instid1(VALU_DEP_1)
	v_lshlrev_b32_e32 v151, 20, v151
	v_or3_b32 v151, v161, v160, v151
.LBB6_5789:                             ;   in Loop: Header=BB6_5432 Depth=2
	s_or_b32 exec_lo, exec_lo, s24
	s_delay_alu instid0(VALU_DEP_1) | instskip(SKIP_1) | instid1(VALU_DEP_1)
	v_dual_max_f32 v151, v151, v151 :: v_dual_max_f32 v50, v50, v50
	s_mov_b32 s7, 0
	v_max_f32_e32 v151, v50, v151
	s_branch .LBB6_5791
.LBB6_5790:                             ;   in Loop: Header=BB6_5432 Depth=2
	s_mov_b32 s7, -1
                                        ; implicit-def: $vgpr151
.LBB6_5791:                             ;   in Loop: Header=BB6_5432 Depth=2
	s_delay_alu instid0(SALU_CYCLE_1)
	s_and_b32 vcc_lo, exec_lo, s7
	s_cbranch_vccz .LBB6_5801
; %bb.5792:                             ;   in Loop: Header=BB6_5432 Depth=2
	v_and_b32_e32 v151, 0xff, v51
	s_mov_b32 s7, 0
	s_mov_b32 s25, exec_lo
                                        ; implicit-def: $sgpr24
	s_delay_alu instid0(VALU_DEP_1)
	v_cmpx_lt_i16_e64 0x7f, v151
	s_xor_b32 s25, exec_lo, s25
	s_cbranch_execnz .LBB6_7486
; %bb.5793:                             ;   in Loop: Header=BB6_5432 Depth=2
	s_or_saveexec_b32 s25, s25
	v_mov_b32_e32 v50, s24
	s_xor_b32 exec_lo, exec_lo, s25
	s_cbranch_execnz .LBB6_7489
.LBB6_5794:                             ;   in Loop: Header=BB6_5432 Depth=2
	s_or_b32 exec_lo, exec_lo, s25
	s_and_saveexec_b32 s24, s7
	s_cbranch_execz .LBB6_5796
.LBB6_5795:                             ;   in Loop: Header=BB6_5432 Depth=2
	v_and_b32_e32 v50, 7, v51
	v_bfe_u32 v161, v51, 3, 4
	v_lshlrev_b32_e32 v162, 24, v51
	s_delay_alu instid0(VALU_DEP_3) | instskip(NEXT) | instid1(VALU_DEP_3)
	v_clz_i32_u32_e32 v151, v50
	v_cmp_eq_u32_e32 vcc_lo, 0, v161
	s_delay_alu instid0(VALU_DEP_2) | instskip(NEXT) | instid1(VALU_DEP_1)
	v_min_u32_e32 v151, 32, v151
	v_subrev_nc_u32_e32 v160, 28, v151
	v_sub_nc_u32_e32 v151, 29, v151
	s_delay_alu instid0(VALU_DEP_2) | instskip(NEXT) | instid1(VALU_DEP_1)
	v_lshlrev_b32_e32 v160, v160, v51
	v_dual_cndmask_b32 v151, v161, v151 :: v_dual_and_b32 v160, 7, v160
	s_delay_alu instid0(VALU_DEP_1) | instskip(NEXT) | instid1(VALU_DEP_2)
	v_lshl_add_u32 v151, v151, 23, 0x3b800000
	v_cndmask_b32_e32 v50, v50, v160, vcc_lo
	v_and_b32_e32 v160, 0x80000000, v162
	s_delay_alu instid0(VALU_DEP_2) | instskip(NEXT) | instid1(VALU_DEP_1)
	v_lshlrev_b32_e32 v50, 20, v50
	v_or3_b32 v50, v160, v151, v50
.LBB6_5796:                             ;   in Loop: Header=BB6_5432 Depth=2
	s_or_b32 exec_lo, exec_lo, s24
	v_and_b32_e32 v160, 0xff, v39
	s_mov_b32 s7, 0
	s_mov_b32 s25, exec_lo
                                        ; implicit-def: $sgpr24
	s_delay_alu instid0(VALU_DEP_1)
	v_cmpx_lt_i16_e64 0x7f, v160
	s_xor_b32 s25, exec_lo, s25
	s_cbranch_execnz .LBB6_7490
; %bb.5797:                             ;   in Loop: Header=BB6_5432 Depth=2
	s_or_saveexec_b32 s25, s25
	v_mov_b32_e32 v151, s24
	s_xor_b32 exec_lo, exec_lo, s25
	s_cbranch_execnz .LBB6_7493
.LBB6_5798:                             ;   in Loop: Header=BB6_5432 Depth=2
	s_or_b32 exec_lo, exec_lo, s25
	s_and_saveexec_b32 s24, s7
	s_cbranch_execz .LBB6_5800
.LBB6_5799:                             ;   in Loop: Header=BB6_5432 Depth=2
	v_bfe_u32 v162, v39, 3, 4
	v_lshlrev_b32_e32 v163, 24, v39
	s_delay_alu instid0(VALU_DEP_2) | instskip(SKIP_1) | instid1(VALU_DEP_1)
	v_cmp_eq_u32_e32 vcc_lo, 0, v162
	v_and_b32_e32 v151, 7, v39
	v_clz_i32_u32_e32 v160, v151
	s_delay_alu instid0(VALU_DEP_1) | instskip(NEXT) | instid1(VALU_DEP_1)
	v_min_u32_e32 v160, 32, v160
	v_subrev_nc_u32_e32 v161, 28, v160
	v_sub_nc_u32_e32 v160, 29, v160
	s_delay_alu instid0(VALU_DEP_1) | instskip(NEXT) | instid1(VALU_DEP_1)
	v_dual_cndmask_b32 v160, v162, v160 :: v_dual_lshlrev_b32 v161, v161, v39
	v_and_b32_e32 v161, 7, v161
	s_delay_alu instid0(VALU_DEP_2) | instskip(NEXT) | instid1(VALU_DEP_2)
	v_lshl_add_u32 v160, v160, 23, 0x3b800000
	v_cndmask_b32_e32 v151, v151, v161, vcc_lo
	v_and_b32_e32 v161, 0x80000000, v163
	s_delay_alu instid0(VALU_DEP_2) | instskip(NEXT) | instid1(VALU_DEP_1)
	v_lshlrev_b32_e32 v151, 20, v151
	v_or3_b32 v151, v161, v160, v151
.LBB6_5800:                             ;   in Loop: Header=BB6_5432 Depth=2
	s_or_b32 exec_lo, exec_lo, s24
	s_delay_alu instid0(VALU_DEP_1) | instskip(NEXT) | instid1(VALU_DEP_1)
	v_dual_max_f32 v151, v151, v151 :: v_dual_max_f32 v50, v50, v50
	v_min_f32_e32 v151, v50, v151
.LBB6_5801:                             ;   in Loop: Header=BB6_5432 Depth=2
	s_delay_alu instid0(VALU_DEP_1) | instskip(NEXT) | instid1(VALU_DEP_1)
	v_and_b32_e32 v50, 0x7f800000, v151
	v_cmp_ne_u32_e32 vcc_lo, 0x7f800000, v50
	v_mov_b32_e32 v50, 0x80
	s_and_saveexec_b32 s24, vcc_lo
	s_cbranch_execz .LBB6_5809
; %bb.5802:                             ;   in Loop: Header=BB6_5432 Depth=2
	v_mov_b32_e32 v50, 0
	s_mov_b32 s25, exec_lo
	v_cmpx_ne_u32_e32 0, v151
	s_cbranch_execz .LBB6_5808
; %bb.5803:                             ;   in Loop: Header=BB6_5432 Depth=2
	v_bfe_u32 v50, v151, 23, 8
	s_delay_alu instid0(VALU_DEP_1) | instskip(SKIP_1) | instid1(VALU_DEP_2)
	v_sub_nc_u32_e32 v161, 0x78, v50
	v_cmp_gt_u32_e32 vcc_lo, 0x79, v50
	v_dual_cndmask_b32 v161, 0, v161 :: v_dual_and_b32 v160, 0x7fffff, v151
	s_delay_alu instid0(VALU_DEP_1) | instskip(SKIP_2) | instid1(VALU_DEP_4)
	v_or_b32_e32 v162, 0x800000, v160
	v_cmp_eq_u32_e32 vcc_lo, 0, v50
	v_add_nc_u32_e32 v50, 0xffffff89, v50
	v_cndmask_b32_e64 v161, v161, 0x77, vcc_lo
	s_delay_alu instid0(VALU_DEP_2) | instskip(SKIP_1) | instid1(VALU_DEP_3)
	v_cndmask_b32_e64 v50, v50, 0xffffff8a, vcc_lo
	v_cndmask_b32_e32 v160, v162, v160, vcc_lo
	v_lshl_add_u32 v162, 0x100000, v161, -1
	v_lshlrev_b32_e64 v165, v161, 0x80000
	s_delay_alu instid0(VALU_DEP_3) | instskip(SKIP_1) | instid1(VALU_DEP_4)
	v_lshrrev_b32_e32 v163, v161, v160
	v_add_nc_u32_e32 v161, v161, v50
	v_and_b32_e32 v160, v162, v160
	s_delay_alu instid0(VALU_DEP_3) | instskip(NEXT) | instid1(VALU_DEP_2)
	v_bfe_u32 v164, v163, 20, 1
	v_cmp_eq_u32_e64 s7, v160, v165
	s_delay_alu instid0(VALU_DEP_2) | instskip(NEXT) | instid1(VALU_DEP_1)
	v_add_nc_u32_e32 v162, -1, v164
	v_cndmask_b32_e64 v160, 0, v162, s7
	v_lshrrev_b32_e32 v162, 23, v163
	s_mov_b32 s7, exec_lo
	s_delay_alu instid0(VALU_DEP_2) | instskip(NEXT) | instid1(VALU_DEP_2)
	v_add_nc_u32_e32 v160, v160, v163
	v_xor_b32_e32 v162, 1, v162
	s_delay_alu instid0(VALU_DEP_2) | instskip(NEXT) | instid1(VALU_DEP_1)
	v_and_b32_e32 v50, 0xfffff, v160
	v_add_nc_u32_e32 v160, v50, v163
                                        ; implicit-def: $vgpr50
	s_delay_alu instid0(VALU_DEP_3)
	v_cmpx_ne_u32_e64 v161, v162
	s_xor_b32 s7, exec_lo, s7
; %bb.5804:                             ;   in Loop: Header=BB6_5432 Depth=2
	s_delay_alu instid0(VALU_DEP_2) | instskip(SKIP_2) | instid1(VALU_DEP_2)
	v_cmp_lt_u32_e32 vcc_lo, 0xffffff, v160
	v_sub_nc_u32_e32 v50, v161, v162
	v_cndmask_b32_e64 v161, 0, 1, vcc_lo
	v_add_co_ci_u32_e32 v50, vcc_lo, 0, v50, vcc_lo
	s_delay_alu instid0(VALU_DEP_2)
	v_lshrrev_b32_e32 v160, v161, v160
; %bb.5805:                             ;   in Loop: Header=BB6_5432 Depth=2
	s_and_not1_saveexec_b32 s7, s7
; %bb.5806:                             ;   in Loop: Header=BB6_5432 Depth=2
	s_delay_alu instid0(VALU_DEP_1)
	v_bfe_u32 v50, v160, 23, 1
; %bb.5807:                             ;   in Loop: Header=BB6_5432 Depth=2
	s_or_b32 exec_lo, exec_lo, s7
	v_lshrrev_b32_e32 v160, 20, v160
	s_delay_alu instid0(VALU_DEP_2) | instskip(SKIP_2) | instid1(VALU_DEP_2)
	v_cmp_gt_i32_e32 vcc_lo, 16, v50
	v_lshrrev_b32_e32 v151, 24, v151
	v_min_i32_e32 v161, 15, v50
	v_dual_cndmask_b32 v160, 7, v160 :: v_dual_and_b32 v151, 0x80, v151
	s_delay_alu instid0(VALU_DEP_1) | instskip(SKIP_1) | instid1(VALU_DEP_2)
	v_or_b32_e32 v50, v50, v160
	v_and_b32_e32 v162, 7, v160
	v_cmp_ne_u32_e32 vcc_lo, 0, v50
	v_lshlrev_b32_e32 v161, 3, v161
	s_delay_alu instid0(VALU_DEP_1) | instskip(NEXT) | instid1(VALU_DEP_1)
	v_or3_b32 v151, v161, v151, v162
	v_cndmask_b32_e32 v50, 0, v151, vcc_lo
.LBB6_5808:                             ;   in Loop: Header=BB6_5432 Depth=2
	s_or_b32 exec_lo, exec_lo, s25
.LBB6_5809:                             ;   in Loop: Header=BB6_5432 Depth=2
	s_delay_alu instid0(SALU_CYCLE_1)
	s_or_b32 exec_lo, exec_lo, s24
	v_lshrrev_b16 v160, 8, v51
	v_lshrrev_b16 v151, 8, v39
	s_and_b32 vcc_lo, exec_lo, s23
	s_cbranch_vccz .LBB6_5819
; %bb.5810:                             ;   in Loop: Header=BB6_5432 Depth=2
	s_mov_b32 s7, 0
	s_mov_b32 s25, exec_lo
                                        ; implicit-def: $sgpr24
	v_cmpx_lt_i16_e64 0x7f, v160
	s_xor_b32 s25, exec_lo, s25
	s_cbranch_execnz .LBB6_7494
; %bb.5811:                             ;   in Loop: Header=BB6_5432 Depth=2
	s_or_saveexec_b32 s25, s25
	v_mov_b32_e32 v161, s24
	s_xor_b32 exec_lo, exec_lo, s25
	s_cbranch_execnz .LBB6_7497
.LBB6_5812:                             ;   in Loop: Header=BB6_5432 Depth=2
	s_or_b32 exec_lo, exec_lo, s25
	s_and_saveexec_b32 s24, s7
	s_cbranch_execz .LBB6_5814
.LBB6_5813:                             ;   in Loop: Header=BB6_5432 Depth=2
	v_and_b32_e32 v161, 0xffff, v160
	s_delay_alu instid0(VALU_DEP_1) | instskip(NEXT) | instid1(VALU_DEP_1)
	v_and_b32_e32 v162, 7, v161
	v_clz_i32_u32_e32 v163, v162
	s_delay_alu instid0(VALU_DEP_1) | instskip(NEXT) | instid1(VALU_DEP_1)
	v_min_u32_e32 v163, 32, v163
	v_subrev_nc_u32_e32 v164, 28, v163
	v_sub_nc_u32_e32 v163, 29, v163
	s_delay_alu instid0(VALU_DEP_2) | instskip(SKIP_1) | instid1(VALU_DEP_2)
	v_lshlrev_b32_e32 v164, v164, v161
	v_bfe_u32 v161, v161, 3, 4
	v_and_b32_e32 v164, 7, v164
	s_delay_alu instid0(VALU_DEP_2) | instskip(SKIP_1) | instid1(VALU_DEP_3)
	v_cmp_eq_u32_e32 vcc_lo, 0, v161
	v_cndmask_b32_e32 v161, v161, v163, vcc_lo
	v_dual_cndmask_b32 v162, v162, v164 :: v_dual_lshlrev_b32 v165, 16, v51
	s_delay_alu instid0(VALU_DEP_2) | instskip(NEXT) | instid1(VALU_DEP_2)
	v_lshl_add_u32 v161, v161, 23, 0x3b800000
	v_and_b32_e32 v163, 0x80000000, v165
	s_delay_alu instid0(VALU_DEP_3) | instskip(NEXT) | instid1(VALU_DEP_1)
	v_lshlrev_b32_e32 v162, 20, v162
	v_or3_b32 v161, v163, v161, v162
.LBB6_5814:                             ;   in Loop: Header=BB6_5432 Depth=2
	s_or_b32 exec_lo, exec_lo, s24
	s_mov_b32 s7, 0
	s_mov_b32 s25, exec_lo
                                        ; implicit-def: $sgpr24
	v_cmpx_lt_i16_e64 0x7f, v151
	s_xor_b32 s25, exec_lo, s25
	s_cbranch_execnz .LBB6_7498
; %bb.5815:                             ;   in Loop: Header=BB6_5432 Depth=2
	s_or_saveexec_b32 s25, s25
	v_mov_b32_e32 v162, s24
	s_xor_b32 exec_lo, exec_lo, s25
	s_cbranch_execnz .LBB6_7501
.LBB6_5816:                             ;   in Loop: Header=BB6_5432 Depth=2
	s_or_b32 exec_lo, exec_lo, s25
	s_and_saveexec_b32 s24, s7
	s_cbranch_execz .LBB6_5818
.LBB6_5817:                             ;   in Loop: Header=BB6_5432 Depth=2
	v_and_b32_e32 v162, 0xffff, v151
	v_lshlrev_b32_e32 v166, 16, v39
	s_delay_alu instid0(VALU_DEP_2) | instskip(NEXT) | instid1(VALU_DEP_1)
	v_and_b32_e32 v163, 7, v162
	v_clz_i32_u32_e32 v164, v163
	s_delay_alu instid0(VALU_DEP_1) | instskip(NEXT) | instid1(VALU_DEP_1)
	v_min_u32_e32 v164, 32, v164
	v_subrev_nc_u32_e32 v165, 28, v164
	v_sub_nc_u32_e32 v164, 29, v164
	s_delay_alu instid0(VALU_DEP_2) | instskip(SKIP_1) | instid1(VALU_DEP_2)
	v_lshlrev_b32_e32 v165, v165, v162
	v_bfe_u32 v162, v162, 3, 4
	v_and_b32_e32 v165, 7, v165
	s_delay_alu instid0(VALU_DEP_2) | instskip(NEXT) | instid1(VALU_DEP_2)
	v_cmp_eq_u32_e32 vcc_lo, 0, v162
	v_dual_cndmask_b32 v162, v162, v164 :: v_dual_cndmask_b32 v163, v163, v165
	v_and_b32_e32 v164, 0x80000000, v166
	s_delay_alu instid0(VALU_DEP_2) | instskip(NEXT) | instid1(VALU_DEP_3)
	v_lshl_add_u32 v162, v162, 23, 0x3b800000
	v_lshlrev_b32_e32 v163, 20, v163
	s_delay_alu instid0(VALU_DEP_1)
	v_or3_b32 v162, v164, v162, v163
.LBB6_5818:                             ;   in Loop: Header=BB6_5432 Depth=2
	s_or_b32 exec_lo, exec_lo, s24
	s_delay_alu instid0(VALU_DEP_1) | instskip(SKIP_1) | instid1(VALU_DEP_1)
	v_dual_max_f32 v162, v162, v162 :: v_dual_max_f32 v161, v161, v161
	s_mov_b32 s7, 0
	v_max_f32_e32 v161, v161, v162
	s_branch .LBB6_5820
.LBB6_5819:                             ;   in Loop: Header=BB6_5432 Depth=2
	s_mov_b32 s7, -1
                                        ; implicit-def: $vgpr161
.LBB6_5820:                             ;   in Loop: Header=BB6_5432 Depth=2
	s_delay_alu instid0(SALU_CYCLE_1)
	s_and_b32 vcc_lo, exec_lo, s7
	s_cbranch_vccz .LBB6_5830
; %bb.5821:                             ;   in Loop: Header=BB6_5432 Depth=2
	s_mov_b32 s7, 0
	s_mov_b32 s25, exec_lo
                                        ; implicit-def: $sgpr24
	v_cmpx_lt_i16_e64 0x7f, v160
	s_xor_b32 s25, exec_lo, s25
	s_cbranch_execnz .LBB6_7502
; %bb.5822:                             ;   in Loop: Header=BB6_5432 Depth=2
	s_or_saveexec_b32 s25, s25
	v_mov_b32_e32 v161, s24
	s_xor_b32 exec_lo, exec_lo, s25
	s_cbranch_execnz .LBB6_7505
.LBB6_5823:                             ;   in Loop: Header=BB6_5432 Depth=2
	s_or_b32 exec_lo, exec_lo, s25
	s_and_saveexec_b32 s24, s7
	s_cbranch_execz .LBB6_5825
.LBB6_5824:                             ;   in Loop: Header=BB6_5432 Depth=2
	v_and_b32_e32 v160, 0xffff, v160
	v_lshlrev_b32_e32 v164, 16, v51
	s_delay_alu instid0(VALU_DEP_2) | instskip(NEXT) | instid1(VALU_DEP_1)
	v_and_b32_e32 v161, 7, v160
	v_clz_i32_u32_e32 v162, v161
	s_delay_alu instid0(VALU_DEP_1) | instskip(NEXT) | instid1(VALU_DEP_1)
	v_min_u32_e32 v162, 32, v162
	v_subrev_nc_u32_e32 v163, 28, v162
	v_sub_nc_u32_e32 v162, 29, v162
	s_delay_alu instid0(VALU_DEP_2) | instskip(SKIP_1) | instid1(VALU_DEP_2)
	v_lshlrev_b32_e32 v163, v163, v160
	v_bfe_u32 v160, v160, 3, 4
	v_and_b32_e32 v163, 7, v163
	s_delay_alu instid0(VALU_DEP_2) | instskip(NEXT) | instid1(VALU_DEP_2)
	v_cmp_eq_u32_e32 vcc_lo, 0, v160
	v_dual_cndmask_b32 v160, v160, v162 :: v_dual_cndmask_b32 v161, v161, v163
	v_and_b32_e32 v162, 0x80000000, v164
	s_delay_alu instid0(VALU_DEP_2) | instskip(NEXT) | instid1(VALU_DEP_3)
	v_lshl_add_u32 v160, v160, 23, 0x3b800000
	v_lshlrev_b32_e32 v161, 20, v161
	s_delay_alu instid0(VALU_DEP_1)
	v_or3_b32 v161, v162, v160, v161
.LBB6_5825:                             ;   in Loop: Header=BB6_5432 Depth=2
	s_or_b32 exec_lo, exec_lo, s24
	s_mov_b32 s7, 0
	s_mov_b32 s25, exec_lo
                                        ; implicit-def: $sgpr24
	v_cmpx_lt_i16_e64 0x7f, v151
	s_xor_b32 s25, exec_lo, s25
	s_cbranch_execnz .LBB6_7506
; %bb.5826:                             ;   in Loop: Header=BB6_5432 Depth=2
	s_or_saveexec_b32 s25, s25
	v_mov_b32_e32 v160, s24
	s_xor_b32 exec_lo, exec_lo, s25
	s_cbranch_execnz .LBB6_7509
.LBB6_5827:                             ;   in Loop: Header=BB6_5432 Depth=2
	s_or_b32 exec_lo, exec_lo, s25
	s_and_saveexec_b32 s24, s7
	s_cbranch_execz .LBB6_5829
.LBB6_5828:                             ;   in Loop: Header=BB6_5432 Depth=2
	v_and_b32_e32 v151, 0xffff, v151
	v_lshlrev_b32_e32 v164, 16, v39
	s_delay_alu instid0(VALU_DEP_2) | instskip(NEXT) | instid1(VALU_DEP_1)
	v_and_b32_e32 v160, 7, v151
	v_clz_i32_u32_e32 v162, v160
	s_delay_alu instid0(VALU_DEP_1) | instskip(NEXT) | instid1(VALU_DEP_1)
	v_min_u32_e32 v162, 32, v162
	v_subrev_nc_u32_e32 v163, 28, v162
	v_sub_nc_u32_e32 v162, 29, v162
	s_delay_alu instid0(VALU_DEP_2) | instskip(SKIP_1) | instid1(VALU_DEP_2)
	v_lshlrev_b32_e32 v163, v163, v151
	v_bfe_u32 v151, v151, 3, 4
	v_and_b32_e32 v163, 7, v163
	s_delay_alu instid0(VALU_DEP_2) | instskip(NEXT) | instid1(VALU_DEP_2)
	v_cmp_eq_u32_e32 vcc_lo, 0, v151
	v_dual_cndmask_b32 v151, v151, v162 :: v_dual_cndmask_b32 v160, v160, v163
	v_and_b32_e32 v162, 0x80000000, v164
	s_delay_alu instid0(VALU_DEP_2) | instskip(NEXT) | instid1(VALU_DEP_3)
	v_lshl_add_u32 v151, v151, 23, 0x3b800000
	v_lshlrev_b32_e32 v160, 20, v160
	s_delay_alu instid0(VALU_DEP_1)
	v_or3_b32 v160, v162, v151, v160
.LBB6_5829:                             ;   in Loop: Header=BB6_5432 Depth=2
	s_or_b32 exec_lo, exec_lo, s24
	s_delay_alu instid0(VALU_DEP_1) | instskip(NEXT) | instid1(VALU_DEP_1)
	v_dual_max_f32 v151, v160, v160 :: v_dual_max_f32 v160, v161, v161
	v_min_f32_e32 v161, v160, v151
.LBB6_5830:                             ;   in Loop: Header=BB6_5432 Depth=2
	s_delay_alu instid0(VALU_DEP_1) | instskip(NEXT) | instid1(VALU_DEP_1)
	v_and_b32_e32 v151, 0x7f800000, v161
	v_cmp_ne_u32_e32 vcc_lo, 0x7f800000, v151
	v_mov_b32_e32 v151, 0x80
	s_and_saveexec_b32 s24, vcc_lo
	s_cbranch_execz .LBB6_5838
; %bb.5831:                             ;   in Loop: Header=BB6_5432 Depth=2
	v_mov_b32_e32 v151, 0
	s_mov_b32 s25, exec_lo
	v_cmpx_ne_u32_e32 0, v161
	s_cbranch_execz .LBB6_5837
; %bb.5832:                             ;   in Loop: Header=BB6_5432 Depth=2
	v_bfe_u32 v151, v161, 23, 8
	v_and_b32_e32 v160, 0x7fffff, v161
	s_delay_alu instid0(VALU_DEP_2) | instskip(SKIP_1) | instid1(VALU_DEP_3)
	v_sub_nc_u32_e32 v162, 0x78, v151
	v_cmp_gt_u32_e32 vcc_lo, 0x79, v151
	v_or_b32_e32 v163, 0x800000, v160
	s_delay_alu instid0(VALU_DEP_3) | instskip(SKIP_2) | instid1(VALU_DEP_3)
	v_cndmask_b32_e32 v162, 0, v162, vcc_lo
	v_cmp_eq_u32_e32 vcc_lo, 0, v151
	v_add_nc_u32_e32 v151, 0xffffff89, v151
	v_cndmask_b32_e64 v162, v162, 0x77, vcc_lo
	v_cndmask_b32_e32 v160, v163, v160, vcc_lo
	s_delay_alu instid0(VALU_DEP_3) | instskip(NEXT) | instid1(VALU_DEP_3)
	v_cndmask_b32_e64 v151, v151, 0xffffff8a, vcc_lo
	v_lshl_add_u32 v163, 0x100000, v162, -1
	s_delay_alu instid0(VALU_DEP_3) | instskip(SKIP_1) | instid1(VALU_DEP_4)
	v_lshrrev_b32_e32 v164, v162, v160
	v_lshlrev_b32_e64 v166, v162, 0x80000
	v_add_nc_u32_e32 v162, v162, v151
	s_delay_alu instid0(VALU_DEP_4) | instskip(NEXT) | instid1(VALU_DEP_4)
	v_and_b32_e32 v160, v163, v160
	v_bfe_u32 v165, v164, 20, 1
	s_delay_alu instid0(VALU_DEP_2) | instskip(NEXT) | instid1(VALU_DEP_2)
	v_cmp_eq_u32_e64 s7, v160, v166
	v_add_nc_u32_e32 v163, -1, v165
	s_delay_alu instid0(VALU_DEP_1) | instskip(SKIP_2) | instid1(VALU_DEP_2)
	v_cndmask_b32_e64 v160, 0, v163, s7
	v_lshrrev_b32_e32 v163, 23, v164
	s_mov_b32 s7, exec_lo
	v_add_nc_u32_e32 v160, v160, v164
	s_delay_alu instid0(VALU_DEP_2) | instskip(NEXT) | instid1(VALU_DEP_2)
	v_xor_b32_e32 v163, 1, v163
	v_and_b32_e32 v151, 0xfffff, v160
	s_delay_alu instid0(VALU_DEP_1) | instskip(NEXT) | instid1(VALU_DEP_3)
	v_add_nc_u32_e32 v160, v151, v164
                                        ; implicit-def: $vgpr151
	v_cmpx_ne_u32_e64 v162, v163
	s_xor_b32 s7, exec_lo, s7
; %bb.5833:                             ;   in Loop: Header=BB6_5432 Depth=2
	s_delay_alu instid0(VALU_DEP_2) | instskip(SKIP_2) | instid1(VALU_DEP_2)
	v_cmp_lt_u32_e32 vcc_lo, 0xffffff, v160
	v_sub_nc_u32_e32 v151, v162, v163
	v_cndmask_b32_e64 v162, 0, 1, vcc_lo
	v_add_co_ci_u32_e32 v151, vcc_lo, 0, v151, vcc_lo
	s_delay_alu instid0(VALU_DEP_2)
	v_lshrrev_b32_e32 v160, v162, v160
; %bb.5834:                             ;   in Loop: Header=BB6_5432 Depth=2
	s_and_not1_saveexec_b32 s7, s7
; %bb.5835:                             ;   in Loop: Header=BB6_5432 Depth=2
	s_delay_alu instid0(VALU_DEP_1)
	v_bfe_u32 v151, v160, 23, 1
; %bb.5836:                             ;   in Loop: Header=BB6_5432 Depth=2
	s_or_b32 exec_lo, exec_lo, s7
	v_lshrrev_b32_e32 v160, 20, v160
	s_delay_alu instid0(VALU_DEP_2) | instskip(SKIP_2) | instid1(VALU_DEP_2)
	v_cmp_gt_i32_e32 vcc_lo, 16, v151
	v_lshrrev_b32_e32 v161, 24, v161
	v_min_i32_e32 v162, 15, v151
	v_dual_cndmask_b32 v160, 7, v160 :: v_dual_and_b32 v161, 0x80, v161
	s_delay_alu instid0(VALU_DEP_1) | instskip(SKIP_1) | instid1(VALU_DEP_2)
	v_or_b32_e32 v151, v151, v160
	v_and_b32_e32 v163, 7, v160
	v_cmp_ne_u32_e32 vcc_lo, 0, v151
	v_lshlrev_b32_e32 v162, 3, v162
	s_delay_alu instid0(VALU_DEP_1) | instskip(NEXT) | instid1(VALU_DEP_1)
	v_or3_b32 v160, v162, v161, v163
	v_cndmask_b32_e32 v151, 0, v160, vcc_lo
.LBB6_5837:                             ;   in Loop: Header=BB6_5432 Depth=2
	s_or_b32 exec_lo, exec_lo, s25
.LBB6_5838:                             ;   in Loop: Header=BB6_5432 Depth=2
	s_delay_alu instid0(SALU_CYCLE_1)
	s_or_b32 exec_lo, exec_lo, s24
	v_lshrrev_b32_e32 v161, 16, v51
	v_lshrrev_b32_e32 v160, 16, v39
	s_and_b32 vcc_lo, exec_lo, s23
	s_cbranch_vccz .LBB6_5848
; %bb.5839:                             ;   in Loop: Header=BB6_5432 Depth=2
	s_delay_alu instid0(VALU_DEP_2) | instskip(SKIP_2) | instid1(VALU_DEP_1)
	v_and_b32_e32 v163, 0xff, v161
	s_mov_b32 s7, 0
	s_mov_b32 s25, exec_lo
                                        ; implicit-def: $sgpr24
	v_cmpx_lt_i16_e64 0x7f, v163
	s_xor_b32 s25, exec_lo, s25
	s_cbranch_execnz .LBB6_7510
; %bb.5840:                             ;   in Loop: Header=BB6_5432 Depth=2
	s_or_saveexec_b32 s25, s25
	v_mov_b32_e32 v162, s24
	s_xor_b32 exec_lo, exec_lo, s25
	s_cbranch_execnz .LBB6_7513
.LBB6_5841:                             ;   in Loop: Header=BB6_5432 Depth=2
	s_or_b32 exec_lo, exec_lo, s25
	s_and_saveexec_b32 s24, s7
	s_cbranch_execz .LBB6_5843
.LBB6_5842:                             ;   in Loop: Header=BB6_5432 Depth=2
	v_bfe_u32 v162, v51, 16, 3
	v_bfe_u32 v165, v51, 19, 4
	v_lshlrev_b32_e32 v166, 24, v161
	s_delay_alu instid0(VALU_DEP_3) | instskip(NEXT) | instid1(VALU_DEP_3)
	v_clz_i32_u32_e32 v163, v162
	v_cmp_eq_u32_e32 vcc_lo, 0, v165
	s_delay_alu instid0(VALU_DEP_2) | instskip(NEXT) | instid1(VALU_DEP_1)
	v_min_u32_e32 v163, 32, v163
	v_subrev_nc_u32_e32 v164, 28, v163
	v_sub_nc_u32_e32 v163, 29, v163
	s_delay_alu instid0(VALU_DEP_1) | instskip(NEXT) | instid1(VALU_DEP_1)
	v_dual_cndmask_b32 v163, v165, v163 :: v_dual_lshlrev_b32 v164, v164, v161
	v_and_b32_e32 v164, 7, v164
	s_delay_alu instid0(VALU_DEP_2) | instskip(NEXT) | instid1(VALU_DEP_2)
	v_lshl_add_u32 v163, v163, 23, 0x3b800000
	v_cndmask_b32_e32 v162, v162, v164, vcc_lo
	v_and_b32_e32 v164, 0x80000000, v166
	s_delay_alu instid0(VALU_DEP_2) | instskip(NEXT) | instid1(VALU_DEP_1)
	v_lshlrev_b32_e32 v162, 20, v162
	v_or3_b32 v162, v164, v163, v162
.LBB6_5843:                             ;   in Loop: Header=BB6_5432 Depth=2
	s_or_b32 exec_lo, exec_lo, s24
	v_and_b32_e32 v164, 0xff, v160
	s_mov_b32 s7, 0
	s_mov_b32 s25, exec_lo
                                        ; implicit-def: $sgpr24
	s_delay_alu instid0(VALU_DEP_1)
	v_cmpx_lt_i16_e64 0x7f, v164
	s_xor_b32 s25, exec_lo, s25
	s_cbranch_execnz .LBB6_7514
; %bb.5844:                             ;   in Loop: Header=BB6_5432 Depth=2
	s_or_saveexec_b32 s25, s25
	v_mov_b32_e32 v163, s24
	s_xor_b32 exec_lo, exec_lo, s25
	s_cbranch_execnz .LBB6_7517
.LBB6_5845:                             ;   in Loop: Header=BB6_5432 Depth=2
	s_or_b32 exec_lo, exec_lo, s25
	s_and_saveexec_b32 s24, s7
	s_cbranch_execz .LBB6_5847
.LBB6_5846:                             ;   in Loop: Header=BB6_5432 Depth=2
	v_bfe_u32 v163, v39, 16, 3
	v_bfe_u32 v166, v39, 19, 4
	v_lshlrev_b32_e32 v167, 24, v160
	s_delay_alu instid0(VALU_DEP_3) | instskip(NEXT) | instid1(VALU_DEP_3)
	v_clz_i32_u32_e32 v164, v163
	v_cmp_eq_u32_e32 vcc_lo, 0, v166
	s_delay_alu instid0(VALU_DEP_2) | instskip(NEXT) | instid1(VALU_DEP_1)
	v_min_u32_e32 v164, 32, v164
	v_subrev_nc_u32_e32 v165, 28, v164
	v_sub_nc_u32_e32 v164, 29, v164
	s_delay_alu instid0(VALU_DEP_2) | instskip(NEXT) | instid1(VALU_DEP_1)
	v_lshlrev_b32_e32 v165, v165, v160
	v_dual_cndmask_b32 v164, v166, v164 :: v_dual_and_b32 v165, 7, v165
	s_delay_alu instid0(VALU_DEP_1) | instskip(NEXT) | instid1(VALU_DEP_2)
	v_lshl_add_u32 v164, v164, 23, 0x3b800000
	v_cndmask_b32_e32 v163, v163, v165, vcc_lo
	v_and_b32_e32 v165, 0x80000000, v167
	s_delay_alu instid0(VALU_DEP_2) | instskip(NEXT) | instid1(VALU_DEP_1)
	v_lshlrev_b32_e32 v163, 20, v163
	v_or3_b32 v163, v165, v164, v163
.LBB6_5847:                             ;   in Loop: Header=BB6_5432 Depth=2
	s_or_b32 exec_lo, exec_lo, s24
	s_delay_alu instid0(VALU_DEP_1) | instskip(SKIP_1) | instid1(VALU_DEP_1)
	v_dual_max_f32 v163, v163, v163 :: v_dual_max_f32 v162, v162, v162
	s_mov_b32 s7, 0
	v_max_f32_e32 v162, v162, v163
	s_branch .LBB6_5849
.LBB6_5848:                             ;   in Loop: Header=BB6_5432 Depth=2
	s_mov_b32 s7, -1
                                        ; implicit-def: $vgpr162
.LBB6_5849:                             ;   in Loop: Header=BB6_5432 Depth=2
	s_delay_alu instid0(SALU_CYCLE_1)
	s_and_b32 vcc_lo, exec_lo, s7
	s_cbranch_vccz .LBB6_5859
; %bb.5850:                             ;   in Loop: Header=BB6_5432 Depth=2
	v_and_b32_e32 v163, 0xff, v161
	s_mov_b32 s7, 0
	s_mov_b32 s25, exec_lo
                                        ; implicit-def: $sgpr24
	s_delay_alu instid0(VALU_DEP_1)
	v_cmpx_lt_i16_e64 0x7f, v163
	s_xor_b32 s25, exec_lo, s25
	s_cbranch_execnz .LBB6_7518
; %bb.5851:                             ;   in Loop: Header=BB6_5432 Depth=2
	s_or_saveexec_b32 s25, s25
	v_mov_b32_e32 v162, s24
	s_xor_b32 exec_lo, exec_lo, s25
	s_cbranch_execnz .LBB6_7521
.LBB6_5852:                             ;   in Loop: Header=BB6_5432 Depth=2
	s_or_b32 exec_lo, exec_lo, s25
	s_and_saveexec_b32 s24, s7
	s_cbranch_execz .LBB6_5854
.LBB6_5853:                             ;   in Loop: Header=BB6_5432 Depth=2
	v_bfe_u32 v162, v51, 16, 3
	v_bfe_u32 v165, v51, 19, 4
	s_delay_alu instid0(VALU_DEP_2) | instskip(NEXT) | instid1(VALU_DEP_2)
	v_clz_i32_u32_e32 v163, v162
	v_cmp_eq_u32_e32 vcc_lo, 0, v165
	s_delay_alu instid0(VALU_DEP_2) | instskip(NEXT) | instid1(VALU_DEP_1)
	v_min_u32_e32 v163, 32, v163
	v_subrev_nc_u32_e32 v164, 28, v163
	v_sub_nc_u32_e32 v163, 29, v163
	s_delay_alu instid0(VALU_DEP_1) | instskip(NEXT) | instid1(VALU_DEP_1)
	v_dual_cndmask_b32 v163, v165, v163 :: v_dual_lshlrev_b32 v164, v164, v161
	v_and_b32_e32 v164, 7, v164
	v_lshlrev_b32_e32 v161, 24, v161
	s_delay_alu instid0(VALU_DEP_3) | instskip(NEXT) | instid1(VALU_DEP_2)
	v_lshl_add_u32 v163, v163, 23, 0x3b800000
	v_dual_cndmask_b32 v162, v162, v164 :: v_dual_and_b32 v161, 0x80000000, v161
	s_delay_alu instid0(VALU_DEP_1) | instskip(NEXT) | instid1(VALU_DEP_1)
	v_lshlrev_b32_e32 v162, 20, v162
	v_or3_b32 v162, v161, v163, v162
.LBB6_5854:                             ;   in Loop: Header=BB6_5432 Depth=2
	s_or_b32 exec_lo, exec_lo, s24
	v_and_b32_e32 v163, 0xff, v160
	s_mov_b32 s7, 0
	s_mov_b32 s25, exec_lo
                                        ; implicit-def: $sgpr24
	s_delay_alu instid0(VALU_DEP_1)
	v_cmpx_lt_i16_e64 0x7f, v163
	s_xor_b32 s25, exec_lo, s25
	s_cbranch_execnz .LBB6_7522
; %bb.5855:                             ;   in Loop: Header=BB6_5432 Depth=2
	s_or_saveexec_b32 s25, s25
	v_mov_b32_e32 v161, s24
	s_xor_b32 exec_lo, exec_lo, s25
	s_cbranch_execnz .LBB6_7525
.LBB6_5856:                             ;   in Loop: Header=BB6_5432 Depth=2
	s_or_b32 exec_lo, exec_lo, s25
	s_and_saveexec_b32 s24, s7
	s_cbranch_execz .LBB6_5858
.LBB6_5857:                             ;   in Loop: Header=BB6_5432 Depth=2
	v_bfe_u32 v161, v39, 16, 3
	v_bfe_u32 v165, v39, 19, 4
	s_delay_alu instid0(VALU_DEP_2) | instskip(NEXT) | instid1(VALU_DEP_2)
	v_clz_i32_u32_e32 v163, v161
	v_cmp_eq_u32_e32 vcc_lo, 0, v165
	s_delay_alu instid0(VALU_DEP_2) | instskip(NEXT) | instid1(VALU_DEP_1)
	v_min_u32_e32 v163, 32, v163
	v_subrev_nc_u32_e32 v164, 28, v163
	v_sub_nc_u32_e32 v163, 29, v163
	s_delay_alu instid0(VALU_DEP_1) | instskip(SKIP_1) | instid1(VALU_DEP_2)
	v_dual_cndmask_b32 v163, v165, v163 :: v_dual_lshlrev_b32 v164, v164, v160
	v_lshlrev_b32_e32 v160, 24, v160
	v_and_b32_e32 v164, 7, v164
	s_delay_alu instid0(VALU_DEP_3) | instskip(NEXT) | instid1(VALU_DEP_3)
	v_lshl_add_u32 v163, v163, 23, 0x3b800000
	v_and_b32_e32 v160, 0x80000000, v160
	s_delay_alu instid0(VALU_DEP_3) | instskip(NEXT) | instid1(VALU_DEP_1)
	v_cndmask_b32_e32 v161, v161, v164, vcc_lo
	v_lshlrev_b32_e32 v161, 20, v161
	s_delay_alu instid0(VALU_DEP_1)
	v_or3_b32 v161, v160, v163, v161
.LBB6_5858:                             ;   in Loop: Header=BB6_5432 Depth=2
	s_or_b32 exec_lo, exec_lo, s24
	s_delay_alu instid0(VALU_DEP_1) | instskip(NEXT) | instid1(VALU_DEP_1)
	v_dual_max_f32 v160, v161, v161 :: v_dual_max_f32 v161, v162, v162
	v_min_f32_e32 v162, v161, v160
.LBB6_5859:                             ;   in Loop: Header=BB6_5432 Depth=2
	s_delay_alu instid0(VALU_DEP_1) | instskip(NEXT) | instid1(VALU_DEP_1)
	v_and_b32_e32 v160, 0x7f800000, v162
	v_cmp_ne_u32_e32 vcc_lo, 0x7f800000, v160
	v_mov_b32_e32 v160, 0x80
	s_and_saveexec_b32 s24, vcc_lo
	s_cbranch_execz .LBB6_5867
; %bb.5860:                             ;   in Loop: Header=BB6_5432 Depth=2
	v_mov_b32_e32 v160, 0
	s_mov_b32 s25, exec_lo
	v_cmpx_ne_u32_e32 0, v162
	s_cbranch_execz .LBB6_5866
; %bb.5861:                             ;   in Loop: Header=BB6_5432 Depth=2
	v_bfe_u32 v160, v162, 23, 8
	v_and_b32_e32 v161, 0x7fffff, v162
	s_delay_alu instid0(VALU_DEP_2) | instskip(SKIP_1) | instid1(VALU_DEP_3)
	v_sub_nc_u32_e32 v163, 0x78, v160
	v_cmp_gt_u32_e32 vcc_lo, 0x79, v160
	v_or_b32_e32 v164, 0x800000, v161
	s_delay_alu instid0(VALU_DEP_3) | instskip(SKIP_2) | instid1(VALU_DEP_3)
	v_cndmask_b32_e32 v163, 0, v163, vcc_lo
	v_cmp_eq_u32_e32 vcc_lo, 0, v160
	v_add_nc_u32_e32 v160, 0xffffff89, v160
	v_cndmask_b32_e64 v163, v163, 0x77, vcc_lo
	v_cndmask_b32_e32 v161, v164, v161, vcc_lo
	s_delay_alu instid0(VALU_DEP_3) | instskip(NEXT) | instid1(VALU_DEP_3)
	v_cndmask_b32_e64 v160, v160, 0xffffff8a, vcc_lo
	v_lshl_add_u32 v164, 0x100000, v163, -1
	s_delay_alu instid0(VALU_DEP_3) | instskip(SKIP_1) | instid1(VALU_DEP_4)
	v_lshrrev_b32_e32 v165, v163, v161
	v_lshlrev_b32_e64 v167, v163, 0x80000
	v_add_nc_u32_e32 v163, v163, v160
	s_delay_alu instid0(VALU_DEP_4) | instskip(NEXT) | instid1(VALU_DEP_4)
	v_and_b32_e32 v161, v164, v161
	v_bfe_u32 v166, v165, 20, 1
	s_delay_alu instid0(VALU_DEP_2) | instskip(NEXT) | instid1(VALU_DEP_2)
	v_cmp_eq_u32_e64 s7, v161, v167
	v_add_nc_u32_e32 v164, -1, v166
	s_delay_alu instid0(VALU_DEP_1) | instskip(SKIP_2) | instid1(VALU_DEP_2)
	v_cndmask_b32_e64 v161, 0, v164, s7
	v_lshrrev_b32_e32 v164, 23, v165
	s_mov_b32 s7, exec_lo
	v_add_nc_u32_e32 v161, v161, v165
	s_delay_alu instid0(VALU_DEP_2) | instskip(NEXT) | instid1(VALU_DEP_2)
	v_xor_b32_e32 v164, 1, v164
	v_and_b32_e32 v160, 0xfffff, v161
	s_delay_alu instid0(VALU_DEP_1) | instskip(NEXT) | instid1(VALU_DEP_3)
	v_add_nc_u32_e32 v161, v160, v165
                                        ; implicit-def: $vgpr160
	v_cmpx_ne_u32_e64 v163, v164
	s_xor_b32 s7, exec_lo, s7
; %bb.5862:                             ;   in Loop: Header=BB6_5432 Depth=2
	s_delay_alu instid0(VALU_DEP_2) | instskip(SKIP_2) | instid1(VALU_DEP_2)
	v_cmp_lt_u32_e32 vcc_lo, 0xffffff, v161
	v_sub_nc_u32_e32 v160, v163, v164
	v_cndmask_b32_e64 v163, 0, 1, vcc_lo
	v_add_co_ci_u32_e32 v160, vcc_lo, 0, v160, vcc_lo
	s_delay_alu instid0(VALU_DEP_2)
	v_lshrrev_b32_e32 v161, v163, v161
; %bb.5863:                             ;   in Loop: Header=BB6_5432 Depth=2
	s_and_not1_saveexec_b32 s7, s7
; %bb.5864:                             ;   in Loop: Header=BB6_5432 Depth=2
	s_delay_alu instid0(VALU_DEP_1)
	v_bfe_u32 v160, v161, 23, 1
; %bb.5865:                             ;   in Loop: Header=BB6_5432 Depth=2
	s_or_b32 exec_lo, exec_lo, s7
	v_lshrrev_b32_e32 v161, 20, v161
	s_delay_alu instid0(VALU_DEP_2) | instskip(SKIP_2) | instid1(VALU_DEP_2)
	v_cmp_gt_i32_e32 vcc_lo, 16, v160
	v_lshrrev_b32_e32 v162, 24, v162
	v_min_i32_e32 v163, 15, v160
	v_dual_cndmask_b32 v161, 7, v161 :: v_dual_and_b32 v162, 0x80, v162
	s_delay_alu instid0(VALU_DEP_1) | instskip(SKIP_1) | instid1(VALU_DEP_2)
	v_or_b32_e32 v160, v160, v161
	v_and_b32_e32 v164, 7, v161
	v_cmp_ne_u32_e32 vcc_lo, 0, v160
	v_lshlrev_b32_e32 v163, 3, v163
	s_delay_alu instid0(VALU_DEP_1) | instskip(NEXT) | instid1(VALU_DEP_1)
	v_and_b32_e32 v163, 0xf8, v163
	v_or3_b32 v161, v163, v162, v164
	s_delay_alu instid0(VALU_DEP_1)
	v_cndmask_b32_e32 v160, 0, v161, vcc_lo
.LBB6_5866:                             ;   in Loop: Header=BB6_5432 Depth=2
	s_or_b32 exec_lo, exec_lo, s25
.LBB6_5867:                             ;   in Loop: Header=BB6_5432 Depth=2
	s_delay_alu instid0(SALU_CYCLE_1)
	s_or_b32 exec_lo, exec_lo, s24
	v_lshrrev_b32_e32 v162, 24, v51
	v_lshrrev_b32_e32 v161, 24, v39
	s_and_b32 vcc_lo, exec_lo, s23
	s_cbranch_vccz .LBB6_5877
; %bb.5868:                             ;   in Loop: Header=BB6_5432 Depth=2
	s_mov_b32 s7, 0
	s_mov_b32 s25, exec_lo
                                        ; implicit-def: $sgpr24
	v_cmpx_lt_i16_e64 0x7f, v162
	s_xor_b32 s25, exec_lo, s25
	s_cbranch_execnz .LBB6_7526
; %bb.5869:                             ;   in Loop: Header=BB6_5432 Depth=2
	s_or_saveexec_b32 s25, s25
	v_mov_b32_e32 v163, s24
	s_xor_b32 exec_lo, exec_lo, s25
	s_cbranch_execnz .LBB6_7529
.LBB6_5870:                             ;   in Loop: Header=BB6_5432 Depth=2
	s_or_b32 exec_lo, exec_lo, s25
	s_and_saveexec_b32 s24, s7
	s_cbranch_execz .LBB6_5872
.LBB6_5871:                             ;   in Loop: Header=BB6_5432 Depth=2
	v_bfe_u32 v163, v51, 24, 3
	v_bfe_u32 v166, v51, 27, 4
	s_delay_alu instid0(VALU_DEP_2) | instskip(NEXT) | instid1(VALU_DEP_2)
	v_clz_i32_u32_e32 v164, v163
	v_cmp_eq_u32_e32 vcc_lo, 0, v166
	s_delay_alu instid0(VALU_DEP_2) | instskip(NEXT) | instid1(VALU_DEP_1)
	v_min_u32_e32 v164, 32, v164
	v_subrev_nc_u32_e32 v165, 28, v164
	v_sub_nc_u32_e32 v164, 29, v164
	s_delay_alu instid0(VALU_DEP_1) | instskip(NEXT) | instid1(VALU_DEP_1)
	v_dual_cndmask_b32 v164, v166, v164 :: v_dual_lshlrev_b32 v165, v165, v162
	v_and_b32_e32 v165, 7, v165
	s_delay_alu instid0(VALU_DEP_2) | instskip(NEXT) | instid1(VALU_DEP_2)
	v_lshl_add_u32 v164, v164, 23, 0x3b800000
	v_cndmask_b32_e32 v163, v163, v165, vcc_lo
	v_and_b32_e32 v165, 0x80000000, v51
	s_delay_alu instid0(VALU_DEP_2) | instskip(NEXT) | instid1(VALU_DEP_1)
	v_lshlrev_b32_e32 v163, 20, v163
	v_or3_b32 v163, v165, v164, v163
.LBB6_5872:                             ;   in Loop: Header=BB6_5432 Depth=2
	s_or_b32 exec_lo, exec_lo, s24
	s_mov_b32 s7, 0
	s_mov_b32 s25, exec_lo
                                        ; implicit-def: $sgpr24
	v_cmpx_lt_i16_e64 0x7f, v161
	s_xor_b32 s25, exec_lo, s25
	s_cbranch_execnz .LBB6_7530
; %bb.5873:                             ;   in Loop: Header=BB6_5432 Depth=2
	s_or_saveexec_b32 s25, s25
	v_mov_b32_e32 v164, s24
	s_xor_b32 exec_lo, exec_lo, s25
	s_cbranch_execnz .LBB6_7533
.LBB6_5874:                             ;   in Loop: Header=BB6_5432 Depth=2
	s_or_b32 exec_lo, exec_lo, s25
	s_and_saveexec_b32 s24, s7
	s_cbranch_execz .LBB6_5876
.LBB6_5875:                             ;   in Loop: Header=BB6_5432 Depth=2
	v_bfe_u32 v164, v39, 24, 3
	v_bfe_u32 v167, v39, 27, 4
	s_delay_alu instid0(VALU_DEP_2) | instskip(NEXT) | instid1(VALU_DEP_2)
	v_clz_i32_u32_e32 v165, v164
	v_cmp_eq_u32_e32 vcc_lo, 0, v167
	s_delay_alu instid0(VALU_DEP_2) | instskip(NEXT) | instid1(VALU_DEP_1)
	v_min_u32_e32 v165, 32, v165
	v_subrev_nc_u32_e32 v166, 28, v165
	v_sub_nc_u32_e32 v165, 29, v165
	s_delay_alu instid0(VALU_DEP_2) | instskip(NEXT) | instid1(VALU_DEP_1)
	v_lshlrev_b32_e32 v166, v166, v161
	v_dual_cndmask_b32 v165, v167, v165 :: v_dual_and_b32 v166, 7, v166
	s_delay_alu instid0(VALU_DEP_1) | instskip(NEXT) | instid1(VALU_DEP_2)
	v_lshl_add_u32 v165, v165, 23, 0x3b800000
	v_cndmask_b32_e32 v164, v164, v166, vcc_lo
	v_and_b32_e32 v166, 0x80000000, v39
	s_delay_alu instid0(VALU_DEP_2) | instskip(NEXT) | instid1(VALU_DEP_1)
	v_lshlrev_b32_e32 v164, 20, v164
	v_or3_b32 v164, v166, v165, v164
.LBB6_5876:                             ;   in Loop: Header=BB6_5432 Depth=2
	s_or_b32 exec_lo, exec_lo, s24
	s_delay_alu instid0(VALU_DEP_1) | instskip(SKIP_1) | instid1(VALU_DEP_1)
	v_dual_max_f32 v164, v164, v164 :: v_dual_max_f32 v163, v163, v163
	s_mov_b32 s7, 0
	v_max_f32_e32 v163, v163, v164
	s_branch .LBB6_5878
.LBB6_5877:                             ;   in Loop: Header=BB6_5432 Depth=2
	s_mov_b32 s7, -1
                                        ; implicit-def: $vgpr163
.LBB6_5878:                             ;   in Loop: Header=BB6_5432 Depth=2
	s_delay_alu instid0(SALU_CYCLE_1)
	s_and_b32 vcc_lo, exec_lo, s7
	s_cbranch_vccz .LBB6_5888
; %bb.5879:                             ;   in Loop: Header=BB6_5432 Depth=2
	s_mov_b32 s7, 0
	s_mov_b32 s25, exec_lo
                                        ; implicit-def: $sgpr24
	v_cmpx_lt_i16_e64 0x7f, v162
	s_xor_b32 s25, exec_lo, s25
	s_cbranch_execnz .LBB6_7534
; %bb.5880:                             ;   in Loop: Header=BB6_5432 Depth=2
	s_or_saveexec_b32 s25, s25
	v_mov_b32_e32 v163, s24
	s_xor_b32 exec_lo, exec_lo, s25
	s_cbranch_execnz .LBB6_7537
.LBB6_5881:                             ;   in Loop: Header=BB6_5432 Depth=2
	s_or_b32 exec_lo, exec_lo, s25
	s_and_saveexec_b32 s24, s7
	s_cbranch_execz .LBB6_5883
.LBB6_5882:                             ;   in Loop: Header=BB6_5432 Depth=2
	v_bfe_u32 v163, v51, 24, 3
	s_delay_alu instid0(VALU_DEP_1) | instskip(NEXT) | instid1(VALU_DEP_1)
	v_clz_i32_u32_e32 v164, v163
	v_min_u32_e32 v164, 32, v164
	s_delay_alu instid0(VALU_DEP_1) | instskip(SKIP_1) | instid1(VALU_DEP_2)
	v_subrev_nc_u32_e32 v165, 28, v164
	v_sub_nc_u32_e32 v164, 29, v164
	v_lshlrev_b32_e32 v162, v165, v162
	v_bfe_u32 v165, v51, 27, 4
	v_and_b32_e32 v51, 0x80000000, v51
	s_delay_alu instid0(VALU_DEP_3) | instskip(NEXT) | instid1(VALU_DEP_3)
	v_and_b32_e32 v162, 7, v162
	v_cmp_eq_u32_e32 vcc_lo, 0, v165
	v_cndmask_b32_e32 v164, v165, v164, vcc_lo
	s_delay_alu instid0(VALU_DEP_3) | instskip(NEXT) | instid1(VALU_DEP_2)
	v_cndmask_b32_e32 v162, v163, v162, vcc_lo
	v_lshl_add_u32 v163, v164, 23, 0x3b800000
	s_delay_alu instid0(VALU_DEP_2) | instskip(NEXT) | instid1(VALU_DEP_1)
	v_lshlrev_b32_e32 v162, 20, v162
	v_or3_b32 v163, v51, v163, v162
.LBB6_5883:                             ;   in Loop: Header=BB6_5432 Depth=2
	s_or_b32 exec_lo, exec_lo, s24
	s_mov_b32 s7, 0
	s_mov_b32 s25, exec_lo
                                        ; implicit-def: $sgpr24
	v_cmpx_lt_i16_e64 0x7f, v161
	s_xor_b32 s25, exec_lo, s25
	s_cbranch_execnz .LBB6_7538
; %bb.5884:                             ;   in Loop: Header=BB6_5432 Depth=2
	s_or_saveexec_b32 s25, s25
	v_mov_b32_e32 v51, s24
	s_xor_b32 exec_lo, exec_lo, s25
	s_cbranch_execnz .LBB6_7541
.LBB6_5885:                             ;   in Loop: Header=BB6_5432 Depth=2
	s_or_b32 exec_lo, exec_lo, s25
	s_and_saveexec_b32 s24, s7
	s_cbranch_execz .LBB6_5887
.LBB6_5886:                             ;   in Loop: Header=BB6_5432 Depth=2
	v_bfe_u32 v51, v39, 24, 3
	s_delay_alu instid0(VALU_DEP_1) | instskip(NEXT) | instid1(VALU_DEP_1)
	v_clz_i32_u32_e32 v162, v51
	v_min_u32_e32 v162, 32, v162
	s_delay_alu instid0(VALU_DEP_1) | instskip(SKIP_1) | instid1(VALU_DEP_2)
	v_subrev_nc_u32_e32 v164, 28, v162
	v_sub_nc_u32_e32 v162, 29, v162
	v_lshlrev_b32_e32 v161, v164, v161
	v_bfe_u32 v164, v39, 27, 4
	v_and_b32_e32 v39, 0x80000000, v39
	s_delay_alu instid0(VALU_DEP_2) | instskip(NEXT) | instid1(VALU_DEP_4)
	v_cmp_eq_u32_e32 vcc_lo, 0, v164
	v_dual_cndmask_b32 v162, v164, v162 :: v_dual_and_b32 v161, 7, v161
	s_delay_alu instid0(VALU_DEP_1) | instskip(NEXT) | instid1(VALU_DEP_2)
	v_cndmask_b32_e32 v51, v51, v161, vcc_lo
	v_lshl_add_u32 v161, v162, 23, 0x3b800000
	s_delay_alu instid0(VALU_DEP_2) | instskip(NEXT) | instid1(VALU_DEP_1)
	v_lshlrev_b32_e32 v51, 20, v51
	v_or3_b32 v51, v39, v161, v51
.LBB6_5887:                             ;   in Loop: Header=BB6_5432 Depth=2
	s_or_b32 exec_lo, exec_lo, s24
	s_delay_alu instid0(VALU_DEP_1) | instskip(SKIP_1) | instid1(VALU_DEP_1)
	v_max_f32_e32 v39, v51, v51
	v_max_f32_e32 v51, v163, v163
	v_min_f32_e32 v163, v51, v39
.LBB6_5888:                             ;   in Loop: Header=BB6_5432 Depth=2
	s_delay_alu instid0(VALU_DEP_1) | instskip(NEXT) | instid1(VALU_DEP_1)
	v_and_b32_e32 v39, 0x7f800000, v163
	v_cmp_ne_u32_e32 vcc_lo, 0x7f800000, v39
	v_mov_b32_e32 v39, 0x8000
	s_and_saveexec_b32 s24, vcc_lo
	s_cbranch_execz .LBB6_5896
; %bb.5889:                             ;   in Loop: Header=BB6_5432 Depth=2
	v_mov_b32_e32 v39, 0
	s_mov_b32 s25, exec_lo
	v_cmpx_ne_u32_e32 0, v163
	s_cbranch_execz .LBB6_5895
; %bb.5890:                             ;   in Loop: Header=BB6_5432 Depth=2
	v_bfe_u32 v39, v163, 23, 8
	v_and_b32_e32 v51, 0x7fffff, v163
	s_delay_alu instid0(VALU_DEP_2) | instskip(SKIP_1) | instid1(VALU_DEP_3)
	v_sub_nc_u32_e32 v161, 0x78, v39
	v_cmp_gt_u32_e32 vcc_lo, 0x79, v39
	v_or_b32_e32 v162, 0x800000, v51
	s_delay_alu instid0(VALU_DEP_3) | instskip(SKIP_2) | instid1(VALU_DEP_3)
	v_cndmask_b32_e32 v161, 0, v161, vcc_lo
	v_cmp_eq_u32_e32 vcc_lo, 0, v39
	v_add_nc_u32_e32 v39, 0xffffff89, v39
	v_cndmask_b32_e64 v161, v161, 0x77, vcc_lo
	v_cndmask_b32_e32 v51, v162, v51, vcc_lo
	s_delay_alu instid0(VALU_DEP_3) | instskip(NEXT) | instid1(VALU_DEP_3)
	v_cndmask_b32_e64 v39, v39, 0xffffff8a, vcc_lo
	v_lshl_add_u32 v162, 0x100000, v161, -1
	s_delay_alu instid0(VALU_DEP_3) | instskip(SKIP_1) | instid1(VALU_DEP_4)
	v_lshrrev_b32_e32 v164, v161, v51
	v_lshlrev_b32_e64 v166, v161, 0x80000
	v_add_nc_u32_e32 v161, v161, v39
	s_delay_alu instid0(VALU_DEP_4) | instskip(NEXT) | instid1(VALU_DEP_4)
	v_and_b32_e32 v51, v162, v51
	v_bfe_u32 v165, v164, 20, 1
	s_delay_alu instid0(VALU_DEP_2) | instskip(NEXT) | instid1(VALU_DEP_2)
	v_cmp_eq_u32_e64 s7, v51, v166
	v_add_nc_u32_e32 v162, -1, v165
	s_delay_alu instid0(VALU_DEP_1) | instskip(SKIP_2) | instid1(VALU_DEP_2)
	v_cndmask_b32_e64 v51, 0, v162, s7
	v_lshrrev_b32_e32 v162, 23, v164
	s_mov_b32 s7, exec_lo
	v_add_nc_u32_e32 v51, v51, v164
	s_delay_alu instid0(VALU_DEP_2) | instskip(NEXT) | instid1(VALU_DEP_2)
	v_xor_b32_e32 v162, 1, v162
	v_and_b32_e32 v39, 0xfffff, v51
	s_delay_alu instid0(VALU_DEP_1) | instskip(NEXT) | instid1(VALU_DEP_3)
	v_add_nc_u32_e32 v51, v39, v164
                                        ; implicit-def: $vgpr39
	v_cmpx_ne_u32_e64 v161, v162
	s_xor_b32 s7, exec_lo, s7
; %bb.5891:                             ;   in Loop: Header=BB6_5432 Depth=2
	s_delay_alu instid0(VALU_DEP_2) | instskip(SKIP_2) | instid1(VALU_DEP_2)
	v_cmp_lt_u32_e32 vcc_lo, 0xffffff, v51
	v_sub_nc_u32_e32 v39, v161, v162
	v_cndmask_b32_e64 v161, 0, 1, vcc_lo
	v_add_co_ci_u32_e32 v39, vcc_lo, 0, v39, vcc_lo
	s_delay_alu instid0(VALU_DEP_2)
	v_lshrrev_b32_e32 v51, v161, v51
; %bb.5892:                             ;   in Loop: Header=BB6_5432 Depth=2
	s_and_not1_saveexec_b32 s7, s7
; %bb.5893:                             ;   in Loop: Header=BB6_5432 Depth=2
	s_delay_alu instid0(VALU_DEP_1)
	v_bfe_u32 v39, v51, 23, 1
; %bb.5894:                             ;   in Loop: Header=BB6_5432 Depth=2
	s_or_b32 exec_lo, exec_lo, s7
	v_lshrrev_b32_e32 v51, 20, v51
	s_delay_alu instid0(VALU_DEP_2) | instskip(SKIP_2) | instid1(VALU_DEP_3)
	v_min_i32_e32 v161, 15, v39
	v_cmp_gt_i32_e32 vcc_lo, 16, v39
	v_lshrrev_b32_e32 v162, 24, v163
	v_lshlrev_b32_e32 v161, 3, v161
	s_delay_alu instid0(VALU_DEP_2) | instskip(NEXT) | instid1(VALU_DEP_2)
	v_dual_cndmask_b32 v51, 7, v51 :: v_dual_and_b32 v162, 0x80, v162
	v_and_b32_e32 v161, 0xf8, v161
	s_delay_alu instid0(VALU_DEP_2) | instskip(SKIP_1) | instid1(VALU_DEP_2)
	v_and_b32_e32 v163, 7, v51
	v_or_b32_e32 v39, v39, v51
	v_or3_b32 v161, v162, v161, v163
	s_delay_alu instid0(VALU_DEP_2) | instskip(NEXT) | instid1(VALU_DEP_2)
	v_cmp_ne_u32_e32 vcc_lo, 0, v39
	v_lshlrev_b32_e32 v51, 8, v161
	s_delay_alu instid0(VALU_DEP_1)
	v_cndmask_b32_e32 v39, 0, v51, vcc_lo
.LBB6_5895:                             ;   in Loop: Header=BB6_5432 Depth=2
	s_or_b32 exec_lo, exec_lo, s25
.LBB6_5896:                             ;   in Loop: Header=BB6_5432 Depth=2
	s_delay_alu instid0(SALU_CYCLE_1) | instskip(NEXT) | instid1(SALU_CYCLE_1)
	s_or_b32 exec_lo, exec_lo, s24
	s_and_not1_b32 vcc_lo, exec_lo, s23
	s_cbranch_vccnz .LBB6_5906
; %bb.5897:                             ;   in Loop: Header=BB6_5432 Depth=2
	v_and_b32_e32 v161, 0xff, v32
	s_mov_b32 s7, 0
	s_mov_b32 s25, exec_lo
                                        ; implicit-def: $sgpr24
	s_delay_alu instid0(VALU_DEP_1)
	v_cmpx_lt_i16_e64 0x7f, v161
	s_xor_b32 s25, exec_lo, s25
	s_cbranch_execnz .LBB6_7542
; %bb.5898:                             ;   in Loop: Header=BB6_5432 Depth=2
	s_or_saveexec_b32 s25, s25
	v_mov_b32_e32 v51, s24
	s_xor_b32 exec_lo, exec_lo, s25
	s_cbranch_execnz .LBB6_7545
.LBB6_5899:                             ;   in Loop: Header=BB6_5432 Depth=2
	s_or_b32 exec_lo, exec_lo, s25
	s_and_saveexec_b32 s24, s7
	s_cbranch_execz .LBB6_5901
.LBB6_5900:                             ;   in Loop: Header=BB6_5432 Depth=2
	v_and_b32_e32 v51, 7, v32
	v_bfe_u32 v163, v32, 3, 4
	s_delay_alu instid0(VALU_DEP_2) | instskip(NEXT) | instid1(VALU_DEP_2)
	v_clz_i32_u32_e32 v161, v51
	v_cmp_eq_u32_e32 vcc_lo, 0, v163
	s_delay_alu instid0(VALU_DEP_2) | instskip(NEXT) | instid1(VALU_DEP_1)
	v_min_u32_e32 v161, 32, v161
	v_subrev_nc_u32_e32 v162, 28, v161
	v_sub_nc_u32_e32 v161, 29, v161
	s_delay_alu instid0(VALU_DEP_1) | instskip(NEXT) | instid1(VALU_DEP_1)
	v_dual_cndmask_b32 v161, v163, v161 :: v_dual_lshlrev_b32 v162, v162, v32
	v_and_b32_e32 v162, 7, v162
	v_lshlrev_b32_e32 v164, 24, v32
	s_delay_alu instid0(VALU_DEP_3) | instskip(NEXT) | instid1(VALU_DEP_2)
	v_lshl_add_u32 v161, v161, 23, 0x3b800000
	v_dual_cndmask_b32 v51, v51, v162 :: v_dual_and_b32 v162, 0x80000000, v164
	s_delay_alu instid0(VALU_DEP_1) | instskip(NEXT) | instid1(VALU_DEP_1)
	v_lshlrev_b32_e32 v51, 20, v51
	v_or3_b32 v51, v162, v161, v51
.LBB6_5901:                             ;   in Loop: Header=BB6_5432 Depth=2
	s_or_b32 exec_lo, exec_lo, s24
	s_waitcnt vmcnt(2)
	v_and_b32_e32 v162, 0xff, v26
	s_mov_b32 s7, 0
	s_mov_b32 s25, exec_lo
                                        ; implicit-def: $sgpr24
	s_delay_alu instid0(VALU_DEP_1)
	v_cmpx_lt_i16_e64 0x7f, v162
	s_xor_b32 s25, exec_lo, s25
	s_cbranch_execnz .LBB6_7546
; %bb.5902:                             ;   in Loop: Header=BB6_5432 Depth=2
	s_or_saveexec_b32 s25, s25
	v_mov_b32_e32 v161, s24
	s_xor_b32 exec_lo, exec_lo, s25
	s_cbranch_execnz .LBB6_7549
.LBB6_5903:                             ;   in Loop: Header=BB6_5432 Depth=2
	s_or_b32 exec_lo, exec_lo, s25
	s_and_saveexec_b32 s24, s7
	s_cbranch_execz .LBB6_5905
.LBB6_5904:                             ;   in Loop: Header=BB6_5432 Depth=2
	v_and_b32_e32 v161, 7, v26
	v_bfe_u32 v164, v26, 3, 4
	v_lshlrev_b32_e32 v165, 24, v26
	s_delay_alu instid0(VALU_DEP_3) | instskip(NEXT) | instid1(VALU_DEP_3)
	v_clz_i32_u32_e32 v162, v161
	v_cmp_eq_u32_e32 vcc_lo, 0, v164
	s_delay_alu instid0(VALU_DEP_2) | instskip(NEXT) | instid1(VALU_DEP_1)
	v_min_u32_e32 v162, 32, v162
	v_subrev_nc_u32_e32 v163, 28, v162
	v_sub_nc_u32_e32 v162, 29, v162
	s_delay_alu instid0(VALU_DEP_2) | instskip(NEXT) | instid1(VALU_DEP_1)
	v_lshlrev_b32_e32 v163, v163, v26
	v_dual_cndmask_b32 v162, v164, v162 :: v_dual_and_b32 v163, 7, v163
	s_delay_alu instid0(VALU_DEP_1) | instskip(NEXT) | instid1(VALU_DEP_2)
	v_lshl_add_u32 v162, v162, 23, 0x3b800000
	v_cndmask_b32_e32 v161, v161, v163, vcc_lo
	v_and_b32_e32 v163, 0x80000000, v165
	s_delay_alu instid0(VALU_DEP_2) | instskip(NEXT) | instid1(VALU_DEP_1)
	v_lshlrev_b32_e32 v161, 20, v161
	v_or3_b32 v161, v163, v162, v161
.LBB6_5905:                             ;   in Loop: Header=BB6_5432 Depth=2
	s_or_b32 exec_lo, exec_lo, s24
	s_delay_alu instid0(VALU_DEP_1) | instskip(SKIP_2) | instid1(VALU_DEP_1)
	v_max_f32_e32 v161, v161, v161
	v_max_f32_e32 v51, v51, v51
	s_mov_b32 s7, 0
	v_max_f32_e32 v161, v51, v161
	s_branch .LBB6_5907
.LBB6_5906:                             ;   in Loop: Header=BB6_5432 Depth=2
	s_mov_b32 s7, -1
                                        ; implicit-def: $vgpr161
.LBB6_5907:                             ;   in Loop: Header=BB6_5432 Depth=2
	s_delay_alu instid0(SALU_CYCLE_1)
	s_and_b32 vcc_lo, exec_lo, s7
	s_cbranch_vccz .LBB6_5917
; %bb.5908:                             ;   in Loop: Header=BB6_5432 Depth=2
	v_and_b32_e32 v161, 0xff, v32
	s_mov_b32 s7, 0
	s_mov_b32 s25, exec_lo
                                        ; implicit-def: $sgpr24
	s_delay_alu instid0(VALU_DEP_1)
	v_cmpx_lt_i16_e64 0x7f, v161
	s_xor_b32 s25, exec_lo, s25
	s_cbranch_execnz .LBB6_7550
; %bb.5909:                             ;   in Loop: Header=BB6_5432 Depth=2
	s_or_saveexec_b32 s25, s25
	v_mov_b32_e32 v51, s24
	s_xor_b32 exec_lo, exec_lo, s25
	s_cbranch_execnz .LBB6_7553
.LBB6_5910:                             ;   in Loop: Header=BB6_5432 Depth=2
	s_or_b32 exec_lo, exec_lo, s25
	s_and_saveexec_b32 s24, s7
	s_cbranch_execz .LBB6_5912
.LBB6_5911:                             ;   in Loop: Header=BB6_5432 Depth=2
	v_and_b32_e32 v51, 7, v32
	v_bfe_u32 v163, v32, 3, 4
	s_delay_alu instid0(VALU_DEP_2) | instskip(NEXT) | instid1(VALU_DEP_2)
	v_clz_i32_u32_e32 v161, v51
	v_cmp_eq_u32_e32 vcc_lo, 0, v163
	s_delay_alu instid0(VALU_DEP_2) | instskip(NEXT) | instid1(VALU_DEP_1)
	v_min_u32_e32 v161, 32, v161
	v_subrev_nc_u32_e32 v162, 28, v161
	v_sub_nc_u32_e32 v161, 29, v161
	s_delay_alu instid0(VALU_DEP_1) | instskip(NEXT) | instid1(VALU_DEP_1)
	v_dual_cndmask_b32 v161, v163, v161 :: v_dual_lshlrev_b32 v162, v162, v32
	v_and_b32_e32 v162, 7, v162
	v_lshlrev_b32_e32 v164, 24, v32
	s_delay_alu instid0(VALU_DEP_3) | instskip(NEXT) | instid1(VALU_DEP_2)
	v_lshl_add_u32 v161, v161, 23, 0x3b800000
	v_dual_cndmask_b32 v51, v51, v162 :: v_dual_and_b32 v162, 0x80000000, v164
	s_delay_alu instid0(VALU_DEP_1) | instskip(NEXT) | instid1(VALU_DEP_1)
	v_lshlrev_b32_e32 v51, 20, v51
	v_or3_b32 v51, v162, v161, v51
.LBB6_5912:                             ;   in Loop: Header=BB6_5432 Depth=2
	s_or_b32 exec_lo, exec_lo, s24
	s_waitcnt vmcnt(2)
	v_and_b32_e32 v162, 0xff, v26
	s_mov_b32 s7, 0
	s_mov_b32 s25, exec_lo
                                        ; implicit-def: $sgpr24
	s_delay_alu instid0(VALU_DEP_1)
	v_cmpx_lt_i16_e64 0x7f, v162
	s_xor_b32 s25, exec_lo, s25
	s_cbranch_execnz .LBB6_7554
; %bb.5913:                             ;   in Loop: Header=BB6_5432 Depth=2
	s_or_saveexec_b32 s25, s25
	v_mov_b32_e32 v161, s24
	s_xor_b32 exec_lo, exec_lo, s25
	s_cbranch_execnz .LBB6_7557
.LBB6_5914:                             ;   in Loop: Header=BB6_5432 Depth=2
	s_or_b32 exec_lo, exec_lo, s25
	s_and_saveexec_b32 s24, s7
	s_cbranch_execz .LBB6_5916
.LBB6_5915:                             ;   in Loop: Header=BB6_5432 Depth=2
	v_and_b32_e32 v161, 7, v26
	v_bfe_u32 v164, v26, 3, 4
	v_lshlrev_b32_e32 v165, 24, v26
	s_delay_alu instid0(VALU_DEP_3) | instskip(NEXT) | instid1(VALU_DEP_3)
	v_clz_i32_u32_e32 v162, v161
	v_cmp_eq_u32_e32 vcc_lo, 0, v164
	s_delay_alu instid0(VALU_DEP_2) | instskip(NEXT) | instid1(VALU_DEP_1)
	v_min_u32_e32 v162, 32, v162
	v_subrev_nc_u32_e32 v163, 28, v162
	v_sub_nc_u32_e32 v162, 29, v162
	s_delay_alu instid0(VALU_DEP_2) | instskip(NEXT) | instid1(VALU_DEP_1)
	v_lshlrev_b32_e32 v163, v163, v26
	v_dual_cndmask_b32 v162, v164, v162 :: v_dual_and_b32 v163, 7, v163
	s_delay_alu instid0(VALU_DEP_1) | instskip(NEXT) | instid1(VALU_DEP_2)
	v_lshl_add_u32 v162, v162, 23, 0x3b800000
	v_cndmask_b32_e32 v161, v161, v163, vcc_lo
	v_and_b32_e32 v163, 0x80000000, v165
	s_delay_alu instid0(VALU_DEP_2) | instskip(NEXT) | instid1(VALU_DEP_1)
	v_lshlrev_b32_e32 v161, 20, v161
	v_or3_b32 v161, v163, v162, v161
.LBB6_5916:                             ;   in Loop: Header=BB6_5432 Depth=2
	s_or_b32 exec_lo, exec_lo, s24
	s_delay_alu instid0(VALU_DEP_1) | instskip(SKIP_1) | instid1(VALU_DEP_1)
	v_max_f32_e32 v161, v161, v161
	v_max_f32_e32 v51, v51, v51
	v_min_f32_e32 v161, v51, v161
.LBB6_5917:                             ;   in Loop: Header=BB6_5432 Depth=2
	s_delay_alu instid0(VALU_DEP_1) | instskip(NEXT) | instid1(VALU_DEP_1)
	v_and_b32_e32 v51, 0x7f800000, v161
	v_cmp_ne_u32_e32 vcc_lo, 0x7f800000, v51
	v_mov_b32_e32 v51, 0x80
	s_and_saveexec_b32 s24, vcc_lo
	s_cbranch_execz .LBB6_5925
; %bb.5918:                             ;   in Loop: Header=BB6_5432 Depth=2
	v_mov_b32_e32 v51, 0
	s_mov_b32 s25, exec_lo
	v_cmpx_ne_u32_e32 0, v161
	s_cbranch_execz .LBB6_5924
; %bb.5919:                             ;   in Loop: Header=BB6_5432 Depth=2
	v_bfe_u32 v51, v161, 23, 8
	s_delay_alu instid0(VALU_DEP_1) | instskip(SKIP_1) | instid1(VALU_DEP_2)
	v_sub_nc_u32_e32 v163, 0x78, v51
	v_cmp_gt_u32_e32 vcc_lo, 0x79, v51
	v_dual_cndmask_b32 v163, 0, v163 :: v_dual_and_b32 v162, 0x7fffff, v161
	s_delay_alu instid0(VALU_DEP_1) | instskip(SKIP_2) | instid1(VALU_DEP_4)
	v_or_b32_e32 v164, 0x800000, v162
	v_cmp_eq_u32_e32 vcc_lo, 0, v51
	v_add_nc_u32_e32 v51, 0xffffff89, v51
	v_cndmask_b32_e64 v163, v163, 0x77, vcc_lo
	s_delay_alu instid0(VALU_DEP_4) | instskip(NEXT) | instid1(VALU_DEP_3)
	v_cndmask_b32_e32 v162, v164, v162, vcc_lo
	v_cndmask_b32_e64 v51, v51, 0xffffff8a, vcc_lo
	s_delay_alu instid0(VALU_DEP_3) | instskip(NEXT) | instid1(VALU_DEP_3)
	v_lshl_add_u32 v164, 0x100000, v163, -1
	v_lshrrev_b32_e32 v165, v163, v162
	v_lshlrev_b32_e64 v167, v163, 0x80000
	s_delay_alu instid0(VALU_DEP_4) | instskip(NEXT) | instid1(VALU_DEP_4)
	v_add_nc_u32_e32 v163, v163, v51
	v_and_b32_e32 v162, v164, v162
	s_delay_alu instid0(VALU_DEP_4) | instskip(NEXT) | instid1(VALU_DEP_2)
	v_bfe_u32 v166, v165, 20, 1
	v_cmp_eq_u32_e64 s7, v162, v167
	s_delay_alu instid0(VALU_DEP_2) | instskip(NEXT) | instid1(VALU_DEP_1)
	v_add_nc_u32_e32 v164, -1, v166
	v_cndmask_b32_e64 v162, 0, v164, s7
	v_lshrrev_b32_e32 v164, 23, v165
	s_mov_b32 s7, exec_lo
	s_delay_alu instid0(VALU_DEP_2) | instskip(NEXT) | instid1(VALU_DEP_2)
	v_add_nc_u32_e32 v162, v162, v165
	v_xor_b32_e32 v164, 1, v164
	s_delay_alu instid0(VALU_DEP_2) | instskip(NEXT) | instid1(VALU_DEP_1)
	v_and_b32_e32 v51, 0xfffff, v162
	v_add_nc_u32_e32 v162, v51, v165
                                        ; implicit-def: $vgpr51
	s_delay_alu instid0(VALU_DEP_3)
	v_cmpx_ne_u32_e64 v163, v164
	s_xor_b32 s7, exec_lo, s7
; %bb.5920:                             ;   in Loop: Header=BB6_5432 Depth=2
	s_delay_alu instid0(VALU_DEP_2) | instskip(SKIP_2) | instid1(VALU_DEP_2)
	v_cmp_lt_u32_e32 vcc_lo, 0xffffff, v162
	v_sub_nc_u32_e32 v51, v163, v164
	v_cndmask_b32_e64 v163, 0, 1, vcc_lo
	v_add_co_ci_u32_e32 v51, vcc_lo, 0, v51, vcc_lo
	s_delay_alu instid0(VALU_DEP_2)
	v_lshrrev_b32_e32 v162, v163, v162
; %bb.5921:                             ;   in Loop: Header=BB6_5432 Depth=2
	s_and_not1_saveexec_b32 s7, s7
; %bb.5922:                             ;   in Loop: Header=BB6_5432 Depth=2
	s_delay_alu instid0(VALU_DEP_1)
	v_bfe_u32 v51, v162, 23, 1
; %bb.5923:                             ;   in Loop: Header=BB6_5432 Depth=2
	s_or_b32 exec_lo, exec_lo, s7
	v_lshrrev_b32_e32 v162, 20, v162
	s_delay_alu instid0(VALU_DEP_2) | instskip(SKIP_2) | instid1(VALU_DEP_2)
	v_cmp_gt_i32_e32 vcc_lo, 16, v51
	v_lshrrev_b32_e32 v161, 24, v161
	v_min_i32_e32 v163, 15, v51
	v_dual_cndmask_b32 v162, 7, v162 :: v_dual_and_b32 v161, 0x80, v161
	s_delay_alu instid0(VALU_DEP_2) | instskip(NEXT) | instid1(VALU_DEP_2)
	v_lshlrev_b32_e32 v163, 3, v163
	v_or_b32_e32 v51, v51, v162
	s_delay_alu instid0(VALU_DEP_1) | instskip(SKIP_1) | instid1(VALU_DEP_1)
	v_cmp_ne_u32_e32 vcc_lo, 0, v51
	v_and_b32_e32 v164, 7, v162
	v_or3_b32 v161, v163, v161, v164
	s_delay_alu instid0(VALU_DEP_1)
	v_cndmask_b32_e32 v51, 0, v161, vcc_lo
.LBB6_5924:                             ;   in Loop: Header=BB6_5432 Depth=2
	s_or_b32 exec_lo, exec_lo, s25
.LBB6_5925:                             ;   in Loop: Header=BB6_5432 Depth=2
	s_delay_alu instid0(SALU_CYCLE_1)
	s_or_b32 exec_lo, exec_lo, s24
	v_lshrrev_b16 v162, 8, v32
	s_waitcnt vmcnt(2)
	v_lshrrev_b16 v161, 8, v26
	s_and_not1_b32 vcc_lo, exec_lo, s23
	s_cbranch_vccnz .LBB6_5935
; %bb.5926:                             ;   in Loop: Header=BB6_5432 Depth=2
	s_mov_b32 s7, 0
	s_mov_b32 s25, exec_lo
                                        ; implicit-def: $sgpr24
	v_cmpx_lt_i16_e64 0x7f, v162
	s_xor_b32 s25, exec_lo, s25
	s_cbranch_execnz .LBB6_7558
; %bb.5927:                             ;   in Loop: Header=BB6_5432 Depth=2
	s_or_saveexec_b32 s25, s25
	v_mov_b32_e32 v163, s24
	s_xor_b32 exec_lo, exec_lo, s25
	s_cbranch_execnz .LBB6_7561
.LBB6_5928:                             ;   in Loop: Header=BB6_5432 Depth=2
	s_or_b32 exec_lo, exec_lo, s25
	s_and_saveexec_b32 s24, s7
	s_cbranch_execz .LBB6_5930
.LBB6_5929:                             ;   in Loop: Header=BB6_5432 Depth=2
	v_and_b32_e32 v163, 0xffff, v162
	s_delay_alu instid0(VALU_DEP_1) | instskip(NEXT) | instid1(VALU_DEP_1)
	v_and_b32_e32 v164, 7, v163
	v_clz_i32_u32_e32 v165, v164
	s_delay_alu instid0(VALU_DEP_1) | instskip(NEXT) | instid1(VALU_DEP_1)
	v_min_u32_e32 v165, 32, v165
	v_subrev_nc_u32_e32 v166, 28, v165
	v_sub_nc_u32_e32 v165, 29, v165
	s_delay_alu instid0(VALU_DEP_2) | instskip(SKIP_1) | instid1(VALU_DEP_2)
	v_lshlrev_b32_e32 v166, v166, v163
	v_bfe_u32 v163, v163, 3, 4
	v_and_b32_e32 v166, 7, v166
	s_delay_alu instid0(VALU_DEP_2) | instskip(SKIP_1) | instid1(VALU_DEP_3)
	v_cmp_eq_u32_e32 vcc_lo, 0, v163
	v_cndmask_b32_e32 v163, v163, v165, vcc_lo
	v_dual_cndmask_b32 v164, v164, v166 :: v_dual_lshlrev_b32 v167, 16, v32
	s_delay_alu instid0(VALU_DEP_2) | instskip(NEXT) | instid1(VALU_DEP_2)
	v_lshl_add_u32 v163, v163, 23, 0x3b800000
	v_and_b32_e32 v165, 0x80000000, v167
	s_delay_alu instid0(VALU_DEP_3) | instskip(NEXT) | instid1(VALU_DEP_1)
	v_lshlrev_b32_e32 v164, 20, v164
	v_or3_b32 v163, v165, v163, v164
.LBB6_5930:                             ;   in Loop: Header=BB6_5432 Depth=2
	s_or_b32 exec_lo, exec_lo, s24
	s_mov_b32 s7, 0
	s_mov_b32 s25, exec_lo
                                        ; implicit-def: $sgpr24
	v_cmpx_lt_i16_e64 0x7f, v161
	s_xor_b32 s25, exec_lo, s25
	s_cbranch_execnz .LBB6_7562
; %bb.5931:                             ;   in Loop: Header=BB6_5432 Depth=2
	s_or_saveexec_b32 s25, s25
	v_mov_b32_e32 v164, s24
	s_xor_b32 exec_lo, exec_lo, s25
	s_cbranch_execnz .LBB6_7565
.LBB6_5932:                             ;   in Loop: Header=BB6_5432 Depth=2
	s_or_b32 exec_lo, exec_lo, s25
	s_and_saveexec_b32 s24, s7
	s_cbranch_execz .LBB6_5934
.LBB6_5933:                             ;   in Loop: Header=BB6_5432 Depth=2
	v_and_b32_e32 v164, 0xffff, v161
	v_lshlrev_b32_e32 v176, 16, v26
	s_delay_alu instid0(VALU_DEP_2) | instskip(NEXT) | instid1(VALU_DEP_1)
	v_and_b32_e32 v165, 7, v164
	v_clz_i32_u32_e32 v166, v165
	s_delay_alu instid0(VALU_DEP_1) | instskip(NEXT) | instid1(VALU_DEP_1)
	v_min_u32_e32 v166, 32, v166
	v_subrev_nc_u32_e32 v167, 28, v166
	v_sub_nc_u32_e32 v166, 29, v166
	s_delay_alu instid0(VALU_DEP_2) | instskip(SKIP_1) | instid1(VALU_DEP_2)
	v_lshlrev_b32_e32 v167, v167, v164
	v_bfe_u32 v164, v164, 3, 4
	v_and_b32_e32 v167, 7, v167
	s_delay_alu instid0(VALU_DEP_2) | instskip(NEXT) | instid1(VALU_DEP_2)
	v_cmp_eq_u32_e32 vcc_lo, 0, v164
	v_dual_cndmask_b32 v164, v164, v166 :: v_dual_cndmask_b32 v165, v165, v167
	v_and_b32_e32 v166, 0x80000000, v176
	s_delay_alu instid0(VALU_DEP_2) | instskip(NEXT) | instid1(VALU_DEP_3)
	v_lshl_add_u32 v164, v164, 23, 0x3b800000
	v_lshlrev_b32_e32 v165, 20, v165
	s_delay_alu instid0(VALU_DEP_1)
	v_or3_b32 v164, v166, v164, v165
.LBB6_5934:                             ;   in Loop: Header=BB6_5432 Depth=2
	s_or_b32 exec_lo, exec_lo, s24
	s_delay_alu instid0(VALU_DEP_1) | instskip(SKIP_1) | instid1(VALU_DEP_1)
	v_dual_max_f32 v164, v164, v164 :: v_dual_max_f32 v163, v163, v163
	s_mov_b32 s7, 0
	v_max_f32_e32 v163, v163, v164
	s_branch .LBB6_5936
.LBB6_5935:                             ;   in Loop: Header=BB6_5432 Depth=2
	s_mov_b32 s7, -1
                                        ; implicit-def: $vgpr163
.LBB6_5936:                             ;   in Loop: Header=BB6_5432 Depth=2
	s_delay_alu instid0(SALU_CYCLE_1)
	s_and_b32 vcc_lo, exec_lo, s7
	s_cbranch_vccz .LBB6_5946
; %bb.5937:                             ;   in Loop: Header=BB6_5432 Depth=2
	s_mov_b32 s7, 0
	s_mov_b32 s25, exec_lo
                                        ; implicit-def: $sgpr24
	v_cmpx_lt_i16_e64 0x7f, v162
	s_xor_b32 s25, exec_lo, s25
	s_cbranch_execnz .LBB6_7566
; %bb.5938:                             ;   in Loop: Header=BB6_5432 Depth=2
	s_or_saveexec_b32 s25, s25
	v_mov_b32_e32 v163, s24
	s_xor_b32 exec_lo, exec_lo, s25
	s_cbranch_execnz .LBB6_7569
.LBB6_5939:                             ;   in Loop: Header=BB6_5432 Depth=2
	s_or_b32 exec_lo, exec_lo, s25
	s_and_saveexec_b32 s24, s7
	s_cbranch_execz .LBB6_5941
.LBB6_5940:                             ;   in Loop: Header=BB6_5432 Depth=2
	v_and_b32_e32 v162, 0xffff, v162
	v_lshlrev_b32_e32 v166, 16, v32
	s_delay_alu instid0(VALU_DEP_2) | instskip(NEXT) | instid1(VALU_DEP_1)
	v_and_b32_e32 v163, 7, v162
	v_clz_i32_u32_e32 v164, v163
	s_delay_alu instid0(VALU_DEP_1) | instskip(NEXT) | instid1(VALU_DEP_1)
	v_min_u32_e32 v164, 32, v164
	v_subrev_nc_u32_e32 v165, 28, v164
	v_sub_nc_u32_e32 v164, 29, v164
	s_delay_alu instid0(VALU_DEP_2) | instskip(SKIP_1) | instid1(VALU_DEP_2)
	v_lshlrev_b32_e32 v165, v165, v162
	v_bfe_u32 v162, v162, 3, 4
	v_and_b32_e32 v165, 7, v165
	s_delay_alu instid0(VALU_DEP_2) | instskip(NEXT) | instid1(VALU_DEP_2)
	v_cmp_eq_u32_e32 vcc_lo, 0, v162
	v_dual_cndmask_b32 v162, v162, v164 :: v_dual_cndmask_b32 v163, v163, v165
	v_and_b32_e32 v164, 0x80000000, v166
	s_delay_alu instid0(VALU_DEP_2) | instskip(NEXT) | instid1(VALU_DEP_3)
	v_lshl_add_u32 v162, v162, 23, 0x3b800000
	v_lshlrev_b32_e32 v163, 20, v163
	s_delay_alu instid0(VALU_DEP_1)
	v_or3_b32 v163, v164, v162, v163
.LBB6_5941:                             ;   in Loop: Header=BB6_5432 Depth=2
	s_or_b32 exec_lo, exec_lo, s24
	s_mov_b32 s7, 0
	s_mov_b32 s25, exec_lo
                                        ; implicit-def: $sgpr24
	v_cmpx_lt_i16_e64 0x7f, v161
	s_xor_b32 s25, exec_lo, s25
	s_cbranch_execnz .LBB6_7570
; %bb.5942:                             ;   in Loop: Header=BB6_5432 Depth=2
	s_or_saveexec_b32 s25, s25
	v_mov_b32_e32 v162, s24
	s_xor_b32 exec_lo, exec_lo, s25
	s_cbranch_execnz .LBB6_7573
.LBB6_5943:                             ;   in Loop: Header=BB6_5432 Depth=2
	s_or_b32 exec_lo, exec_lo, s25
	s_and_saveexec_b32 s24, s7
	s_cbranch_execz .LBB6_5945
.LBB6_5944:                             ;   in Loop: Header=BB6_5432 Depth=2
	v_and_b32_e32 v161, 0xffff, v161
	v_lshlrev_b32_e32 v166, 16, v26
	s_delay_alu instid0(VALU_DEP_2) | instskip(NEXT) | instid1(VALU_DEP_1)
	v_and_b32_e32 v162, 7, v161
	v_clz_i32_u32_e32 v164, v162
	s_delay_alu instid0(VALU_DEP_1) | instskip(NEXT) | instid1(VALU_DEP_1)
	v_min_u32_e32 v164, 32, v164
	v_subrev_nc_u32_e32 v165, 28, v164
	v_sub_nc_u32_e32 v164, 29, v164
	s_delay_alu instid0(VALU_DEP_2) | instskip(SKIP_1) | instid1(VALU_DEP_2)
	v_lshlrev_b32_e32 v165, v165, v161
	v_bfe_u32 v161, v161, 3, 4
	v_and_b32_e32 v165, 7, v165
	s_delay_alu instid0(VALU_DEP_2) | instskip(NEXT) | instid1(VALU_DEP_2)
	v_cmp_eq_u32_e32 vcc_lo, 0, v161
	v_dual_cndmask_b32 v161, v161, v164 :: v_dual_cndmask_b32 v162, v162, v165
	v_and_b32_e32 v164, 0x80000000, v166
	s_delay_alu instid0(VALU_DEP_2) | instskip(NEXT) | instid1(VALU_DEP_3)
	v_lshl_add_u32 v161, v161, 23, 0x3b800000
	v_lshlrev_b32_e32 v162, 20, v162
	s_delay_alu instid0(VALU_DEP_1)
	v_or3_b32 v162, v164, v161, v162
.LBB6_5945:                             ;   in Loop: Header=BB6_5432 Depth=2
	s_or_b32 exec_lo, exec_lo, s24
	s_delay_alu instid0(VALU_DEP_1) | instskip(NEXT) | instid1(VALU_DEP_1)
	v_dual_max_f32 v161, v162, v162 :: v_dual_max_f32 v162, v163, v163
	v_min_f32_e32 v163, v162, v161
.LBB6_5946:                             ;   in Loop: Header=BB6_5432 Depth=2
	s_delay_alu instid0(VALU_DEP_1) | instskip(NEXT) | instid1(VALU_DEP_1)
	v_and_b32_e32 v161, 0x7f800000, v163
	v_cmp_ne_u32_e32 vcc_lo, 0x7f800000, v161
	v_mov_b32_e32 v161, 0x80
	s_and_saveexec_b32 s24, vcc_lo
	s_cbranch_execz .LBB6_5954
; %bb.5947:                             ;   in Loop: Header=BB6_5432 Depth=2
	v_mov_b32_e32 v161, 0
	s_mov_b32 s25, exec_lo
	v_cmpx_ne_u32_e32 0, v163
	s_cbranch_execz .LBB6_5953
; %bb.5948:                             ;   in Loop: Header=BB6_5432 Depth=2
	v_bfe_u32 v161, v163, 23, 8
	v_and_b32_e32 v162, 0x7fffff, v163
	s_delay_alu instid0(VALU_DEP_2) | instskip(SKIP_1) | instid1(VALU_DEP_3)
	v_sub_nc_u32_e32 v164, 0x78, v161
	v_cmp_gt_u32_e32 vcc_lo, 0x79, v161
	v_or_b32_e32 v165, 0x800000, v162
	s_delay_alu instid0(VALU_DEP_3) | instskip(SKIP_2) | instid1(VALU_DEP_3)
	v_cndmask_b32_e32 v164, 0, v164, vcc_lo
	v_cmp_eq_u32_e32 vcc_lo, 0, v161
	v_add_nc_u32_e32 v161, 0xffffff89, v161
	v_cndmask_b32_e64 v164, v164, 0x77, vcc_lo
	v_cndmask_b32_e32 v162, v165, v162, vcc_lo
	s_delay_alu instid0(VALU_DEP_3) | instskip(NEXT) | instid1(VALU_DEP_3)
	v_cndmask_b32_e64 v161, v161, 0xffffff8a, vcc_lo
	v_lshl_add_u32 v165, 0x100000, v164, -1
	s_delay_alu instid0(VALU_DEP_3) | instskip(SKIP_1) | instid1(VALU_DEP_4)
	v_lshrrev_b32_e32 v166, v164, v162
	v_lshlrev_b32_e64 v176, v164, 0x80000
	v_add_nc_u32_e32 v164, v164, v161
	s_delay_alu instid0(VALU_DEP_4) | instskip(NEXT) | instid1(VALU_DEP_4)
	v_and_b32_e32 v162, v165, v162
	v_bfe_u32 v167, v166, 20, 1
	s_delay_alu instid0(VALU_DEP_2) | instskip(NEXT) | instid1(VALU_DEP_2)
	v_cmp_eq_u32_e64 s7, v162, v176
	v_add_nc_u32_e32 v165, -1, v167
	s_delay_alu instid0(VALU_DEP_1) | instskip(SKIP_2) | instid1(VALU_DEP_2)
	v_cndmask_b32_e64 v162, 0, v165, s7
	v_lshrrev_b32_e32 v165, 23, v166
	s_mov_b32 s7, exec_lo
	v_add_nc_u32_e32 v162, v162, v166
	s_delay_alu instid0(VALU_DEP_2) | instskip(NEXT) | instid1(VALU_DEP_2)
	v_xor_b32_e32 v165, 1, v165
	v_and_b32_e32 v161, 0xfffff, v162
	s_delay_alu instid0(VALU_DEP_1) | instskip(NEXT) | instid1(VALU_DEP_3)
	v_add_nc_u32_e32 v162, v161, v166
                                        ; implicit-def: $vgpr161
	v_cmpx_ne_u32_e64 v164, v165
	s_xor_b32 s7, exec_lo, s7
; %bb.5949:                             ;   in Loop: Header=BB6_5432 Depth=2
	s_delay_alu instid0(VALU_DEP_2) | instskip(SKIP_2) | instid1(VALU_DEP_2)
	v_cmp_lt_u32_e32 vcc_lo, 0xffffff, v162
	v_sub_nc_u32_e32 v161, v164, v165
	v_cndmask_b32_e64 v164, 0, 1, vcc_lo
	v_add_co_ci_u32_e32 v161, vcc_lo, 0, v161, vcc_lo
	s_delay_alu instid0(VALU_DEP_2)
	v_lshrrev_b32_e32 v162, v164, v162
; %bb.5950:                             ;   in Loop: Header=BB6_5432 Depth=2
	s_and_not1_saveexec_b32 s7, s7
; %bb.5951:                             ;   in Loop: Header=BB6_5432 Depth=2
	s_delay_alu instid0(VALU_DEP_1)
	v_bfe_u32 v161, v162, 23, 1
; %bb.5952:                             ;   in Loop: Header=BB6_5432 Depth=2
	s_or_b32 exec_lo, exec_lo, s7
	v_lshrrev_b32_e32 v162, 20, v162
	s_delay_alu instid0(VALU_DEP_2) | instskip(SKIP_2) | instid1(VALU_DEP_2)
	v_cmp_gt_i32_e32 vcc_lo, 16, v161
	v_lshrrev_b32_e32 v163, 24, v163
	v_min_i32_e32 v164, 15, v161
	v_dual_cndmask_b32 v162, 7, v162 :: v_dual_and_b32 v163, 0x80, v163
	s_delay_alu instid0(VALU_DEP_1) | instskip(SKIP_1) | instid1(VALU_DEP_2)
	v_or_b32_e32 v161, v161, v162
	v_and_b32_e32 v165, 7, v162
	v_cmp_ne_u32_e32 vcc_lo, 0, v161
	v_lshlrev_b32_e32 v164, 3, v164
	s_delay_alu instid0(VALU_DEP_1) | instskip(NEXT) | instid1(VALU_DEP_1)
	v_or3_b32 v162, v164, v163, v165
	v_cndmask_b32_e32 v161, 0, v162, vcc_lo
.LBB6_5953:                             ;   in Loop: Header=BB6_5432 Depth=2
	s_or_b32 exec_lo, exec_lo, s25
.LBB6_5954:                             ;   in Loop: Header=BB6_5432 Depth=2
	s_delay_alu instid0(SALU_CYCLE_1)
	s_or_b32 exec_lo, exec_lo, s24
	v_lshrrev_b32_e32 v163, 16, v32
	v_lshrrev_b32_e32 v162, 16, v26
	s_and_not1_b32 vcc_lo, exec_lo, s23
	s_cbranch_vccnz .LBB6_5964
; %bb.5955:                             ;   in Loop: Header=BB6_5432 Depth=2
	s_delay_alu instid0(VALU_DEP_2) | instskip(SKIP_2) | instid1(VALU_DEP_1)
	v_and_b32_e32 v165, 0xff, v163
	s_mov_b32 s7, 0
	s_mov_b32 s25, exec_lo
                                        ; implicit-def: $sgpr24
	v_cmpx_lt_i16_e64 0x7f, v165
	s_xor_b32 s25, exec_lo, s25
	s_cbranch_execnz .LBB6_7574
; %bb.5956:                             ;   in Loop: Header=BB6_5432 Depth=2
	s_or_saveexec_b32 s25, s25
	v_mov_b32_e32 v164, s24
	s_xor_b32 exec_lo, exec_lo, s25
	s_cbranch_execnz .LBB6_7577
.LBB6_5957:                             ;   in Loop: Header=BB6_5432 Depth=2
	s_or_b32 exec_lo, exec_lo, s25
	s_and_saveexec_b32 s24, s7
	s_cbranch_execz .LBB6_5959
.LBB6_5958:                             ;   in Loop: Header=BB6_5432 Depth=2
	v_bfe_u32 v164, v32, 16, 3
	v_bfe_u32 v167, v32, 19, 4
	v_lshlrev_b32_e32 v176, 24, v163
	s_delay_alu instid0(VALU_DEP_3) | instskip(NEXT) | instid1(VALU_DEP_3)
	v_clz_i32_u32_e32 v165, v164
	v_cmp_eq_u32_e32 vcc_lo, 0, v167
	s_delay_alu instid0(VALU_DEP_2) | instskip(NEXT) | instid1(VALU_DEP_1)
	v_min_u32_e32 v165, 32, v165
	v_subrev_nc_u32_e32 v166, 28, v165
	v_sub_nc_u32_e32 v165, 29, v165
	s_delay_alu instid0(VALU_DEP_1) | instskip(NEXT) | instid1(VALU_DEP_1)
	v_dual_cndmask_b32 v165, v167, v165 :: v_dual_lshlrev_b32 v166, v166, v163
	v_and_b32_e32 v166, 7, v166
	s_delay_alu instid0(VALU_DEP_2) | instskip(NEXT) | instid1(VALU_DEP_2)
	v_lshl_add_u32 v165, v165, 23, 0x3b800000
	v_cndmask_b32_e32 v164, v164, v166, vcc_lo
	v_and_b32_e32 v166, 0x80000000, v176
	s_delay_alu instid0(VALU_DEP_2) | instskip(NEXT) | instid1(VALU_DEP_1)
	v_lshlrev_b32_e32 v164, 20, v164
	v_or3_b32 v164, v166, v165, v164
.LBB6_5959:                             ;   in Loop: Header=BB6_5432 Depth=2
	s_or_b32 exec_lo, exec_lo, s24
	v_and_b32_e32 v166, 0xff, v162
	s_mov_b32 s7, 0
	s_mov_b32 s25, exec_lo
                                        ; implicit-def: $sgpr24
	s_delay_alu instid0(VALU_DEP_1)
	v_cmpx_lt_i16_e64 0x7f, v166
	s_xor_b32 s25, exec_lo, s25
	s_cbranch_execnz .LBB6_7578
; %bb.5960:                             ;   in Loop: Header=BB6_5432 Depth=2
	s_or_saveexec_b32 s25, s25
	v_mov_b32_e32 v165, s24
	s_xor_b32 exec_lo, exec_lo, s25
	s_cbranch_execnz .LBB6_7581
.LBB6_5961:                             ;   in Loop: Header=BB6_5432 Depth=2
	s_or_b32 exec_lo, exec_lo, s25
	s_and_saveexec_b32 s24, s7
	s_cbranch_execz .LBB6_5963
.LBB6_5962:                             ;   in Loop: Header=BB6_5432 Depth=2
	v_bfe_u32 v165, v26, 16, 3
	v_bfe_u32 v176, v26, 19, 4
	v_lshlrev_b32_e32 v177, 24, v162
	s_delay_alu instid0(VALU_DEP_3) | instskip(NEXT) | instid1(VALU_DEP_3)
	v_clz_i32_u32_e32 v166, v165
	v_cmp_eq_u32_e32 vcc_lo, 0, v176
	s_delay_alu instid0(VALU_DEP_2) | instskip(NEXT) | instid1(VALU_DEP_1)
	v_min_u32_e32 v166, 32, v166
	v_subrev_nc_u32_e32 v167, 28, v166
	v_sub_nc_u32_e32 v166, 29, v166
	s_delay_alu instid0(VALU_DEP_2) | instskip(NEXT) | instid1(VALU_DEP_1)
	v_lshlrev_b32_e32 v167, v167, v162
	v_dual_cndmask_b32 v166, v176, v166 :: v_dual_and_b32 v167, 7, v167
	s_delay_alu instid0(VALU_DEP_1) | instskip(NEXT) | instid1(VALU_DEP_2)
	v_lshl_add_u32 v166, v166, 23, 0x3b800000
	v_cndmask_b32_e32 v165, v165, v167, vcc_lo
	v_and_b32_e32 v167, 0x80000000, v177
	s_delay_alu instid0(VALU_DEP_2) | instskip(NEXT) | instid1(VALU_DEP_1)
	v_lshlrev_b32_e32 v165, 20, v165
	v_or3_b32 v165, v167, v166, v165
.LBB6_5963:                             ;   in Loop: Header=BB6_5432 Depth=2
	s_or_b32 exec_lo, exec_lo, s24
	s_delay_alu instid0(VALU_DEP_1) | instskip(SKIP_1) | instid1(VALU_DEP_1)
	v_dual_max_f32 v165, v165, v165 :: v_dual_max_f32 v164, v164, v164
	s_mov_b32 s7, 0
	v_max_f32_e32 v164, v164, v165
	s_branch .LBB6_5965
.LBB6_5964:                             ;   in Loop: Header=BB6_5432 Depth=2
	s_mov_b32 s7, -1
                                        ; implicit-def: $vgpr164
.LBB6_5965:                             ;   in Loop: Header=BB6_5432 Depth=2
	s_delay_alu instid0(SALU_CYCLE_1)
	s_and_b32 vcc_lo, exec_lo, s7
	s_cbranch_vccz .LBB6_5975
; %bb.5966:                             ;   in Loop: Header=BB6_5432 Depth=2
	v_and_b32_e32 v165, 0xff, v163
	s_mov_b32 s7, 0
	s_mov_b32 s25, exec_lo
                                        ; implicit-def: $sgpr24
	s_delay_alu instid0(VALU_DEP_1)
	v_cmpx_lt_i16_e64 0x7f, v165
	s_xor_b32 s25, exec_lo, s25
	s_cbranch_execnz .LBB6_7582
; %bb.5967:                             ;   in Loop: Header=BB6_5432 Depth=2
	s_or_saveexec_b32 s25, s25
	v_mov_b32_e32 v164, s24
	s_xor_b32 exec_lo, exec_lo, s25
	s_cbranch_execnz .LBB6_7585
.LBB6_5968:                             ;   in Loop: Header=BB6_5432 Depth=2
	s_or_b32 exec_lo, exec_lo, s25
	s_and_saveexec_b32 s24, s7
	s_cbranch_execz .LBB6_5970
.LBB6_5969:                             ;   in Loop: Header=BB6_5432 Depth=2
	v_bfe_u32 v164, v32, 16, 3
	v_bfe_u32 v167, v32, 19, 4
	s_delay_alu instid0(VALU_DEP_2) | instskip(NEXT) | instid1(VALU_DEP_2)
	v_clz_i32_u32_e32 v165, v164
	v_cmp_eq_u32_e32 vcc_lo, 0, v167
	s_delay_alu instid0(VALU_DEP_2) | instskip(NEXT) | instid1(VALU_DEP_1)
	v_min_u32_e32 v165, 32, v165
	v_subrev_nc_u32_e32 v166, 28, v165
	v_sub_nc_u32_e32 v165, 29, v165
	s_delay_alu instid0(VALU_DEP_1) | instskip(NEXT) | instid1(VALU_DEP_1)
	v_dual_cndmask_b32 v165, v167, v165 :: v_dual_lshlrev_b32 v166, v166, v163
	v_and_b32_e32 v166, 7, v166
	v_lshlrev_b32_e32 v163, 24, v163
	s_delay_alu instid0(VALU_DEP_3) | instskip(NEXT) | instid1(VALU_DEP_2)
	v_lshl_add_u32 v165, v165, 23, 0x3b800000
	v_dual_cndmask_b32 v164, v164, v166 :: v_dual_and_b32 v163, 0x80000000, v163
	s_delay_alu instid0(VALU_DEP_1) | instskip(NEXT) | instid1(VALU_DEP_1)
	v_lshlrev_b32_e32 v164, 20, v164
	v_or3_b32 v164, v163, v165, v164
.LBB6_5970:                             ;   in Loop: Header=BB6_5432 Depth=2
	s_or_b32 exec_lo, exec_lo, s24
	v_and_b32_e32 v165, 0xff, v162
	s_mov_b32 s7, 0
	s_mov_b32 s25, exec_lo
                                        ; implicit-def: $sgpr24
	s_delay_alu instid0(VALU_DEP_1)
	v_cmpx_lt_i16_e64 0x7f, v165
	s_xor_b32 s25, exec_lo, s25
	s_cbranch_execnz .LBB6_7586
; %bb.5971:                             ;   in Loop: Header=BB6_5432 Depth=2
	s_or_saveexec_b32 s25, s25
	v_mov_b32_e32 v163, s24
	s_xor_b32 exec_lo, exec_lo, s25
	s_cbranch_execnz .LBB6_7589
.LBB6_5972:                             ;   in Loop: Header=BB6_5432 Depth=2
	s_or_b32 exec_lo, exec_lo, s25
	s_and_saveexec_b32 s24, s7
	s_cbranch_execz .LBB6_5974
.LBB6_5973:                             ;   in Loop: Header=BB6_5432 Depth=2
	v_bfe_u32 v163, v26, 16, 3
	v_bfe_u32 v167, v26, 19, 4
	s_delay_alu instid0(VALU_DEP_2) | instskip(NEXT) | instid1(VALU_DEP_2)
	v_clz_i32_u32_e32 v165, v163
	v_cmp_eq_u32_e32 vcc_lo, 0, v167
	s_delay_alu instid0(VALU_DEP_2) | instskip(NEXT) | instid1(VALU_DEP_1)
	v_min_u32_e32 v165, 32, v165
	v_subrev_nc_u32_e32 v166, 28, v165
	v_sub_nc_u32_e32 v165, 29, v165
	s_delay_alu instid0(VALU_DEP_1) | instskip(SKIP_1) | instid1(VALU_DEP_2)
	v_dual_cndmask_b32 v165, v167, v165 :: v_dual_lshlrev_b32 v166, v166, v162
	v_lshlrev_b32_e32 v162, 24, v162
	v_and_b32_e32 v166, 7, v166
	s_delay_alu instid0(VALU_DEP_3) | instskip(NEXT) | instid1(VALU_DEP_3)
	v_lshl_add_u32 v165, v165, 23, 0x3b800000
	v_and_b32_e32 v162, 0x80000000, v162
	s_delay_alu instid0(VALU_DEP_3) | instskip(NEXT) | instid1(VALU_DEP_1)
	v_cndmask_b32_e32 v163, v163, v166, vcc_lo
	v_lshlrev_b32_e32 v163, 20, v163
	s_delay_alu instid0(VALU_DEP_1)
	v_or3_b32 v163, v162, v165, v163
.LBB6_5974:                             ;   in Loop: Header=BB6_5432 Depth=2
	s_or_b32 exec_lo, exec_lo, s24
	s_delay_alu instid0(VALU_DEP_1) | instskip(NEXT) | instid1(VALU_DEP_1)
	v_dual_max_f32 v162, v163, v163 :: v_dual_max_f32 v163, v164, v164
	v_min_f32_e32 v164, v163, v162
.LBB6_5975:                             ;   in Loop: Header=BB6_5432 Depth=2
	s_delay_alu instid0(VALU_DEP_1) | instskip(NEXT) | instid1(VALU_DEP_1)
	v_and_b32_e32 v162, 0x7f800000, v164
	v_cmp_ne_u32_e32 vcc_lo, 0x7f800000, v162
	v_mov_b32_e32 v162, 0x80
	s_and_saveexec_b32 s24, vcc_lo
	s_cbranch_execz .LBB6_5983
; %bb.5976:                             ;   in Loop: Header=BB6_5432 Depth=2
	v_mov_b32_e32 v162, 0
	s_mov_b32 s25, exec_lo
	v_cmpx_ne_u32_e32 0, v164
	s_cbranch_execz .LBB6_5982
; %bb.5977:                             ;   in Loop: Header=BB6_5432 Depth=2
	v_bfe_u32 v162, v164, 23, 8
	v_and_b32_e32 v163, 0x7fffff, v164
	s_delay_alu instid0(VALU_DEP_2) | instskip(SKIP_1) | instid1(VALU_DEP_3)
	v_sub_nc_u32_e32 v165, 0x78, v162
	v_cmp_gt_u32_e32 vcc_lo, 0x79, v162
	v_or_b32_e32 v166, 0x800000, v163
	s_delay_alu instid0(VALU_DEP_3) | instskip(SKIP_2) | instid1(VALU_DEP_3)
	v_cndmask_b32_e32 v165, 0, v165, vcc_lo
	v_cmp_eq_u32_e32 vcc_lo, 0, v162
	v_add_nc_u32_e32 v162, 0xffffff89, v162
	v_cndmask_b32_e64 v165, v165, 0x77, vcc_lo
	v_cndmask_b32_e32 v163, v166, v163, vcc_lo
	s_delay_alu instid0(VALU_DEP_3) | instskip(NEXT) | instid1(VALU_DEP_3)
	v_cndmask_b32_e64 v162, v162, 0xffffff8a, vcc_lo
	v_lshl_add_u32 v166, 0x100000, v165, -1
	s_delay_alu instid0(VALU_DEP_3) | instskip(SKIP_1) | instid1(VALU_DEP_4)
	v_lshrrev_b32_e32 v167, v165, v163
	v_lshlrev_b32_e64 v177, v165, 0x80000
	v_add_nc_u32_e32 v165, v165, v162
	s_delay_alu instid0(VALU_DEP_4) | instskip(NEXT) | instid1(VALU_DEP_4)
	v_and_b32_e32 v163, v166, v163
	v_bfe_u32 v176, v167, 20, 1
	s_delay_alu instid0(VALU_DEP_2) | instskip(NEXT) | instid1(VALU_DEP_2)
	v_cmp_eq_u32_e64 s7, v163, v177
	v_add_nc_u32_e32 v166, -1, v176
	s_delay_alu instid0(VALU_DEP_1) | instskip(SKIP_2) | instid1(VALU_DEP_2)
	v_cndmask_b32_e64 v163, 0, v166, s7
	v_lshrrev_b32_e32 v166, 23, v167
	s_mov_b32 s7, exec_lo
	v_add_nc_u32_e32 v163, v163, v167
	s_delay_alu instid0(VALU_DEP_2) | instskip(NEXT) | instid1(VALU_DEP_2)
	v_xor_b32_e32 v166, 1, v166
	v_and_b32_e32 v162, 0xfffff, v163
	s_delay_alu instid0(VALU_DEP_1) | instskip(NEXT) | instid1(VALU_DEP_3)
	v_add_nc_u32_e32 v163, v162, v167
                                        ; implicit-def: $vgpr162
	v_cmpx_ne_u32_e64 v165, v166
	s_xor_b32 s7, exec_lo, s7
; %bb.5978:                             ;   in Loop: Header=BB6_5432 Depth=2
	s_delay_alu instid0(VALU_DEP_2) | instskip(SKIP_2) | instid1(VALU_DEP_2)
	v_cmp_lt_u32_e32 vcc_lo, 0xffffff, v163
	v_sub_nc_u32_e32 v162, v165, v166
	v_cndmask_b32_e64 v165, 0, 1, vcc_lo
	v_add_co_ci_u32_e32 v162, vcc_lo, 0, v162, vcc_lo
	s_delay_alu instid0(VALU_DEP_2)
	v_lshrrev_b32_e32 v163, v165, v163
; %bb.5979:                             ;   in Loop: Header=BB6_5432 Depth=2
	s_and_not1_saveexec_b32 s7, s7
; %bb.5980:                             ;   in Loop: Header=BB6_5432 Depth=2
	s_delay_alu instid0(VALU_DEP_1)
	v_bfe_u32 v162, v163, 23, 1
; %bb.5981:                             ;   in Loop: Header=BB6_5432 Depth=2
	s_or_b32 exec_lo, exec_lo, s7
	v_lshrrev_b32_e32 v163, 20, v163
	s_delay_alu instid0(VALU_DEP_2) | instskip(SKIP_2) | instid1(VALU_DEP_2)
	v_cmp_gt_i32_e32 vcc_lo, 16, v162
	v_lshrrev_b32_e32 v164, 24, v164
	v_min_i32_e32 v165, 15, v162
	v_dual_cndmask_b32 v163, 7, v163 :: v_dual_and_b32 v164, 0x80, v164
	s_delay_alu instid0(VALU_DEP_1) | instskip(SKIP_1) | instid1(VALU_DEP_2)
	v_or_b32_e32 v162, v162, v163
	v_and_b32_e32 v166, 7, v163
	v_cmp_ne_u32_e32 vcc_lo, 0, v162
	v_lshlrev_b32_e32 v165, 3, v165
	s_delay_alu instid0(VALU_DEP_1) | instskip(NEXT) | instid1(VALU_DEP_1)
	v_or3_b32 v163, v165, v164, v166
	v_cndmask_b32_e32 v162, 0, v163, vcc_lo
.LBB6_5982:                             ;   in Loop: Header=BB6_5432 Depth=2
	s_or_b32 exec_lo, exec_lo, s25
.LBB6_5983:                             ;   in Loop: Header=BB6_5432 Depth=2
	s_delay_alu instid0(SALU_CYCLE_1)
	s_or_b32 exec_lo, exec_lo, s24
	v_lshrrev_b32_e32 v164, 24, v32
	v_lshrrev_b32_e32 v163, 24, v26
	s_and_not1_b32 vcc_lo, exec_lo, s23
	s_cbranch_vccnz .LBB6_5993
; %bb.5984:                             ;   in Loop: Header=BB6_5432 Depth=2
	s_mov_b32 s7, 0
	s_mov_b32 s25, exec_lo
                                        ; implicit-def: $sgpr24
	v_cmpx_lt_i16_e64 0x7f, v164
	s_xor_b32 s25, exec_lo, s25
	s_cbranch_execnz .LBB6_7590
; %bb.5985:                             ;   in Loop: Header=BB6_5432 Depth=2
	s_or_saveexec_b32 s25, s25
	v_mov_b32_e32 v165, s24
	s_xor_b32 exec_lo, exec_lo, s25
	s_cbranch_execnz .LBB6_7593
.LBB6_5986:                             ;   in Loop: Header=BB6_5432 Depth=2
	s_or_b32 exec_lo, exec_lo, s25
	s_and_saveexec_b32 s24, s7
	s_cbranch_execz .LBB6_5988
.LBB6_5987:                             ;   in Loop: Header=BB6_5432 Depth=2
	v_bfe_u32 v165, v32, 24, 3
	v_bfe_u32 v176, v32, 27, 4
	s_delay_alu instid0(VALU_DEP_2) | instskip(NEXT) | instid1(VALU_DEP_2)
	v_clz_i32_u32_e32 v166, v165
	v_cmp_eq_u32_e32 vcc_lo, 0, v176
	s_delay_alu instid0(VALU_DEP_2) | instskip(NEXT) | instid1(VALU_DEP_1)
	v_min_u32_e32 v166, 32, v166
	v_subrev_nc_u32_e32 v167, 28, v166
	v_sub_nc_u32_e32 v166, 29, v166
	s_delay_alu instid0(VALU_DEP_1) | instskip(NEXT) | instid1(VALU_DEP_1)
	v_dual_cndmask_b32 v166, v176, v166 :: v_dual_lshlrev_b32 v167, v167, v164
	v_and_b32_e32 v167, 7, v167
	s_delay_alu instid0(VALU_DEP_2) | instskip(NEXT) | instid1(VALU_DEP_2)
	v_lshl_add_u32 v166, v166, 23, 0x3b800000
	v_cndmask_b32_e32 v165, v165, v167, vcc_lo
	v_and_b32_e32 v167, 0x80000000, v32
	s_delay_alu instid0(VALU_DEP_2) | instskip(NEXT) | instid1(VALU_DEP_1)
	v_lshlrev_b32_e32 v165, 20, v165
	v_or3_b32 v165, v167, v166, v165
.LBB6_5988:                             ;   in Loop: Header=BB6_5432 Depth=2
	s_or_b32 exec_lo, exec_lo, s24
	s_mov_b32 s7, 0
	s_mov_b32 s25, exec_lo
                                        ; implicit-def: $sgpr24
	v_cmpx_lt_i16_e64 0x7f, v163
	s_xor_b32 s25, exec_lo, s25
	s_cbranch_execnz .LBB6_7594
; %bb.5989:                             ;   in Loop: Header=BB6_5432 Depth=2
	s_or_saveexec_b32 s25, s25
	v_mov_b32_e32 v166, s24
	s_xor_b32 exec_lo, exec_lo, s25
	s_cbranch_execnz .LBB6_7597
.LBB6_5990:                             ;   in Loop: Header=BB6_5432 Depth=2
	s_or_b32 exec_lo, exec_lo, s25
	s_and_saveexec_b32 s24, s7
	s_cbranch_execz .LBB6_5992
.LBB6_5991:                             ;   in Loop: Header=BB6_5432 Depth=2
	v_bfe_u32 v166, v26, 24, 3
	v_bfe_u32 v177, v26, 27, 4
	s_delay_alu instid0(VALU_DEP_2) | instskip(NEXT) | instid1(VALU_DEP_2)
	v_clz_i32_u32_e32 v167, v166
	v_cmp_eq_u32_e32 vcc_lo, 0, v177
	s_delay_alu instid0(VALU_DEP_2) | instskip(NEXT) | instid1(VALU_DEP_1)
	v_min_u32_e32 v167, 32, v167
	v_subrev_nc_u32_e32 v176, 28, v167
	v_sub_nc_u32_e32 v167, 29, v167
	s_delay_alu instid0(VALU_DEP_2) | instskip(NEXT) | instid1(VALU_DEP_1)
	v_lshlrev_b32_e32 v176, v176, v163
	v_dual_cndmask_b32 v167, v177, v167 :: v_dual_and_b32 v176, 7, v176
	s_delay_alu instid0(VALU_DEP_1) | instskip(NEXT) | instid1(VALU_DEP_2)
	v_lshl_add_u32 v167, v167, 23, 0x3b800000
	v_cndmask_b32_e32 v166, v166, v176, vcc_lo
	v_and_b32_e32 v176, 0x80000000, v26
	s_delay_alu instid0(VALU_DEP_2) | instskip(NEXT) | instid1(VALU_DEP_1)
	v_lshlrev_b32_e32 v166, 20, v166
	v_or3_b32 v166, v176, v167, v166
.LBB6_5992:                             ;   in Loop: Header=BB6_5432 Depth=2
	s_or_b32 exec_lo, exec_lo, s24
	s_delay_alu instid0(VALU_DEP_1) | instskip(SKIP_1) | instid1(VALU_DEP_1)
	v_dual_max_f32 v166, v166, v166 :: v_dual_max_f32 v165, v165, v165
	s_mov_b32 s7, 0
	v_max_f32_e32 v165, v165, v166
	s_branch .LBB6_5994
.LBB6_5993:                             ;   in Loop: Header=BB6_5432 Depth=2
	s_mov_b32 s7, -1
                                        ; implicit-def: $vgpr165
.LBB6_5994:                             ;   in Loop: Header=BB6_5432 Depth=2
	s_delay_alu instid0(SALU_CYCLE_1)
	s_and_b32 vcc_lo, exec_lo, s7
	s_cbranch_vccz .LBB6_6004
; %bb.5995:                             ;   in Loop: Header=BB6_5432 Depth=2
	s_mov_b32 s7, 0
	s_mov_b32 s25, exec_lo
                                        ; implicit-def: $sgpr24
	v_cmpx_lt_i16_e64 0x7f, v164
	s_xor_b32 s25, exec_lo, s25
	s_cbranch_execnz .LBB6_7598
; %bb.5996:                             ;   in Loop: Header=BB6_5432 Depth=2
	s_or_saveexec_b32 s25, s25
	v_mov_b32_e32 v165, s24
	s_xor_b32 exec_lo, exec_lo, s25
	s_cbranch_execnz .LBB6_7601
.LBB6_5997:                             ;   in Loop: Header=BB6_5432 Depth=2
	s_or_b32 exec_lo, exec_lo, s25
	s_and_saveexec_b32 s24, s7
	s_cbranch_execz .LBB6_5999
.LBB6_5998:                             ;   in Loop: Header=BB6_5432 Depth=2
	v_bfe_u32 v165, v32, 24, 3
	s_delay_alu instid0(VALU_DEP_1) | instskip(NEXT) | instid1(VALU_DEP_1)
	v_clz_i32_u32_e32 v166, v165
	v_min_u32_e32 v166, 32, v166
	s_delay_alu instid0(VALU_DEP_1) | instskip(SKIP_1) | instid1(VALU_DEP_2)
	v_subrev_nc_u32_e32 v167, 28, v166
	v_sub_nc_u32_e32 v166, 29, v166
	v_lshlrev_b32_e32 v164, v167, v164
	v_bfe_u32 v167, v32, 27, 4
	v_and_b32_e32 v32, 0x80000000, v32
	s_delay_alu instid0(VALU_DEP_3) | instskip(NEXT) | instid1(VALU_DEP_3)
	v_and_b32_e32 v164, 7, v164
	v_cmp_eq_u32_e32 vcc_lo, 0, v167
	v_cndmask_b32_e32 v166, v167, v166, vcc_lo
	s_delay_alu instid0(VALU_DEP_3) | instskip(NEXT) | instid1(VALU_DEP_2)
	v_cndmask_b32_e32 v164, v165, v164, vcc_lo
	v_lshl_add_u32 v165, v166, 23, 0x3b800000
	s_delay_alu instid0(VALU_DEP_2) | instskip(NEXT) | instid1(VALU_DEP_1)
	v_lshlrev_b32_e32 v164, 20, v164
	v_or3_b32 v165, v32, v165, v164
.LBB6_5999:                             ;   in Loop: Header=BB6_5432 Depth=2
	s_or_b32 exec_lo, exec_lo, s24
	s_mov_b32 s7, 0
	s_mov_b32 s25, exec_lo
                                        ; implicit-def: $sgpr24
	v_cmpx_lt_i16_e64 0x7f, v163
	s_xor_b32 s25, exec_lo, s25
	s_cbranch_execnz .LBB6_7602
; %bb.6000:                             ;   in Loop: Header=BB6_5432 Depth=2
	s_or_saveexec_b32 s25, s25
	v_mov_b32_e32 v32, s24
	s_xor_b32 exec_lo, exec_lo, s25
	s_cbranch_execnz .LBB6_7605
.LBB6_6001:                             ;   in Loop: Header=BB6_5432 Depth=2
	s_or_b32 exec_lo, exec_lo, s25
	s_and_saveexec_b32 s24, s7
	s_cbranch_execz .LBB6_6003
.LBB6_6002:                             ;   in Loop: Header=BB6_5432 Depth=2
	v_bfe_u32 v32, v26, 24, 3
	s_delay_alu instid0(VALU_DEP_1) | instskip(NEXT) | instid1(VALU_DEP_1)
	v_clz_i32_u32_e32 v164, v32
	v_min_u32_e32 v164, 32, v164
	s_delay_alu instid0(VALU_DEP_1) | instskip(SKIP_1) | instid1(VALU_DEP_2)
	v_subrev_nc_u32_e32 v166, 28, v164
	v_sub_nc_u32_e32 v164, 29, v164
	v_lshlrev_b32_e32 v163, v166, v163
	v_bfe_u32 v166, v26, 27, 4
	v_and_b32_e32 v26, 0x80000000, v26
	s_delay_alu instid0(VALU_DEP_2) | instskip(NEXT) | instid1(VALU_DEP_4)
	v_cmp_eq_u32_e32 vcc_lo, 0, v166
	v_dual_cndmask_b32 v164, v166, v164 :: v_dual_and_b32 v163, 7, v163
	s_delay_alu instid0(VALU_DEP_1) | instskip(NEXT) | instid1(VALU_DEP_2)
	v_cndmask_b32_e32 v32, v32, v163, vcc_lo
	v_lshl_add_u32 v163, v164, 23, 0x3b800000
	s_delay_alu instid0(VALU_DEP_2) | instskip(NEXT) | instid1(VALU_DEP_1)
	v_lshlrev_b32_e32 v32, 20, v32
	v_or3_b32 v32, v26, v163, v32
.LBB6_6003:                             ;   in Loop: Header=BB6_5432 Depth=2
	s_or_b32 exec_lo, exec_lo, s24
	s_delay_alu instid0(VALU_DEP_1) | instskip(SKIP_1) | instid1(VALU_DEP_1)
	v_max_f32_e32 v26, v32, v32
	v_max_f32_e32 v32, v165, v165
	v_min_f32_e32 v165, v32, v26
.LBB6_6004:                             ;   in Loop: Header=BB6_5432 Depth=2
	s_delay_alu instid0(VALU_DEP_1) | instskip(NEXT) | instid1(VALU_DEP_1)
	v_and_b32_e32 v26, 0x7f800000, v165
	v_cmp_ne_u32_e32 vcc_lo, 0x7f800000, v26
	v_mov_b32_e32 v26, 0x80
	s_and_saveexec_b32 s24, vcc_lo
	s_cbranch_execz .LBB6_6012
; %bb.6005:                             ;   in Loop: Header=BB6_5432 Depth=2
	v_mov_b32_e32 v26, 0
	s_mov_b32 s25, exec_lo
	v_cmpx_ne_u32_e32 0, v165
	s_cbranch_execz .LBB6_6011
; %bb.6006:                             ;   in Loop: Header=BB6_5432 Depth=2
	v_bfe_u32 v26, v165, 23, 8
	s_delay_alu instid0(VALU_DEP_1) | instskip(SKIP_1) | instid1(VALU_DEP_2)
	v_sub_nc_u32_e32 v163, 0x78, v26
	v_cmp_gt_u32_e32 vcc_lo, 0x79, v26
	v_dual_cndmask_b32 v163, 0, v163 :: v_dual_and_b32 v32, 0x7fffff, v165
	s_delay_alu instid0(VALU_DEP_1) | instskip(SKIP_2) | instid1(VALU_DEP_4)
	v_or_b32_e32 v164, 0x800000, v32
	v_cmp_eq_u32_e32 vcc_lo, 0, v26
	v_add_nc_u32_e32 v26, 0xffffff89, v26
	v_cndmask_b32_e64 v163, v163, 0x77, vcc_lo
	s_delay_alu instid0(VALU_DEP_2) | instskip(SKIP_1) | instid1(VALU_DEP_3)
	v_cndmask_b32_e64 v26, v26, 0xffffff8a, vcc_lo
	v_cndmask_b32_e32 v32, v164, v32, vcc_lo
	v_lshl_add_u32 v164, 0x100000, v163, -1
	v_lshlrev_b32_e64 v176, v163, 0x80000
	s_delay_alu instid0(VALU_DEP_3) | instskip(SKIP_1) | instid1(VALU_DEP_4)
	v_lshrrev_b32_e32 v166, v163, v32
	v_add_nc_u32_e32 v163, v163, v26
	v_and_b32_e32 v32, v164, v32
	s_delay_alu instid0(VALU_DEP_3) | instskip(NEXT) | instid1(VALU_DEP_2)
	v_bfe_u32 v167, v166, 20, 1
	v_cmp_eq_u32_e64 s7, v32, v176
	s_delay_alu instid0(VALU_DEP_2) | instskip(NEXT) | instid1(VALU_DEP_1)
	v_add_nc_u32_e32 v164, -1, v167
	v_cndmask_b32_e64 v32, 0, v164, s7
	v_lshrrev_b32_e32 v164, 23, v166
	s_mov_b32 s7, exec_lo
	s_delay_alu instid0(VALU_DEP_2) | instskip(NEXT) | instid1(VALU_DEP_2)
	v_add_nc_u32_e32 v32, v32, v166
	v_xor_b32_e32 v164, 1, v164
	s_delay_alu instid0(VALU_DEP_2) | instskip(NEXT) | instid1(VALU_DEP_1)
	v_and_b32_e32 v26, 0xfffff, v32
	v_add_nc_u32_e32 v32, v26, v166
                                        ; implicit-def: $vgpr26
	s_delay_alu instid0(VALU_DEP_3)
	v_cmpx_ne_u32_e64 v163, v164
	s_xor_b32 s7, exec_lo, s7
; %bb.6007:                             ;   in Loop: Header=BB6_5432 Depth=2
	s_delay_alu instid0(VALU_DEP_2) | instskip(SKIP_2) | instid1(VALU_DEP_2)
	v_cmp_lt_u32_e32 vcc_lo, 0xffffff, v32
	v_sub_nc_u32_e32 v26, v163, v164
	v_cndmask_b32_e64 v163, 0, 1, vcc_lo
	v_add_co_ci_u32_e32 v26, vcc_lo, 0, v26, vcc_lo
	s_delay_alu instid0(VALU_DEP_2)
	v_lshrrev_b32_e32 v32, v163, v32
; %bb.6008:                             ;   in Loop: Header=BB6_5432 Depth=2
	s_and_not1_saveexec_b32 s7, s7
; %bb.6009:                             ;   in Loop: Header=BB6_5432 Depth=2
	s_delay_alu instid0(VALU_DEP_1)
	v_bfe_u32 v26, v32, 23, 1
; %bb.6010:                             ;   in Loop: Header=BB6_5432 Depth=2
	s_or_b32 exec_lo, exec_lo, s7
	v_lshrrev_b32_e32 v32, 20, v32
	s_delay_alu instid0(VALU_DEP_2) | instskip(SKIP_2) | instid1(VALU_DEP_2)
	v_cmp_gt_i32_e32 vcc_lo, 16, v26
	v_lshrrev_b32_e32 v163, 24, v165
	v_min_i32_e32 v164, 15, v26
	v_dual_cndmask_b32 v32, 7, v32 :: v_dual_and_b32 v163, 0x80, v163
	s_delay_alu instid0(VALU_DEP_2) | instskip(NEXT) | instid1(VALU_DEP_2)
	v_lshlrev_b32_e32 v164, 3, v164
	v_and_b32_e32 v165, 7, v32
	v_or_b32_e32 v26, v26, v32
	s_delay_alu instid0(VALU_DEP_2) | instskip(NEXT) | instid1(VALU_DEP_2)
	v_or3_b32 v32, v164, v163, v165
	v_cmp_ne_u32_e32 vcc_lo, 0, v26
	s_delay_alu instid0(VALU_DEP_2)
	v_cndmask_b32_e32 v26, 0, v32, vcc_lo
.LBB6_6011:                             ;   in Loop: Header=BB6_5432 Depth=2
	s_or_b32 exec_lo, exec_lo, s25
.LBB6_6012:                             ;   in Loop: Header=BB6_5432 Depth=2
	s_delay_alu instid0(SALU_CYCLE_1) | instskip(NEXT) | instid1(SALU_CYCLE_1)
	s_or_b32 exec_lo, exec_lo, s24
	s_and_not1_b32 vcc_lo, exec_lo, s23
	s_cbranch_vccnz .LBB6_6022
; %bb.6013:                             ;   in Loop: Header=BB6_5432 Depth=2
	v_and_b32_e32 v163, 0xff, v33
	s_mov_b32 s7, 0
	s_mov_b32 s25, exec_lo
                                        ; implicit-def: $sgpr24
	s_delay_alu instid0(VALU_DEP_1)
	v_cmpx_lt_i16_e64 0x7f, v163
	s_xor_b32 s25, exec_lo, s25
	s_cbranch_execnz .LBB6_7606
; %bb.6014:                             ;   in Loop: Header=BB6_5432 Depth=2
	s_or_saveexec_b32 s25, s25
	v_mov_b32_e32 v32, s24
	s_xor_b32 exec_lo, exec_lo, s25
	s_cbranch_execnz .LBB6_7609
.LBB6_6015:                             ;   in Loop: Header=BB6_5432 Depth=2
	s_or_b32 exec_lo, exec_lo, s25
	s_and_saveexec_b32 s24, s7
	s_cbranch_execz .LBB6_6017
.LBB6_6016:                             ;   in Loop: Header=BB6_5432 Depth=2
	v_bfe_u32 v165, v33, 3, 4
	v_lshlrev_b32_e32 v166, 24, v33
	s_delay_alu instid0(VALU_DEP_2) | instskip(SKIP_1) | instid1(VALU_DEP_1)
	v_cmp_eq_u32_e32 vcc_lo, 0, v165
	v_and_b32_e32 v32, 7, v33
	v_clz_i32_u32_e32 v163, v32
	s_delay_alu instid0(VALU_DEP_1) | instskip(NEXT) | instid1(VALU_DEP_1)
	v_min_u32_e32 v163, 32, v163
	v_subrev_nc_u32_e32 v164, 28, v163
	v_sub_nc_u32_e32 v163, 29, v163
	s_delay_alu instid0(VALU_DEP_1) | instskip(NEXT) | instid1(VALU_DEP_1)
	v_dual_cndmask_b32 v163, v165, v163 :: v_dual_lshlrev_b32 v164, v164, v33
	v_and_b32_e32 v164, 7, v164
	s_delay_alu instid0(VALU_DEP_2) | instskip(NEXT) | instid1(VALU_DEP_2)
	v_lshl_add_u32 v163, v163, 23, 0x3b800000
	v_cndmask_b32_e32 v32, v32, v164, vcc_lo
	v_and_b32_e32 v164, 0x80000000, v166
	s_delay_alu instid0(VALU_DEP_2) | instskip(NEXT) | instid1(VALU_DEP_1)
	v_lshlrev_b32_e32 v32, 20, v32
	v_or3_b32 v32, v164, v163, v32
.LBB6_6017:                             ;   in Loop: Header=BB6_5432 Depth=2
	s_or_b32 exec_lo, exec_lo, s24
	v_and_b32_e32 v164, 0xff, v27
	s_mov_b32 s7, 0
	s_mov_b32 s25, exec_lo
                                        ; implicit-def: $sgpr24
	s_delay_alu instid0(VALU_DEP_1)
	v_cmpx_lt_i16_e64 0x7f, v164
	s_xor_b32 s25, exec_lo, s25
	s_cbranch_execnz .LBB6_7610
; %bb.6018:                             ;   in Loop: Header=BB6_5432 Depth=2
	s_or_saveexec_b32 s25, s25
	v_mov_b32_e32 v163, s24
	s_xor_b32 exec_lo, exec_lo, s25
	s_cbranch_execnz .LBB6_7613
.LBB6_6019:                             ;   in Loop: Header=BB6_5432 Depth=2
	s_or_b32 exec_lo, exec_lo, s25
	s_and_saveexec_b32 s24, s7
	s_cbranch_execz .LBB6_6021
.LBB6_6020:                             ;   in Loop: Header=BB6_5432 Depth=2
	v_bfe_u32 v166, v27, 3, 4
	v_lshlrev_b32_e32 v167, 24, v27
	s_delay_alu instid0(VALU_DEP_2) | instskip(SKIP_1) | instid1(VALU_DEP_1)
	v_cmp_eq_u32_e32 vcc_lo, 0, v166
	v_and_b32_e32 v163, 7, v27
	v_clz_i32_u32_e32 v164, v163
	s_delay_alu instid0(VALU_DEP_1) | instskip(NEXT) | instid1(VALU_DEP_1)
	v_min_u32_e32 v164, 32, v164
	v_subrev_nc_u32_e32 v165, 28, v164
	v_sub_nc_u32_e32 v164, 29, v164
	s_delay_alu instid0(VALU_DEP_1) | instskip(NEXT) | instid1(VALU_DEP_1)
	v_dual_cndmask_b32 v164, v166, v164 :: v_dual_lshlrev_b32 v165, v165, v27
	v_and_b32_e32 v165, 7, v165
	s_delay_alu instid0(VALU_DEP_2) | instskip(NEXT) | instid1(VALU_DEP_2)
	v_lshl_add_u32 v164, v164, 23, 0x3b800000
	v_cndmask_b32_e32 v163, v163, v165, vcc_lo
	v_and_b32_e32 v165, 0x80000000, v167
	s_delay_alu instid0(VALU_DEP_2) | instskip(NEXT) | instid1(VALU_DEP_1)
	v_lshlrev_b32_e32 v163, 20, v163
	v_or3_b32 v163, v165, v164, v163
.LBB6_6021:                             ;   in Loop: Header=BB6_5432 Depth=2
	s_or_b32 exec_lo, exec_lo, s24
	s_delay_alu instid0(VALU_DEP_1) | instskip(SKIP_1) | instid1(VALU_DEP_1)
	v_dual_max_f32 v163, v163, v163 :: v_dual_max_f32 v32, v32, v32
	s_mov_b32 s7, 0
	v_max_f32_e32 v163, v32, v163
	s_branch .LBB6_6023
.LBB6_6022:                             ;   in Loop: Header=BB6_5432 Depth=2
	s_mov_b32 s7, -1
                                        ; implicit-def: $vgpr163
.LBB6_6023:                             ;   in Loop: Header=BB6_5432 Depth=2
	s_delay_alu instid0(SALU_CYCLE_1)
	s_and_b32 vcc_lo, exec_lo, s7
	s_cbranch_vccz .LBB6_6033
; %bb.6024:                             ;   in Loop: Header=BB6_5432 Depth=2
	v_and_b32_e32 v163, 0xff, v33
	s_mov_b32 s7, 0
	s_mov_b32 s25, exec_lo
                                        ; implicit-def: $sgpr24
	s_delay_alu instid0(VALU_DEP_1)
	v_cmpx_lt_i16_e64 0x7f, v163
	s_xor_b32 s25, exec_lo, s25
	s_cbranch_execnz .LBB6_7614
; %bb.6025:                             ;   in Loop: Header=BB6_5432 Depth=2
	s_or_saveexec_b32 s25, s25
	v_mov_b32_e32 v32, s24
	s_xor_b32 exec_lo, exec_lo, s25
	s_cbranch_execnz .LBB6_7617
.LBB6_6026:                             ;   in Loop: Header=BB6_5432 Depth=2
	s_or_b32 exec_lo, exec_lo, s25
	s_and_saveexec_b32 s24, s7
	s_cbranch_execz .LBB6_6028
.LBB6_6027:                             ;   in Loop: Header=BB6_5432 Depth=2
	v_bfe_u32 v165, v33, 3, 4
	v_lshlrev_b32_e32 v166, 24, v33
	s_delay_alu instid0(VALU_DEP_2) | instskip(SKIP_1) | instid1(VALU_DEP_1)
	v_cmp_eq_u32_e32 vcc_lo, 0, v165
	v_and_b32_e32 v32, 7, v33
	v_clz_i32_u32_e32 v163, v32
	s_delay_alu instid0(VALU_DEP_1) | instskip(NEXT) | instid1(VALU_DEP_1)
	v_min_u32_e32 v163, 32, v163
	v_subrev_nc_u32_e32 v164, 28, v163
	v_sub_nc_u32_e32 v163, 29, v163
	s_delay_alu instid0(VALU_DEP_1) | instskip(NEXT) | instid1(VALU_DEP_1)
	v_dual_cndmask_b32 v163, v165, v163 :: v_dual_lshlrev_b32 v164, v164, v33
	v_and_b32_e32 v164, 7, v164
	s_delay_alu instid0(VALU_DEP_2) | instskip(NEXT) | instid1(VALU_DEP_2)
	v_lshl_add_u32 v163, v163, 23, 0x3b800000
	v_cndmask_b32_e32 v32, v32, v164, vcc_lo
	v_and_b32_e32 v164, 0x80000000, v166
	s_delay_alu instid0(VALU_DEP_2) | instskip(NEXT) | instid1(VALU_DEP_1)
	v_lshlrev_b32_e32 v32, 20, v32
	v_or3_b32 v32, v164, v163, v32
.LBB6_6028:                             ;   in Loop: Header=BB6_5432 Depth=2
	s_or_b32 exec_lo, exec_lo, s24
	v_and_b32_e32 v164, 0xff, v27
	s_mov_b32 s7, 0
	s_mov_b32 s25, exec_lo
                                        ; implicit-def: $sgpr24
	s_delay_alu instid0(VALU_DEP_1)
	v_cmpx_lt_i16_e64 0x7f, v164
	s_xor_b32 s25, exec_lo, s25
	s_cbranch_execnz .LBB6_7618
; %bb.6029:                             ;   in Loop: Header=BB6_5432 Depth=2
	s_or_saveexec_b32 s25, s25
	v_mov_b32_e32 v163, s24
	s_xor_b32 exec_lo, exec_lo, s25
	s_cbranch_execnz .LBB6_7621
.LBB6_6030:                             ;   in Loop: Header=BB6_5432 Depth=2
	s_or_b32 exec_lo, exec_lo, s25
	s_and_saveexec_b32 s24, s7
	s_cbranch_execz .LBB6_6032
.LBB6_6031:                             ;   in Loop: Header=BB6_5432 Depth=2
	v_bfe_u32 v166, v27, 3, 4
	v_lshlrev_b32_e32 v167, 24, v27
	s_delay_alu instid0(VALU_DEP_2) | instskip(SKIP_1) | instid1(VALU_DEP_1)
	v_cmp_eq_u32_e32 vcc_lo, 0, v166
	v_and_b32_e32 v163, 7, v27
	v_clz_i32_u32_e32 v164, v163
	s_delay_alu instid0(VALU_DEP_1) | instskip(NEXT) | instid1(VALU_DEP_1)
	v_min_u32_e32 v164, 32, v164
	v_subrev_nc_u32_e32 v165, 28, v164
	v_sub_nc_u32_e32 v164, 29, v164
	s_delay_alu instid0(VALU_DEP_1) | instskip(NEXT) | instid1(VALU_DEP_1)
	v_dual_cndmask_b32 v164, v166, v164 :: v_dual_lshlrev_b32 v165, v165, v27
	v_and_b32_e32 v165, 7, v165
	s_delay_alu instid0(VALU_DEP_2) | instskip(NEXT) | instid1(VALU_DEP_2)
	v_lshl_add_u32 v164, v164, 23, 0x3b800000
	v_cndmask_b32_e32 v163, v163, v165, vcc_lo
	v_and_b32_e32 v165, 0x80000000, v167
	s_delay_alu instid0(VALU_DEP_2) | instskip(NEXT) | instid1(VALU_DEP_1)
	v_lshlrev_b32_e32 v163, 20, v163
	v_or3_b32 v163, v165, v164, v163
.LBB6_6032:                             ;   in Loop: Header=BB6_5432 Depth=2
	s_or_b32 exec_lo, exec_lo, s24
	s_delay_alu instid0(VALU_DEP_1) | instskip(NEXT) | instid1(VALU_DEP_1)
	v_dual_max_f32 v163, v163, v163 :: v_dual_max_f32 v32, v32, v32
	v_min_f32_e32 v163, v32, v163
.LBB6_6033:                             ;   in Loop: Header=BB6_5432 Depth=2
	s_delay_alu instid0(VALU_DEP_1) | instskip(NEXT) | instid1(VALU_DEP_1)
	v_and_b32_e32 v32, 0x7f800000, v163
	v_cmp_ne_u32_e32 vcc_lo, 0x7f800000, v32
	v_mov_b32_e32 v32, 0x80
	s_and_saveexec_b32 s24, vcc_lo
	s_cbranch_execz .LBB6_6041
; %bb.6034:                             ;   in Loop: Header=BB6_5432 Depth=2
	v_mov_b32_e32 v32, 0
	s_mov_b32 s25, exec_lo
	v_cmpx_ne_u32_e32 0, v163
	s_cbranch_execz .LBB6_6040
; %bb.6035:                             ;   in Loop: Header=BB6_5432 Depth=2
	v_bfe_u32 v32, v163, 23, 8
	s_delay_alu instid0(VALU_DEP_1) | instskip(SKIP_1) | instid1(VALU_DEP_2)
	v_sub_nc_u32_e32 v165, 0x78, v32
	v_cmp_gt_u32_e32 vcc_lo, 0x79, v32
	v_dual_cndmask_b32 v165, 0, v165 :: v_dual_and_b32 v164, 0x7fffff, v163
	s_delay_alu instid0(VALU_DEP_1) | instskip(SKIP_2) | instid1(VALU_DEP_4)
	v_or_b32_e32 v166, 0x800000, v164
	v_cmp_eq_u32_e32 vcc_lo, 0, v32
	v_add_nc_u32_e32 v32, 0xffffff89, v32
	v_cndmask_b32_e64 v165, v165, 0x77, vcc_lo
	s_delay_alu instid0(VALU_DEP_4) | instskip(NEXT) | instid1(VALU_DEP_3)
	v_cndmask_b32_e32 v164, v166, v164, vcc_lo
	v_cndmask_b32_e64 v32, v32, 0xffffff8a, vcc_lo
	s_delay_alu instid0(VALU_DEP_3) | instskip(NEXT) | instid1(VALU_DEP_3)
	v_lshl_add_u32 v166, 0x100000, v165, -1
	v_lshrrev_b32_e32 v167, v165, v164
	v_lshlrev_b32_e64 v177, v165, 0x80000
	s_delay_alu instid0(VALU_DEP_4) | instskip(NEXT) | instid1(VALU_DEP_4)
	v_add_nc_u32_e32 v165, v165, v32
	v_and_b32_e32 v164, v166, v164
	s_delay_alu instid0(VALU_DEP_4) | instskip(NEXT) | instid1(VALU_DEP_2)
	v_bfe_u32 v176, v167, 20, 1
	v_cmp_eq_u32_e64 s7, v164, v177
	s_delay_alu instid0(VALU_DEP_2) | instskip(NEXT) | instid1(VALU_DEP_1)
	v_add_nc_u32_e32 v166, -1, v176
	v_cndmask_b32_e64 v164, 0, v166, s7
	v_lshrrev_b32_e32 v166, 23, v167
	s_mov_b32 s7, exec_lo
	s_delay_alu instid0(VALU_DEP_2) | instskip(NEXT) | instid1(VALU_DEP_2)
	v_add_nc_u32_e32 v164, v164, v167
	v_xor_b32_e32 v166, 1, v166
	s_delay_alu instid0(VALU_DEP_2) | instskip(NEXT) | instid1(VALU_DEP_1)
	v_and_b32_e32 v32, 0xfffff, v164
	v_add_nc_u32_e32 v164, v32, v167
                                        ; implicit-def: $vgpr32
	s_delay_alu instid0(VALU_DEP_3)
	v_cmpx_ne_u32_e64 v165, v166
	s_xor_b32 s7, exec_lo, s7
; %bb.6036:                             ;   in Loop: Header=BB6_5432 Depth=2
	s_delay_alu instid0(VALU_DEP_2) | instskip(SKIP_2) | instid1(VALU_DEP_2)
	v_cmp_lt_u32_e32 vcc_lo, 0xffffff, v164
	v_sub_nc_u32_e32 v32, v165, v166
	v_cndmask_b32_e64 v165, 0, 1, vcc_lo
	v_add_co_ci_u32_e32 v32, vcc_lo, 0, v32, vcc_lo
	s_delay_alu instid0(VALU_DEP_2)
	v_lshrrev_b32_e32 v164, v165, v164
; %bb.6037:                             ;   in Loop: Header=BB6_5432 Depth=2
	s_and_not1_saveexec_b32 s7, s7
; %bb.6038:                             ;   in Loop: Header=BB6_5432 Depth=2
	s_delay_alu instid0(VALU_DEP_1)
	v_bfe_u32 v32, v164, 23, 1
; %bb.6039:                             ;   in Loop: Header=BB6_5432 Depth=2
	s_or_b32 exec_lo, exec_lo, s7
	v_lshrrev_b32_e32 v164, 20, v164
	s_delay_alu instid0(VALU_DEP_2) | instskip(SKIP_2) | instid1(VALU_DEP_2)
	v_cmp_gt_i32_e32 vcc_lo, 16, v32
	v_lshrrev_b32_e32 v163, 24, v163
	v_min_i32_e32 v165, 15, v32
	v_dual_cndmask_b32 v164, 7, v164 :: v_dual_and_b32 v163, 0x80, v163
	s_delay_alu instid0(VALU_DEP_1) | instskip(SKIP_1) | instid1(VALU_DEP_2)
	v_or_b32_e32 v32, v32, v164
	v_and_b32_e32 v166, 7, v164
	v_cmp_ne_u32_e32 vcc_lo, 0, v32
	v_lshlrev_b32_e32 v165, 3, v165
	s_delay_alu instid0(VALU_DEP_1) | instskip(NEXT) | instid1(VALU_DEP_1)
	v_or3_b32 v163, v165, v163, v166
	v_cndmask_b32_e32 v32, 0, v163, vcc_lo
.LBB6_6040:                             ;   in Loop: Header=BB6_5432 Depth=2
	s_or_b32 exec_lo, exec_lo, s25
.LBB6_6041:                             ;   in Loop: Header=BB6_5432 Depth=2
	s_delay_alu instid0(SALU_CYCLE_1)
	s_or_b32 exec_lo, exec_lo, s24
	v_lshrrev_b16 v164, 8, v33
	v_lshrrev_b16 v163, 8, v27
	s_and_not1_b32 vcc_lo, exec_lo, s23
	s_cbranch_vccnz .LBB6_6051
; %bb.6042:                             ;   in Loop: Header=BB6_5432 Depth=2
	s_mov_b32 s7, 0
	s_mov_b32 s25, exec_lo
                                        ; implicit-def: $sgpr24
	v_cmpx_lt_i16_e64 0x7f, v164
	s_xor_b32 s25, exec_lo, s25
	s_cbranch_execnz .LBB6_7622
; %bb.6043:                             ;   in Loop: Header=BB6_5432 Depth=2
	s_or_saveexec_b32 s25, s25
	v_mov_b32_e32 v165, s24
	s_xor_b32 exec_lo, exec_lo, s25
	s_cbranch_execnz .LBB6_7625
.LBB6_6044:                             ;   in Loop: Header=BB6_5432 Depth=2
	s_or_b32 exec_lo, exec_lo, s25
	s_and_saveexec_b32 s24, s7
	s_cbranch_execz .LBB6_6046
.LBB6_6045:                             ;   in Loop: Header=BB6_5432 Depth=2
	v_and_b32_e32 v165, 0xffff, v164
	s_delay_alu instid0(VALU_DEP_1) | instskip(NEXT) | instid1(VALU_DEP_1)
	v_and_b32_e32 v166, 7, v165
	v_clz_i32_u32_e32 v167, v166
	s_delay_alu instid0(VALU_DEP_1) | instskip(NEXT) | instid1(VALU_DEP_1)
	v_min_u32_e32 v167, 32, v167
	v_subrev_nc_u32_e32 v176, 28, v167
	v_sub_nc_u32_e32 v167, 29, v167
	s_delay_alu instid0(VALU_DEP_2) | instskip(SKIP_1) | instid1(VALU_DEP_2)
	v_lshlrev_b32_e32 v176, v176, v165
	v_bfe_u32 v165, v165, 3, 4
	v_and_b32_e32 v176, 7, v176
	s_delay_alu instid0(VALU_DEP_2) | instskip(SKIP_1) | instid1(VALU_DEP_3)
	v_cmp_eq_u32_e32 vcc_lo, 0, v165
	v_cndmask_b32_e32 v165, v165, v167, vcc_lo
	v_dual_cndmask_b32 v166, v166, v176 :: v_dual_lshlrev_b32 v177, 16, v33
	s_delay_alu instid0(VALU_DEP_2) | instskip(NEXT) | instid1(VALU_DEP_2)
	v_lshl_add_u32 v165, v165, 23, 0x3b800000
	v_and_b32_e32 v167, 0x80000000, v177
	s_delay_alu instid0(VALU_DEP_3) | instskip(NEXT) | instid1(VALU_DEP_1)
	v_lshlrev_b32_e32 v166, 20, v166
	v_or3_b32 v165, v167, v165, v166
.LBB6_6046:                             ;   in Loop: Header=BB6_5432 Depth=2
	s_or_b32 exec_lo, exec_lo, s24
	s_mov_b32 s7, 0
	s_mov_b32 s25, exec_lo
                                        ; implicit-def: $sgpr24
	v_cmpx_lt_i16_e64 0x7f, v163
	s_xor_b32 s25, exec_lo, s25
	s_cbranch_execnz .LBB6_7626
; %bb.6047:                             ;   in Loop: Header=BB6_5432 Depth=2
	s_or_saveexec_b32 s25, s25
	v_mov_b32_e32 v166, s24
	s_xor_b32 exec_lo, exec_lo, s25
	s_cbranch_execnz .LBB6_7629
.LBB6_6048:                             ;   in Loop: Header=BB6_5432 Depth=2
	s_or_b32 exec_lo, exec_lo, s25
	s_and_saveexec_b32 s24, s7
	s_cbranch_execz .LBB6_6050
.LBB6_6049:                             ;   in Loop: Header=BB6_5432 Depth=2
	v_and_b32_e32 v166, 0xffff, v163
	v_lshlrev_b32_e32 v178, 16, v27
	s_delay_alu instid0(VALU_DEP_2) | instskip(NEXT) | instid1(VALU_DEP_1)
	v_and_b32_e32 v167, 7, v166
	v_clz_i32_u32_e32 v176, v167
	s_delay_alu instid0(VALU_DEP_1) | instskip(NEXT) | instid1(VALU_DEP_1)
	v_min_u32_e32 v176, 32, v176
	v_subrev_nc_u32_e32 v177, 28, v176
	v_sub_nc_u32_e32 v176, 29, v176
	s_delay_alu instid0(VALU_DEP_2) | instskip(SKIP_1) | instid1(VALU_DEP_2)
	v_lshlrev_b32_e32 v177, v177, v166
	v_bfe_u32 v166, v166, 3, 4
	v_and_b32_e32 v177, 7, v177
	s_delay_alu instid0(VALU_DEP_2) | instskip(NEXT) | instid1(VALU_DEP_2)
	v_cmp_eq_u32_e32 vcc_lo, 0, v166
	v_dual_cndmask_b32 v166, v166, v176 :: v_dual_cndmask_b32 v167, v167, v177
	v_and_b32_e32 v176, 0x80000000, v178
	s_delay_alu instid0(VALU_DEP_2) | instskip(NEXT) | instid1(VALU_DEP_3)
	v_lshl_add_u32 v166, v166, 23, 0x3b800000
	v_lshlrev_b32_e32 v167, 20, v167
	s_delay_alu instid0(VALU_DEP_1)
	v_or3_b32 v166, v176, v166, v167
.LBB6_6050:                             ;   in Loop: Header=BB6_5432 Depth=2
	s_or_b32 exec_lo, exec_lo, s24
	s_delay_alu instid0(VALU_DEP_1) | instskip(SKIP_1) | instid1(VALU_DEP_1)
	v_dual_max_f32 v166, v166, v166 :: v_dual_max_f32 v165, v165, v165
	s_mov_b32 s7, 0
	v_max_f32_e32 v165, v165, v166
	s_branch .LBB6_6052
.LBB6_6051:                             ;   in Loop: Header=BB6_5432 Depth=2
	s_mov_b32 s7, -1
                                        ; implicit-def: $vgpr165
.LBB6_6052:                             ;   in Loop: Header=BB6_5432 Depth=2
	s_delay_alu instid0(SALU_CYCLE_1)
	s_and_b32 vcc_lo, exec_lo, s7
	s_cbranch_vccz .LBB6_6062
; %bb.6053:                             ;   in Loop: Header=BB6_5432 Depth=2
	s_mov_b32 s7, 0
	s_mov_b32 s25, exec_lo
                                        ; implicit-def: $sgpr24
	v_cmpx_lt_i16_e64 0x7f, v164
	s_xor_b32 s25, exec_lo, s25
	s_cbranch_execnz .LBB6_7630
; %bb.6054:                             ;   in Loop: Header=BB6_5432 Depth=2
	s_or_saveexec_b32 s25, s25
	v_mov_b32_e32 v165, s24
	s_xor_b32 exec_lo, exec_lo, s25
	s_cbranch_execnz .LBB6_7633
.LBB6_6055:                             ;   in Loop: Header=BB6_5432 Depth=2
	s_or_b32 exec_lo, exec_lo, s25
	s_and_saveexec_b32 s24, s7
	s_cbranch_execz .LBB6_6057
.LBB6_6056:                             ;   in Loop: Header=BB6_5432 Depth=2
	v_and_b32_e32 v164, 0xffff, v164
	v_lshlrev_b32_e32 v176, 16, v33
	s_delay_alu instid0(VALU_DEP_2) | instskip(NEXT) | instid1(VALU_DEP_1)
	v_and_b32_e32 v165, 7, v164
	v_clz_i32_u32_e32 v166, v165
	s_delay_alu instid0(VALU_DEP_1) | instskip(NEXT) | instid1(VALU_DEP_1)
	v_min_u32_e32 v166, 32, v166
	v_subrev_nc_u32_e32 v167, 28, v166
	v_sub_nc_u32_e32 v166, 29, v166
	s_delay_alu instid0(VALU_DEP_2) | instskip(SKIP_1) | instid1(VALU_DEP_2)
	v_lshlrev_b32_e32 v167, v167, v164
	v_bfe_u32 v164, v164, 3, 4
	v_and_b32_e32 v167, 7, v167
	s_delay_alu instid0(VALU_DEP_2) | instskip(NEXT) | instid1(VALU_DEP_2)
	v_cmp_eq_u32_e32 vcc_lo, 0, v164
	v_dual_cndmask_b32 v164, v164, v166 :: v_dual_cndmask_b32 v165, v165, v167
	v_and_b32_e32 v166, 0x80000000, v176
	s_delay_alu instid0(VALU_DEP_2) | instskip(NEXT) | instid1(VALU_DEP_3)
	v_lshl_add_u32 v164, v164, 23, 0x3b800000
	v_lshlrev_b32_e32 v165, 20, v165
	s_delay_alu instid0(VALU_DEP_1)
	v_or3_b32 v165, v166, v164, v165
.LBB6_6057:                             ;   in Loop: Header=BB6_5432 Depth=2
	s_or_b32 exec_lo, exec_lo, s24
	s_mov_b32 s7, 0
	s_mov_b32 s25, exec_lo
                                        ; implicit-def: $sgpr24
	v_cmpx_lt_i16_e64 0x7f, v163
	s_xor_b32 s25, exec_lo, s25
	s_cbranch_execnz .LBB6_7634
; %bb.6058:                             ;   in Loop: Header=BB6_5432 Depth=2
	s_or_saveexec_b32 s25, s25
	v_mov_b32_e32 v164, s24
	s_xor_b32 exec_lo, exec_lo, s25
	s_cbranch_execnz .LBB6_7637
.LBB6_6059:                             ;   in Loop: Header=BB6_5432 Depth=2
	s_or_b32 exec_lo, exec_lo, s25
	s_and_saveexec_b32 s24, s7
	s_cbranch_execz .LBB6_6061
.LBB6_6060:                             ;   in Loop: Header=BB6_5432 Depth=2
	v_and_b32_e32 v163, 0xffff, v163
	v_lshlrev_b32_e32 v176, 16, v27
	s_delay_alu instid0(VALU_DEP_2) | instskip(NEXT) | instid1(VALU_DEP_1)
	v_and_b32_e32 v164, 7, v163
	v_clz_i32_u32_e32 v166, v164
	s_delay_alu instid0(VALU_DEP_1) | instskip(NEXT) | instid1(VALU_DEP_1)
	v_min_u32_e32 v166, 32, v166
	v_subrev_nc_u32_e32 v167, 28, v166
	v_sub_nc_u32_e32 v166, 29, v166
	s_delay_alu instid0(VALU_DEP_2) | instskip(SKIP_1) | instid1(VALU_DEP_2)
	v_lshlrev_b32_e32 v167, v167, v163
	v_bfe_u32 v163, v163, 3, 4
	v_and_b32_e32 v167, 7, v167
	s_delay_alu instid0(VALU_DEP_2) | instskip(NEXT) | instid1(VALU_DEP_2)
	v_cmp_eq_u32_e32 vcc_lo, 0, v163
	v_dual_cndmask_b32 v163, v163, v166 :: v_dual_cndmask_b32 v164, v164, v167
	v_and_b32_e32 v166, 0x80000000, v176
	s_delay_alu instid0(VALU_DEP_2) | instskip(NEXT) | instid1(VALU_DEP_3)
	v_lshl_add_u32 v163, v163, 23, 0x3b800000
	v_lshlrev_b32_e32 v164, 20, v164
	s_delay_alu instid0(VALU_DEP_1)
	v_or3_b32 v164, v166, v163, v164
.LBB6_6061:                             ;   in Loop: Header=BB6_5432 Depth=2
	s_or_b32 exec_lo, exec_lo, s24
	s_delay_alu instid0(VALU_DEP_1) | instskip(NEXT) | instid1(VALU_DEP_1)
	v_dual_max_f32 v163, v164, v164 :: v_dual_max_f32 v164, v165, v165
	v_min_f32_e32 v165, v164, v163
.LBB6_6062:                             ;   in Loop: Header=BB6_5432 Depth=2
	s_delay_alu instid0(VALU_DEP_1) | instskip(NEXT) | instid1(VALU_DEP_1)
	v_and_b32_e32 v163, 0x7f800000, v165
	v_cmp_ne_u32_e32 vcc_lo, 0x7f800000, v163
	v_mov_b32_e32 v163, 0x80
	s_and_saveexec_b32 s24, vcc_lo
	s_cbranch_execz .LBB6_6070
; %bb.6063:                             ;   in Loop: Header=BB6_5432 Depth=2
	v_mov_b32_e32 v163, 0
	s_mov_b32 s25, exec_lo
	v_cmpx_ne_u32_e32 0, v165
	s_cbranch_execz .LBB6_6069
; %bb.6064:                             ;   in Loop: Header=BB6_5432 Depth=2
	v_bfe_u32 v163, v165, 23, 8
	v_and_b32_e32 v164, 0x7fffff, v165
	s_delay_alu instid0(VALU_DEP_2) | instskip(SKIP_1) | instid1(VALU_DEP_3)
	v_sub_nc_u32_e32 v166, 0x78, v163
	v_cmp_gt_u32_e32 vcc_lo, 0x79, v163
	v_or_b32_e32 v167, 0x800000, v164
	s_delay_alu instid0(VALU_DEP_3) | instskip(SKIP_2) | instid1(VALU_DEP_3)
	v_cndmask_b32_e32 v166, 0, v166, vcc_lo
	v_cmp_eq_u32_e32 vcc_lo, 0, v163
	v_add_nc_u32_e32 v163, 0xffffff89, v163
	v_cndmask_b32_e64 v166, v166, 0x77, vcc_lo
	v_cndmask_b32_e32 v164, v167, v164, vcc_lo
	s_delay_alu instid0(VALU_DEP_3) | instskip(NEXT) | instid1(VALU_DEP_3)
	v_cndmask_b32_e64 v163, v163, 0xffffff8a, vcc_lo
	v_lshl_add_u32 v167, 0x100000, v166, -1
	s_delay_alu instid0(VALU_DEP_3) | instskip(SKIP_1) | instid1(VALU_DEP_4)
	v_lshrrev_b32_e32 v176, v166, v164
	v_lshlrev_b32_e64 v178, v166, 0x80000
	v_add_nc_u32_e32 v166, v166, v163
	s_delay_alu instid0(VALU_DEP_4) | instskip(NEXT) | instid1(VALU_DEP_4)
	v_and_b32_e32 v164, v167, v164
	v_bfe_u32 v177, v176, 20, 1
	s_delay_alu instid0(VALU_DEP_2) | instskip(NEXT) | instid1(VALU_DEP_2)
	v_cmp_eq_u32_e64 s7, v164, v178
	v_add_nc_u32_e32 v167, -1, v177
	s_delay_alu instid0(VALU_DEP_1) | instskip(SKIP_2) | instid1(VALU_DEP_2)
	v_cndmask_b32_e64 v164, 0, v167, s7
	v_lshrrev_b32_e32 v167, 23, v176
	s_mov_b32 s7, exec_lo
	v_add_nc_u32_e32 v164, v164, v176
	s_delay_alu instid0(VALU_DEP_2) | instskip(NEXT) | instid1(VALU_DEP_2)
	v_xor_b32_e32 v167, 1, v167
	v_and_b32_e32 v163, 0xfffff, v164
	s_delay_alu instid0(VALU_DEP_1) | instskip(NEXT) | instid1(VALU_DEP_3)
	v_add_nc_u32_e32 v164, v163, v176
                                        ; implicit-def: $vgpr163
	v_cmpx_ne_u32_e64 v166, v167
	s_xor_b32 s7, exec_lo, s7
; %bb.6065:                             ;   in Loop: Header=BB6_5432 Depth=2
	s_delay_alu instid0(VALU_DEP_2) | instskip(SKIP_2) | instid1(VALU_DEP_2)
	v_cmp_lt_u32_e32 vcc_lo, 0xffffff, v164
	v_sub_nc_u32_e32 v163, v166, v167
	v_cndmask_b32_e64 v166, 0, 1, vcc_lo
	v_add_co_ci_u32_e32 v163, vcc_lo, 0, v163, vcc_lo
	s_delay_alu instid0(VALU_DEP_2)
	v_lshrrev_b32_e32 v164, v166, v164
; %bb.6066:                             ;   in Loop: Header=BB6_5432 Depth=2
	s_and_not1_saveexec_b32 s7, s7
; %bb.6067:                             ;   in Loop: Header=BB6_5432 Depth=2
	s_delay_alu instid0(VALU_DEP_1)
	v_bfe_u32 v163, v164, 23, 1
; %bb.6068:                             ;   in Loop: Header=BB6_5432 Depth=2
	s_or_b32 exec_lo, exec_lo, s7
	v_lshrrev_b32_e32 v164, 20, v164
	s_delay_alu instid0(VALU_DEP_2) | instskip(SKIP_2) | instid1(VALU_DEP_2)
	v_cmp_gt_i32_e32 vcc_lo, 16, v163
	v_lshrrev_b32_e32 v165, 24, v165
	v_min_i32_e32 v166, 15, v163
	v_dual_cndmask_b32 v164, 7, v164 :: v_dual_and_b32 v165, 0x80, v165
	s_delay_alu instid0(VALU_DEP_1) | instskip(SKIP_1) | instid1(VALU_DEP_2)
	v_or_b32_e32 v163, v163, v164
	v_and_b32_e32 v167, 7, v164
	v_cmp_ne_u32_e32 vcc_lo, 0, v163
	v_lshlrev_b32_e32 v166, 3, v166
	s_delay_alu instid0(VALU_DEP_1) | instskip(NEXT) | instid1(VALU_DEP_1)
	v_or3_b32 v164, v166, v165, v167
	v_cndmask_b32_e32 v163, 0, v164, vcc_lo
.LBB6_6069:                             ;   in Loop: Header=BB6_5432 Depth=2
	s_or_b32 exec_lo, exec_lo, s25
.LBB6_6070:                             ;   in Loop: Header=BB6_5432 Depth=2
	s_delay_alu instid0(SALU_CYCLE_1)
	s_or_b32 exec_lo, exec_lo, s24
	v_lshrrev_b32_e32 v165, 16, v33
	v_lshrrev_b32_e32 v164, 16, v27
	s_and_not1_b32 vcc_lo, exec_lo, s23
	s_cbranch_vccnz .LBB6_6080
; %bb.6071:                             ;   in Loop: Header=BB6_5432 Depth=2
	s_delay_alu instid0(VALU_DEP_2) | instskip(SKIP_2) | instid1(VALU_DEP_1)
	v_and_b32_e32 v167, 0xff, v165
	s_mov_b32 s7, 0
	s_mov_b32 s25, exec_lo
                                        ; implicit-def: $sgpr24
	v_cmpx_lt_i16_e64 0x7f, v167
	s_xor_b32 s25, exec_lo, s25
	s_cbranch_execnz .LBB6_7638
; %bb.6072:                             ;   in Loop: Header=BB6_5432 Depth=2
	s_or_saveexec_b32 s25, s25
	v_mov_b32_e32 v166, s24
	s_xor_b32 exec_lo, exec_lo, s25
	s_cbranch_execnz .LBB6_7641
.LBB6_6073:                             ;   in Loop: Header=BB6_5432 Depth=2
	s_or_b32 exec_lo, exec_lo, s25
	s_and_saveexec_b32 s24, s7
	s_cbranch_execz .LBB6_6075
.LBB6_6074:                             ;   in Loop: Header=BB6_5432 Depth=2
	v_bfe_u32 v166, v33, 16, 3
	v_bfe_u32 v177, v33, 19, 4
	v_lshlrev_b32_e32 v178, 24, v165
	s_delay_alu instid0(VALU_DEP_3) | instskip(NEXT) | instid1(VALU_DEP_3)
	v_clz_i32_u32_e32 v167, v166
	v_cmp_eq_u32_e32 vcc_lo, 0, v177
	s_delay_alu instid0(VALU_DEP_2) | instskip(NEXT) | instid1(VALU_DEP_1)
	v_min_u32_e32 v167, 32, v167
	v_subrev_nc_u32_e32 v176, 28, v167
	v_sub_nc_u32_e32 v167, 29, v167
	s_delay_alu instid0(VALU_DEP_1) | instskip(NEXT) | instid1(VALU_DEP_1)
	v_dual_cndmask_b32 v167, v177, v167 :: v_dual_lshlrev_b32 v176, v176, v165
	v_and_b32_e32 v176, 7, v176
	s_delay_alu instid0(VALU_DEP_2) | instskip(NEXT) | instid1(VALU_DEP_2)
	v_lshl_add_u32 v167, v167, 23, 0x3b800000
	v_cndmask_b32_e32 v166, v166, v176, vcc_lo
	v_and_b32_e32 v176, 0x80000000, v178
	s_delay_alu instid0(VALU_DEP_2) | instskip(NEXT) | instid1(VALU_DEP_1)
	v_lshlrev_b32_e32 v166, 20, v166
	v_or3_b32 v166, v176, v167, v166
.LBB6_6075:                             ;   in Loop: Header=BB6_5432 Depth=2
	s_or_b32 exec_lo, exec_lo, s24
	v_and_b32_e32 v176, 0xff, v164
	s_mov_b32 s7, 0
	s_mov_b32 s25, exec_lo
                                        ; implicit-def: $sgpr24
	s_delay_alu instid0(VALU_DEP_1)
	v_cmpx_lt_i16_e64 0x7f, v176
	s_xor_b32 s25, exec_lo, s25
	s_cbranch_execnz .LBB6_7642
; %bb.6076:                             ;   in Loop: Header=BB6_5432 Depth=2
	s_or_saveexec_b32 s25, s25
	v_mov_b32_e32 v167, s24
	s_xor_b32 exec_lo, exec_lo, s25
	s_cbranch_execnz .LBB6_7645
.LBB6_6077:                             ;   in Loop: Header=BB6_5432 Depth=2
	s_or_b32 exec_lo, exec_lo, s25
	s_and_saveexec_b32 s24, s7
	s_cbranch_execz .LBB6_6079
.LBB6_6078:                             ;   in Loop: Header=BB6_5432 Depth=2
	v_bfe_u32 v167, v27, 16, 3
	v_bfe_u32 v178, v27, 19, 4
	v_lshlrev_b32_e32 v179, 24, v164
	s_delay_alu instid0(VALU_DEP_3) | instskip(NEXT) | instid1(VALU_DEP_3)
	v_clz_i32_u32_e32 v176, v167
	v_cmp_eq_u32_e32 vcc_lo, 0, v178
	s_delay_alu instid0(VALU_DEP_2) | instskip(NEXT) | instid1(VALU_DEP_1)
	v_min_u32_e32 v176, 32, v176
	v_subrev_nc_u32_e32 v177, 28, v176
	v_sub_nc_u32_e32 v176, 29, v176
	s_delay_alu instid0(VALU_DEP_2) | instskip(NEXT) | instid1(VALU_DEP_1)
	v_lshlrev_b32_e32 v177, v177, v164
	v_dual_cndmask_b32 v176, v178, v176 :: v_dual_and_b32 v177, 7, v177
	s_delay_alu instid0(VALU_DEP_1) | instskip(NEXT) | instid1(VALU_DEP_2)
	v_lshl_add_u32 v176, v176, 23, 0x3b800000
	v_cndmask_b32_e32 v167, v167, v177, vcc_lo
	v_and_b32_e32 v177, 0x80000000, v179
	s_delay_alu instid0(VALU_DEP_2) | instskip(NEXT) | instid1(VALU_DEP_1)
	v_lshlrev_b32_e32 v167, 20, v167
	v_or3_b32 v167, v177, v176, v167
.LBB6_6079:                             ;   in Loop: Header=BB6_5432 Depth=2
	s_or_b32 exec_lo, exec_lo, s24
	s_delay_alu instid0(VALU_DEP_1) | instskip(SKIP_1) | instid1(VALU_DEP_1)
	v_dual_max_f32 v167, v167, v167 :: v_dual_max_f32 v166, v166, v166
	s_mov_b32 s7, 0
	v_max_f32_e32 v166, v166, v167
	s_branch .LBB6_6081
.LBB6_6080:                             ;   in Loop: Header=BB6_5432 Depth=2
	s_mov_b32 s7, -1
                                        ; implicit-def: $vgpr166
.LBB6_6081:                             ;   in Loop: Header=BB6_5432 Depth=2
	s_delay_alu instid0(SALU_CYCLE_1)
	s_and_b32 vcc_lo, exec_lo, s7
	s_cbranch_vccz .LBB6_6091
; %bb.6082:                             ;   in Loop: Header=BB6_5432 Depth=2
	v_and_b32_e32 v167, 0xff, v165
	s_mov_b32 s7, 0
	s_mov_b32 s25, exec_lo
                                        ; implicit-def: $sgpr24
	s_delay_alu instid0(VALU_DEP_1)
	v_cmpx_lt_i16_e64 0x7f, v167
	s_xor_b32 s25, exec_lo, s25
	s_cbranch_execnz .LBB6_7646
; %bb.6083:                             ;   in Loop: Header=BB6_5432 Depth=2
	s_or_saveexec_b32 s25, s25
	v_mov_b32_e32 v166, s24
	s_xor_b32 exec_lo, exec_lo, s25
	s_cbranch_execnz .LBB6_7649
.LBB6_6084:                             ;   in Loop: Header=BB6_5432 Depth=2
	s_or_b32 exec_lo, exec_lo, s25
	s_and_saveexec_b32 s24, s7
	s_cbranch_execz .LBB6_6086
.LBB6_6085:                             ;   in Loop: Header=BB6_5432 Depth=2
	v_bfe_u32 v166, v33, 16, 3
	v_bfe_u32 v177, v33, 19, 4
	s_delay_alu instid0(VALU_DEP_2) | instskip(NEXT) | instid1(VALU_DEP_2)
	v_clz_i32_u32_e32 v167, v166
	v_cmp_eq_u32_e32 vcc_lo, 0, v177
	s_delay_alu instid0(VALU_DEP_2) | instskip(NEXT) | instid1(VALU_DEP_1)
	v_min_u32_e32 v167, 32, v167
	v_subrev_nc_u32_e32 v176, 28, v167
	v_sub_nc_u32_e32 v167, 29, v167
	s_delay_alu instid0(VALU_DEP_1) | instskip(NEXT) | instid1(VALU_DEP_1)
	v_dual_cndmask_b32 v167, v177, v167 :: v_dual_lshlrev_b32 v176, v176, v165
	v_and_b32_e32 v176, 7, v176
	v_lshlrev_b32_e32 v165, 24, v165
	s_delay_alu instid0(VALU_DEP_3) | instskip(NEXT) | instid1(VALU_DEP_2)
	v_lshl_add_u32 v167, v167, 23, 0x3b800000
	v_dual_cndmask_b32 v166, v166, v176 :: v_dual_and_b32 v165, 0x80000000, v165
	s_delay_alu instid0(VALU_DEP_1) | instskip(NEXT) | instid1(VALU_DEP_1)
	v_lshlrev_b32_e32 v166, 20, v166
	v_or3_b32 v166, v165, v167, v166
.LBB6_6086:                             ;   in Loop: Header=BB6_5432 Depth=2
	s_or_b32 exec_lo, exec_lo, s24
	v_and_b32_e32 v167, 0xff, v164
	s_mov_b32 s7, 0
	s_mov_b32 s25, exec_lo
                                        ; implicit-def: $sgpr24
	s_delay_alu instid0(VALU_DEP_1)
	v_cmpx_lt_i16_e64 0x7f, v167
	s_xor_b32 s25, exec_lo, s25
	s_cbranch_execnz .LBB6_7650
; %bb.6087:                             ;   in Loop: Header=BB6_5432 Depth=2
	s_or_saveexec_b32 s25, s25
	v_mov_b32_e32 v165, s24
	s_xor_b32 exec_lo, exec_lo, s25
	s_cbranch_execnz .LBB6_7653
.LBB6_6088:                             ;   in Loop: Header=BB6_5432 Depth=2
	s_or_b32 exec_lo, exec_lo, s25
	s_and_saveexec_b32 s24, s7
	s_cbranch_execz .LBB6_6090
.LBB6_6089:                             ;   in Loop: Header=BB6_5432 Depth=2
	v_bfe_u32 v165, v27, 16, 3
	v_bfe_u32 v177, v27, 19, 4
	s_delay_alu instid0(VALU_DEP_2) | instskip(NEXT) | instid1(VALU_DEP_2)
	v_clz_i32_u32_e32 v167, v165
	v_cmp_eq_u32_e32 vcc_lo, 0, v177
	s_delay_alu instid0(VALU_DEP_2) | instskip(NEXT) | instid1(VALU_DEP_1)
	v_min_u32_e32 v167, 32, v167
	v_subrev_nc_u32_e32 v176, 28, v167
	v_sub_nc_u32_e32 v167, 29, v167
	s_delay_alu instid0(VALU_DEP_1) | instskip(SKIP_1) | instid1(VALU_DEP_2)
	v_dual_cndmask_b32 v167, v177, v167 :: v_dual_lshlrev_b32 v176, v176, v164
	v_lshlrev_b32_e32 v164, 24, v164
	v_and_b32_e32 v176, 7, v176
	s_delay_alu instid0(VALU_DEP_3) | instskip(NEXT) | instid1(VALU_DEP_3)
	v_lshl_add_u32 v167, v167, 23, 0x3b800000
	v_and_b32_e32 v164, 0x80000000, v164
	s_delay_alu instid0(VALU_DEP_3) | instskip(NEXT) | instid1(VALU_DEP_1)
	v_cndmask_b32_e32 v165, v165, v176, vcc_lo
	v_lshlrev_b32_e32 v165, 20, v165
	s_delay_alu instid0(VALU_DEP_1)
	v_or3_b32 v165, v164, v167, v165
.LBB6_6090:                             ;   in Loop: Header=BB6_5432 Depth=2
	s_or_b32 exec_lo, exec_lo, s24
	s_delay_alu instid0(VALU_DEP_1) | instskip(NEXT) | instid1(VALU_DEP_1)
	v_dual_max_f32 v164, v165, v165 :: v_dual_max_f32 v165, v166, v166
	v_min_f32_e32 v166, v165, v164
.LBB6_6091:                             ;   in Loop: Header=BB6_5432 Depth=2
	s_delay_alu instid0(VALU_DEP_1) | instskip(NEXT) | instid1(VALU_DEP_1)
	v_and_b32_e32 v164, 0x7f800000, v166
	v_cmp_ne_u32_e32 vcc_lo, 0x7f800000, v164
	v_mov_b32_e32 v164, 0x80
	s_and_saveexec_b32 s24, vcc_lo
	s_cbranch_execz .LBB6_6099
; %bb.6092:                             ;   in Loop: Header=BB6_5432 Depth=2
	v_mov_b32_e32 v164, 0
	s_mov_b32 s25, exec_lo
	v_cmpx_ne_u32_e32 0, v166
	s_cbranch_execz .LBB6_6098
; %bb.6093:                             ;   in Loop: Header=BB6_5432 Depth=2
	v_bfe_u32 v164, v166, 23, 8
	v_and_b32_e32 v165, 0x7fffff, v166
	s_delay_alu instid0(VALU_DEP_2) | instskip(SKIP_1) | instid1(VALU_DEP_3)
	v_sub_nc_u32_e32 v167, 0x78, v164
	v_cmp_gt_u32_e32 vcc_lo, 0x79, v164
	v_or_b32_e32 v176, 0x800000, v165
	s_delay_alu instid0(VALU_DEP_3) | instskip(SKIP_2) | instid1(VALU_DEP_3)
	v_cndmask_b32_e32 v167, 0, v167, vcc_lo
	v_cmp_eq_u32_e32 vcc_lo, 0, v164
	v_add_nc_u32_e32 v164, 0xffffff89, v164
	v_cndmask_b32_e64 v167, v167, 0x77, vcc_lo
	v_cndmask_b32_e32 v165, v176, v165, vcc_lo
	s_delay_alu instid0(VALU_DEP_3) | instskip(NEXT) | instid1(VALU_DEP_3)
	v_cndmask_b32_e64 v164, v164, 0xffffff8a, vcc_lo
	v_lshl_add_u32 v176, 0x100000, v167, -1
	s_delay_alu instid0(VALU_DEP_3) | instskip(SKIP_1) | instid1(VALU_DEP_4)
	v_lshrrev_b32_e32 v177, v167, v165
	v_lshlrev_b32_e64 v179, v167, 0x80000
	v_add_nc_u32_e32 v167, v167, v164
	s_delay_alu instid0(VALU_DEP_4) | instskip(NEXT) | instid1(VALU_DEP_4)
	v_and_b32_e32 v165, v176, v165
	v_bfe_u32 v178, v177, 20, 1
	s_delay_alu instid0(VALU_DEP_2) | instskip(NEXT) | instid1(VALU_DEP_2)
	v_cmp_eq_u32_e64 s7, v165, v179
	v_add_nc_u32_e32 v176, -1, v178
	s_delay_alu instid0(VALU_DEP_1) | instskip(SKIP_2) | instid1(VALU_DEP_2)
	v_cndmask_b32_e64 v165, 0, v176, s7
	v_lshrrev_b32_e32 v176, 23, v177
	s_mov_b32 s7, exec_lo
	v_add_nc_u32_e32 v165, v165, v177
	s_delay_alu instid0(VALU_DEP_2) | instskip(NEXT) | instid1(VALU_DEP_2)
	v_xor_b32_e32 v176, 1, v176
	v_and_b32_e32 v164, 0xfffff, v165
	s_delay_alu instid0(VALU_DEP_1) | instskip(NEXT) | instid1(VALU_DEP_3)
	v_add_nc_u32_e32 v165, v164, v177
                                        ; implicit-def: $vgpr164
	v_cmpx_ne_u32_e64 v167, v176
	s_xor_b32 s7, exec_lo, s7
; %bb.6094:                             ;   in Loop: Header=BB6_5432 Depth=2
	s_delay_alu instid0(VALU_DEP_2) | instskip(SKIP_2) | instid1(VALU_DEP_2)
	v_cmp_lt_u32_e32 vcc_lo, 0xffffff, v165
	v_sub_nc_u32_e32 v164, v167, v176
	v_cndmask_b32_e64 v167, 0, 1, vcc_lo
	v_add_co_ci_u32_e32 v164, vcc_lo, 0, v164, vcc_lo
	s_delay_alu instid0(VALU_DEP_2)
	v_lshrrev_b32_e32 v165, v167, v165
; %bb.6095:                             ;   in Loop: Header=BB6_5432 Depth=2
	s_and_not1_saveexec_b32 s7, s7
; %bb.6096:                             ;   in Loop: Header=BB6_5432 Depth=2
	s_delay_alu instid0(VALU_DEP_1)
	v_bfe_u32 v164, v165, 23, 1
; %bb.6097:                             ;   in Loop: Header=BB6_5432 Depth=2
	s_or_b32 exec_lo, exec_lo, s7
	v_lshrrev_b32_e32 v165, 20, v165
	s_delay_alu instid0(VALU_DEP_2) | instskip(SKIP_2) | instid1(VALU_DEP_2)
	v_cmp_gt_i32_e32 vcc_lo, 16, v164
	v_lshrrev_b32_e32 v166, 24, v166
	v_min_i32_e32 v167, 15, v164
	v_dual_cndmask_b32 v165, 7, v165 :: v_dual_and_b32 v166, 0x80, v166
	s_delay_alu instid0(VALU_DEP_1) | instskip(SKIP_1) | instid1(VALU_DEP_2)
	v_or_b32_e32 v164, v164, v165
	v_and_b32_e32 v176, 7, v165
	v_cmp_ne_u32_e32 vcc_lo, 0, v164
	v_lshlrev_b32_e32 v167, 3, v167
	s_delay_alu instid0(VALU_DEP_1) | instskip(NEXT) | instid1(VALU_DEP_1)
	v_and_b32_e32 v167, 0xf8, v167
	v_or3_b32 v165, v167, v166, v176
	s_delay_alu instid0(VALU_DEP_1)
	v_cndmask_b32_e32 v164, 0, v165, vcc_lo
.LBB6_6098:                             ;   in Loop: Header=BB6_5432 Depth=2
	s_or_b32 exec_lo, exec_lo, s25
.LBB6_6099:                             ;   in Loop: Header=BB6_5432 Depth=2
	s_delay_alu instid0(SALU_CYCLE_1)
	s_or_b32 exec_lo, exec_lo, s24
	v_lshrrev_b32_e32 v166, 24, v33
	v_lshrrev_b32_e32 v165, 24, v27
	s_and_not1_b32 vcc_lo, exec_lo, s23
	s_cbranch_vccnz .LBB6_6109
; %bb.6100:                             ;   in Loop: Header=BB6_5432 Depth=2
	s_mov_b32 s7, 0
	s_mov_b32 s25, exec_lo
                                        ; implicit-def: $sgpr24
	v_cmpx_lt_i16_e64 0x7f, v166
	s_xor_b32 s25, exec_lo, s25
	s_cbranch_execnz .LBB6_7654
; %bb.6101:                             ;   in Loop: Header=BB6_5432 Depth=2
	s_or_saveexec_b32 s25, s25
	v_mov_b32_e32 v167, s24
	s_xor_b32 exec_lo, exec_lo, s25
	s_cbranch_execnz .LBB6_7657
.LBB6_6102:                             ;   in Loop: Header=BB6_5432 Depth=2
	s_or_b32 exec_lo, exec_lo, s25
	s_and_saveexec_b32 s24, s7
	s_cbranch_execz .LBB6_6104
.LBB6_6103:                             ;   in Loop: Header=BB6_5432 Depth=2
	v_bfe_u32 v167, v33, 24, 3
	v_bfe_u32 v178, v33, 27, 4
	s_delay_alu instid0(VALU_DEP_2) | instskip(NEXT) | instid1(VALU_DEP_2)
	v_clz_i32_u32_e32 v176, v167
	v_cmp_eq_u32_e32 vcc_lo, 0, v178
	s_delay_alu instid0(VALU_DEP_2) | instskip(NEXT) | instid1(VALU_DEP_1)
	v_min_u32_e32 v176, 32, v176
	v_subrev_nc_u32_e32 v177, 28, v176
	v_sub_nc_u32_e32 v176, 29, v176
	s_delay_alu instid0(VALU_DEP_1) | instskip(NEXT) | instid1(VALU_DEP_1)
	v_dual_cndmask_b32 v176, v178, v176 :: v_dual_lshlrev_b32 v177, v177, v166
	v_and_b32_e32 v177, 7, v177
	s_delay_alu instid0(VALU_DEP_2) | instskip(NEXT) | instid1(VALU_DEP_2)
	v_lshl_add_u32 v176, v176, 23, 0x3b800000
	v_cndmask_b32_e32 v167, v167, v177, vcc_lo
	v_and_b32_e32 v177, 0x80000000, v33
	s_delay_alu instid0(VALU_DEP_2) | instskip(NEXT) | instid1(VALU_DEP_1)
	v_lshlrev_b32_e32 v167, 20, v167
	v_or3_b32 v167, v177, v176, v167
.LBB6_6104:                             ;   in Loop: Header=BB6_5432 Depth=2
	s_or_b32 exec_lo, exec_lo, s24
	s_mov_b32 s7, 0
	s_mov_b32 s25, exec_lo
                                        ; implicit-def: $sgpr24
	v_cmpx_lt_i16_e64 0x7f, v165
	s_xor_b32 s25, exec_lo, s25
	s_cbranch_execnz .LBB6_7658
; %bb.6105:                             ;   in Loop: Header=BB6_5432 Depth=2
	s_or_saveexec_b32 s25, s25
	v_mov_b32_e32 v176, s24
	s_xor_b32 exec_lo, exec_lo, s25
	s_cbranch_execnz .LBB6_7661
.LBB6_6106:                             ;   in Loop: Header=BB6_5432 Depth=2
	s_or_b32 exec_lo, exec_lo, s25
	s_and_saveexec_b32 s24, s7
	s_cbranch_execz .LBB6_6108
.LBB6_6107:                             ;   in Loop: Header=BB6_5432 Depth=2
	v_bfe_u32 v176, v27, 24, 3
	v_bfe_u32 v179, v27, 27, 4
	s_delay_alu instid0(VALU_DEP_2) | instskip(NEXT) | instid1(VALU_DEP_2)
	v_clz_i32_u32_e32 v177, v176
	v_cmp_eq_u32_e32 vcc_lo, 0, v179
	s_delay_alu instid0(VALU_DEP_2) | instskip(NEXT) | instid1(VALU_DEP_1)
	v_min_u32_e32 v177, 32, v177
	v_subrev_nc_u32_e32 v178, 28, v177
	v_sub_nc_u32_e32 v177, 29, v177
	s_delay_alu instid0(VALU_DEP_2) | instskip(NEXT) | instid1(VALU_DEP_1)
	v_lshlrev_b32_e32 v178, v178, v165
	v_dual_cndmask_b32 v177, v179, v177 :: v_dual_and_b32 v178, 7, v178
	s_delay_alu instid0(VALU_DEP_1) | instskip(NEXT) | instid1(VALU_DEP_2)
	v_lshl_add_u32 v177, v177, 23, 0x3b800000
	v_cndmask_b32_e32 v176, v176, v178, vcc_lo
	v_and_b32_e32 v178, 0x80000000, v27
	s_delay_alu instid0(VALU_DEP_2) | instskip(NEXT) | instid1(VALU_DEP_1)
	v_lshlrev_b32_e32 v176, 20, v176
	v_or3_b32 v176, v178, v177, v176
.LBB6_6108:                             ;   in Loop: Header=BB6_5432 Depth=2
	s_or_b32 exec_lo, exec_lo, s24
	s_delay_alu instid0(VALU_DEP_1) | instskip(SKIP_1) | instid1(VALU_DEP_1)
	v_dual_max_f32 v176, v176, v176 :: v_dual_max_f32 v167, v167, v167
	s_mov_b32 s7, 0
	v_max_f32_e32 v167, v167, v176
	s_branch .LBB6_6110
.LBB6_6109:                             ;   in Loop: Header=BB6_5432 Depth=2
	s_mov_b32 s7, -1
                                        ; implicit-def: $vgpr167
.LBB6_6110:                             ;   in Loop: Header=BB6_5432 Depth=2
	s_delay_alu instid0(SALU_CYCLE_1)
	s_and_b32 vcc_lo, exec_lo, s7
	s_cbranch_vccz .LBB6_6120
; %bb.6111:                             ;   in Loop: Header=BB6_5432 Depth=2
	s_mov_b32 s7, 0
	s_mov_b32 s25, exec_lo
                                        ; implicit-def: $sgpr24
	v_cmpx_lt_i16_e64 0x7f, v166
	s_xor_b32 s25, exec_lo, s25
	s_cbranch_execnz .LBB6_7662
; %bb.6112:                             ;   in Loop: Header=BB6_5432 Depth=2
	s_or_saveexec_b32 s25, s25
	v_mov_b32_e32 v167, s24
	s_xor_b32 exec_lo, exec_lo, s25
	s_cbranch_execnz .LBB6_7665
.LBB6_6113:                             ;   in Loop: Header=BB6_5432 Depth=2
	s_or_b32 exec_lo, exec_lo, s25
	s_and_saveexec_b32 s24, s7
	s_cbranch_execz .LBB6_6115
.LBB6_6114:                             ;   in Loop: Header=BB6_5432 Depth=2
	v_bfe_u32 v167, v33, 24, 3
	s_delay_alu instid0(VALU_DEP_1) | instskip(NEXT) | instid1(VALU_DEP_1)
	v_clz_i32_u32_e32 v176, v167
	v_min_u32_e32 v176, 32, v176
	s_delay_alu instid0(VALU_DEP_1) | instskip(SKIP_1) | instid1(VALU_DEP_2)
	v_subrev_nc_u32_e32 v177, 28, v176
	v_sub_nc_u32_e32 v176, 29, v176
	v_lshlrev_b32_e32 v166, v177, v166
	v_bfe_u32 v177, v33, 27, 4
	v_and_b32_e32 v33, 0x80000000, v33
	s_delay_alu instid0(VALU_DEP_3) | instskip(NEXT) | instid1(VALU_DEP_3)
	v_and_b32_e32 v166, 7, v166
	v_cmp_eq_u32_e32 vcc_lo, 0, v177
	v_cndmask_b32_e32 v176, v177, v176, vcc_lo
	s_delay_alu instid0(VALU_DEP_3) | instskip(NEXT) | instid1(VALU_DEP_2)
	v_cndmask_b32_e32 v166, v167, v166, vcc_lo
	v_lshl_add_u32 v167, v176, 23, 0x3b800000
	s_delay_alu instid0(VALU_DEP_2) | instskip(NEXT) | instid1(VALU_DEP_1)
	v_lshlrev_b32_e32 v166, 20, v166
	v_or3_b32 v167, v33, v167, v166
.LBB6_6115:                             ;   in Loop: Header=BB6_5432 Depth=2
	s_or_b32 exec_lo, exec_lo, s24
	s_mov_b32 s7, 0
	s_mov_b32 s25, exec_lo
                                        ; implicit-def: $sgpr24
	v_cmpx_lt_i16_e64 0x7f, v165
	s_xor_b32 s25, exec_lo, s25
	s_cbranch_execnz .LBB6_7666
; %bb.6116:                             ;   in Loop: Header=BB6_5432 Depth=2
	s_or_saveexec_b32 s25, s25
	v_mov_b32_e32 v33, s24
	s_xor_b32 exec_lo, exec_lo, s25
	s_cbranch_execnz .LBB6_7669
.LBB6_6117:                             ;   in Loop: Header=BB6_5432 Depth=2
	s_or_b32 exec_lo, exec_lo, s25
	s_and_saveexec_b32 s24, s7
	s_cbranch_execz .LBB6_6119
.LBB6_6118:                             ;   in Loop: Header=BB6_5432 Depth=2
	v_bfe_u32 v33, v27, 24, 3
	s_delay_alu instid0(VALU_DEP_1) | instskip(NEXT) | instid1(VALU_DEP_1)
	v_clz_i32_u32_e32 v166, v33
	v_min_u32_e32 v166, 32, v166
	s_delay_alu instid0(VALU_DEP_1) | instskip(SKIP_1) | instid1(VALU_DEP_2)
	v_subrev_nc_u32_e32 v176, 28, v166
	v_sub_nc_u32_e32 v166, 29, v166
	v_lshlrev_b32_e32 v165, v176, v165
	v_bfe_u32 v176, v27, 27, 4
	v_and_b32_e32 v27, 0x80000000, v27
	s_delay_alu instid0(VALU_DEP_2) | instskip(NEXT) | instid1(VALU_DEP_4)
	v_cmp_eq_u32_e32 vcc_lo, 0, v176
	v_dual_cndmask_b32 v166, v176, v166 :: v_dual_and_b32 v165, 7, v165
	s_delay_alu instid0(VALU_DEP_1) | instskip(NEXT) | instid1(VALU_DEP_2)
	v_cndmask_b32_e32 v33, v33, v165, vcc_lo
	v_lshl_add_u32 v165, v166, 23, 0x3b800000
	s_delay_alu instid0(VALU_DEP_2) | instskip(NEXT) | instid1(VALU_DEP_1)
	v_lshlrev_b32_e32 v33, 20, v33
	v_or3_b32 v33, v27, v165, v33
.LBB6_6119:                             ;   in Loop: Header=BB6_5432 Depth=2
	s_or_b32 exec_lo, exec_lo, s24
	s_delay_alu instid0(VALU_DEP_1) | instskip(SKIP_1) | instid1(VALU_DEP_1)
	v_max_f32_e32 v27, v33, v33
	v_max_f32_e32 v33, v167, v167
	v_min_f32_e32 v167, v33, v27
.LBB6_6120:                             ;   in Loop: Header=BB6_5432 Depth=2
	s_delay_alu instid0(VALU_DEP_1) | instskip(NEXT) | instid1(VALU_DEP_1)
	v_and_b32_e32 v27, 0x7f800000, v167
	v_cmp_ne_u32_e32 vcc_lo, 0x7f800000, v27
	v_mov_b32_e32 v27, 0x8000
	s_and_saveexec_b32 s24, vcc_lo
	s_cbranch_execz .LBB6_6128
; %bb.6121:                             ;   in Loop: Header=BB6_5432 Depth=2
	v_mov_b32_e32 v27, 0
	s_mov_b32 s25, exec_lo
	v_cmpx_ne_u32_e32 0, v167
	s_cbranch_execz .LBB6_6127
; %bb.6122:                             ;   in Loop: Header=BB6_5432 Depth=2
	v_bfe_u32 v27, v167, 23, 8
	v_and_b32_e32 v33, 0x7fffff, v167
	s_delay_alu instid0(VALU_DEP_2) | instskip(SKIP_1) | instid1(VALU_DEP_3)
	v_sub_nc_u32_e32 v165, 0x78, v27
	v_cmp_gt_u32_e32 vcc_lo, 0x79, v27
	v_or_b32_e32 v166, 0x800000, v33
	s_delay_alu instid0(VALU_DEP_3) | instskip(SKIP_2) | instid1(VALU_DEP_3)
	v_cndmask_b32_e32 v165, 0, v165, vcc_lo
	v_cmp_eq_u32_e32 vcc_lo, 0, v27
	v_add_nc_u32_e32 v27, 0xffffff89, v27
	v_cndmask_b32_e64 v165, v165, 0x77, vcc_lo
	v_cndmask_b32_e32 v33, v166, v33, vcc_lo
	s_delay_alu instid0(VALU_DEP_3) | instskip(NEXT) | instid1(VALU_DEP_3)
	v_cndmask_b32_e64 v27, v27, 0xffffff8a, vcc_lo
	v_lshl_add_u32 v166, 0x100000, v165, -1
	s_delay_alu instid0(VALU_DEP_3) | instskip(SKIP_1) | instid1(VALU_DEP_4)
	v_lshrrev_b32_e32 v176, v165, v33
	v_lshlrev_b32_e64 v178, v165, 0x80000
	v_add_nc_u32_e32 v165, v165, v27
	s_delay_alu instid0(VALU_DEP_4) | instskip(NEXT) | instid1(VALU_DEP_4)
	v_and_b32_e32 v33, v166, v33
	v_bfe_u32 v177, v176, 20, 1
	s_delay_alu instid0(VALU_DEP_2) | instskip(NEXT) | instid1(VALU_DEP_2)
	v_cmp_eq_u32_e64 s7, v33, v178
	v_add_nc_u32_e32 v166, -1, v177
	s_delay_alu instid0(VALU_DEP_1) | instskip(SKIP_2) | instid1(VALU_DEP_2)
	v_cndmask_b32_e64 v33, 0, v166, s7
	v_lshrrev_b32_e32 v166, 23, v176
	s_mov_b32 s7, exec_lo
	v_add_nc_u32_e32 v33, v33, v176
	s_delay_alu instid0(VALU_DEP_2) | instskip(NEXT) | instid1(VALU_DEP_2)
	v_xor_b32_e32 v166, 1, v166
	v_and_b32_e32 v27, 0xfffff, v33
	s_delay_alu instid0(VALU_DEP_1) | instskip(NEXT) | instid1(VALU_DEP_3)
	v_add_nc_u32_e32 v33, v27, v176
                                        ; implicit-def: $vgpr27
	v_cmpx_ne_u32_e64 v165, v166
	s_xor_b32 s7, exec_lo, s7
; %bb.6123:                             ;   in Loop: Header=BB6_5432 Depth=2
	s_delay_alu instid0(VALU_DEP_2) | instskip(SKIP_2) | instid1(VALU_DEP_2)
	v_cmp_lt_u32_e32 vcc_lo, 0xffffff, v33
	v_sub_nc_u32_e32 v27, v165, v166
	v_cndmask_b32_e64 v165, 0, 1, vcc_lo
	v_add_co_ci_u32_e32 v27, vcc_lo, 0, v27, vcc_lo
	s_delay_alu instid0(VALU_DEP_2)
	v_lshrrev_b32_e32 v33, v165, v33
; %bb.6124:                             ;   in Loop: Header=BB6_5432 Depth=2
	s_and_not1_saveexec_b32 s7, s7
; %bb.6125:                             ;   in Loop: Header=BB6_5432 Depth=2
	s_delay_alu instid0(VALU_DEP_1)
	v_bfe_u32 v27, v33, 23, 1
; %bb.6126:                             ;   in Loop: Header=BB6_5432 Depth=2
	s_or_b32 exec_lo, exec_lo, s7
	v_lshrrev_b32_e32 v33, 20, v33
	s_delay_alu instid0(VALU_DEP_2) | instskip(SKIP_2) | instid1(VALU_DEP_3)
	v_min_i32_e32 v165, 15, v27
	v_cmp_gt_i32_e32 vcc_lo, 16, v27
	v_lshrrev_b32_e32 v166, 24, v167
	v_lshlrev_b32_e32 v165, 3, v165
	s_delay_alu instid0(VALU_DEP_2) | instskip(NEXT) | instid1(VALU_DEP_2)
	v_dual_cndmask_b32 v33, 7, v33 :: v_dual_and_b32 v166, 0x80, v166
	v_and_b32_e32 v165, 0xf8, v165
	s_delay_alu instid0(VALU_DEP_2) | instskip(SKIP_1) | instid1(VALU_DEP_2)
	v_and_b32_e32 v167, 7, v33
	v_or_b32_e32 v27, v27, v33
	v_or3_b32 v165, v166, v165, v167
	s_delay_alu instid0(VALU_DEP_2) | instskip(NEXT) | instid1(VALU_DEP_2)
	v_cmp_ne_u32_e32 vcc_lo, 0, v27
	v_lshlrev_b32_e32 v33, 8, v165
	s_delay_alu instid0(VALU_DEP_1)
	v_cndmask_b32_e32 v27, 0, v33, vcc_lo
.LBB6_6127:                             ;   in Loop: Header=BB6_5432 Depth=2
	s_or_b32 exec_lo, exec_lo, s25
.LBB6_6128:                             ;   in Loop: Header=BB6_5432 Depth=2
	s_delay_alu instid0(SALU_CYCLE_1) | instskip(NEXT) | instid1(SALU_CYCLE_1)
	s_or_b32 exec_lo, exec_lo, s24
	s_and_not1_b32 vcc_lo, exec_lo, s23
	s_cbranch_vccnz .LBB6_6138
; %bb.6129:                             ;   in Loop: Header=BB6_5432 Depth=2
	v_and_b32_e32 v165, 0xff, v34
	s_mov_b32 s7, 0
	s_mov_b32 s25, exec_lo
                                        ; implicit-def: $sgpr24
	s_delay_alu instid0(VALU_DEP_1)
	v_cmpx_lt_i16_e64 0x7f, v165
	s_xor_b32 s25, exec_lo, s25
	s_cbranch_execnz .LBB6_7670
; %bb.6130:                             ;   in Loop: Header=BB6_5432 Depth=2
	s_or_saveexec_b32 s25, s25
	v_mov_b32_e32 v33, s24
	s_xor_b32 exec_lo, exec_lo, s25
	s_cbranch_execnz .LBB6_7673
.LBB6_6131:                             ;   in Loop: Header=BB6_5432 Depth=2
	s_or_b32 exec_lo, exec_lo, s25
	s_and_saveexec_b32 s24, s7
	s_cbranch_execz .LBB6_6133
.LBB6_6132:                             ;   in Loop: Header=BB6_5432 Depth=2
	v_and_b32_e32 v33, 7, v34
	v_bfe_u32 v167, v34, 3, 4
	v_lshlrev_b32_e32 v176, 24, v34
	s_delay_alu instid0(VALU_DEP_3) | instskip(NEXT) | instid1(VALU_DEP_3)
	v_clz_i32_u32_e32 v165, v33
	v_cmp_eq_u32_e32 vcc_lo, 0, v167
	s_delay_alu instid0(VALU_DEP_2) | instskip(NEXT) | instid1(VALU_DEP_1)
	v_min_u32_e32 v165, 32, v165
	v_subrev_nc_u32_e32 v166, 28, v165
	v_sub_nc_u32_e32 v165, 29, v165
	s_delay_alu instid0(VALU_DEP_1) | instskip(NEXT) | instid1(VALU_DEP_1)
	v_dual_cndmask_b32 v165, v167, v165 :: v_dual_lshlrev_b32 v166, v166, v34
	v_and_b32_e32 v166, 7, v166
	s_delay_alu instid0(VALU_DEP_2) | instskip(NEXT) | instid1(VALU_DEP_2)
	v_lshl_add_u32 v165, v165, 23, 0x3b800000
	v_dual_cndmask_b32 v33, v33, v166 :: v_dual_and_b32 v166, 0x80000000, v176
	s_delay_alu instid0(VALU_DEP_1) | instskip(NEXT) | instid1(VALU_DEP_1)
	v_lshlrev_b32_e32 v33, 20, v33
	v_or3_b32 v33, v166, v165, v33
.LBB6_6133:                             ;   in Loop: Header=BB6_5432 Depth=2
	s_or_b32 exec_lo, exec_lo, s24
	v_and_b32_e32 v166, 0xff, v28
	s_mov_b32 s7, 0
	s_mov_b32 s25, exec_lo
                                        ; implicit-def: $sgpr24
	s_delay_alu instid0(VALU_DEP_1)
	v_cmpx_lt_i16_e64 0x7f, v166
	s_xor_b32 s25, exec_lo, s25
	s_cbranch_execnz .LBB6_7674
; %bb.6134:                             ;   in Loop: Header=BB6_5432 Depth=2
	s_or_saveexec_b32 s25, s25
	v_mov_b32_e32 v165, s24
	s_xor_b32 exec_lo, exec_lo, s25
	s_cbranch_execnz .LBB6_7677
.LBB6_6135:                             ;   in Loop: Header=BB6_5432 Depth=2
	s_or_b32 exec_lo, exec_lo, s25
	s_and_saveexec_b32 s24, s7
	s_cbranch_execz .LBB6_6137
.LBB6_6136:                             ;   in Loop: Header=BB6_5432 Depth=2
	v_bfe_u32 v176, v28, 3, 4
	v_lshlrev_b32_e32 v177, 24, v28
	s_delay_alu instid0(VALU_DEP_2) | instskip(SKIP_1) | instid1(VALU_DEP_1)
	v_cmp_eq_u32_e32 vcc_lo, 0, v176
	v_and_b32_e32 v165, 7, v28
	v_clz_i32_u32_e32 v166, v165
	s_delay_alu instid0(VALU_DEP_1) | instskip(NEXT) | instid1(VALU_DEP_1)
	v_min_u32_e32 v166, 32, v166
	v_subrev_nc_u32_e32 v167, 28, v166
	v_sub_nc_u32_e32 v166, 29, v166
	s_delay_alu instid0(VALU_DEP_1) | instskip(NEXT) | instid1(VALU_DEP_1)
	v_dual_cndmask_b32 v166, v176, v166 :: v_dual_lshlrev_b32 v167, v167, v28
	v_and_b32_e32 v167, 7, v167
	s_delay_alu instid0(VALU_DEP_2) | instskip(NEXT) | instid1(VALU_DEP_2)
	v_lshl_add_u32 v166, v166, 23, 0x3b800000
	v_cndmask_b32_e32 v165, v165, v167, vcc_lo
	v_and_b32_e32 v167, 0x80000000, v177
	s_delay_alu instid0(VALU_DEP_2) | instskip(NEXT) | instid1(VALU_DEP_1)
	v_lshlrev_b32_e32 v165, 20, v165
	v_or3_b32 v165, v167, v166, v165
.LBB6_6137:                             ;   in Loop: Header=BB6_5432 Depth=2
	s_or_b32 exec_lo, exec_lo, s24
	s_delay_alu instid0(VALU_DEP_1) | instskip(SKIP_2) | instid1(VALU_DEP_1)
	v_max_f32_e32 v165, v165, v165
	v_max_f32_e32 v33, v33, v33
	s_mov_b32 s7, 0
	v_max_f32_e32 v165, v33, v165
	s_branch .LBB6_6139
.LBB6_6138:                             ;   in Loop: Header=BB6_5432 Depth=2
	s_mov_b32 s7, -1
                                        ; implicit-def: $vgpr165
.LBB6_6139:                             ;   in Loop: Header=BB6_5432 Depth=2
	s_delay_alu instid0(SALU_CYCLE_1)
	s_and_b32 vcc_lo, exec_lo, s7
	s_cbranch_vccz .LBB6_6149
; %bb.6140:                             ;   in Loop: Header=BB6_5432 Depth=2
	v_and_b32_e32 v165, 0xff, v34
	s_mov_b32 s7, 0
	s_mov_b32 s25, exec_lo
                                        ; implicit-def: $sgpr24
	s_delay_alu instid0(VALU_DEP_1)
	v_cmpx_lt_i16_e64 0x7f, v165
	s_xor_b32 s25, exec_lo, s25
	s_cbranch_execnz .LBB6_7678
; %bb.6141:                             ;   in Loop: Header=BB6_5432 Depth=2
	s_or_saveexec_b32 s25, s25
	v_mov_b32_e32 v33, s24
	s_xor_b32 exec_lo, exec_lo, s25
	s_cbranch_execnz .LBB6_7681
.LBB6_6142:                             ;   in Loop: Header=BB6_5432 Depth=2
	s_or_b32 exec_lo, exec_lo, s25
	s_and_saveexec_b32 s24, s7
	s_cbranch_execz .LBB6_6144
.LBB6_6143:                             ;   in Loop: Header=BB6_5432 Depth=2
	v_and_b32_e32 v33, 7, v34
	v_bfe_u32 v167, v34, 3, 4
	v_lshlrev_b32_e32 v176, 24, v34
	s_delay_alu instid0(VALU_DEP_3) | instskip(NEXT) | instid1(VALU_DEP_3)
	v_clz_i32_u32_e32 v165, v33
	v_cmp_eq_u32_e32 vcc_lo, 0, v167
	s_delay_alu instid0(VALU_DEP_2) | instskip(NEXT) | instid1(VALU_DEP_1)
	v_min_u32_e32 v165, 32, v165
	v_subrev_nc_u32_e32 v166, 28, v165
	v_sub_nc_u32_e32 v165, 29, v165
	s_delay_alu instid0(VALU_DEP_1) | instskip(NEXT) | instid1(VALU_DEP_1)
	v_dual_cndmask_b32 v165, v167, v165 :: v_dual_lshlrev_b32 v166, v166, v34
	v_and_b32_e32 v166, 7, v166
	s_delay_alu instid0(VALU_DEP_2) | instskip(NEXT) | instid1(VALU_DEP_2)
	v_lshl_add_u32 v165, v165, 23, 0x3b800000
	v_dual_cndmask_b32 v33, v33, v166 :: v_dual_and_b32 v166, 0x80000000, v176
	s_delay_alu instid0(VALU_DEP_1) | instskip(NEXT) | instid1(VALU_DEP_1)
	v_lshlrev_b32_e32 v33, 20, v33
	v_or3_b32 v33, v166, v165, v33
.LBB6_6144:                             ;   in Loop: Header=BB6_5432 Depth=2
	s_or_b32 exec_lo, exec_lo, s24
	v_and_b32_e32 v166, 0xff, v28
	s_mov_b32 s7, 0
	s_mov_b32 s25, exec_lo
                                        ; implicit-def: $sgpr24
	s_delay_alu instid0(VALU_DEP_1)
	v_cmpx_lt_i16_e64 0x7f, v166
	s_xor_b32 s25, exec_lo, s25
	s_cbranch_execnz .LBB6_7682
; %bb.6145:                             ;   in Loop: Header=BB6_5432 Depth=2
	s_or_saveexec_b32 s25, s25
	v_mov_b32_e32 v165, s24
	s_xor_b32 exec_lo, exec_lo, s25
	s_cbranch_execnz .LBB6_7685
.LBB6_6146:                             ;   in Loop: Header=BB6_5432 Depth=2
	s_or_b32 exec_lo, exec_lo, s25
	s_and_saveexec_b32 s24, s7
	s_cbranch_execz .LBB6_6148
.LBB6_6147:                             ;   in Loop: Header=BB6_5432 Depth=2
	v_bfe_u32 v176, v28, 3, 4
	v_lshlrev_b32_e32 v177, 24, v28
	s_delay_alu instid0(VALU_DEP_2) | instskip(SKIP_1) | instid1(VALU_DEP_1)
	v_cmp_eq_u32_e32 vcc_lo, 0, v176
	v_and_b32_e32 v165, 7, v28
	v_clz_i32_u32_e32 v166, v165
	s_delay_alu instid0(VALU_DEP_1) | instskip(NEXT) | instid1(VALU_DEP_1)
	v_min_u32_e32 v166, 32, v166
	v_subrev_nc_u32_e32 v167, 28, v166
	v_sub_nc_u32_e32 v166, 29, v166
	s_delay_alu instid0(VALU_DEP_1) | instskip(NEXT) | instid1(VALU_DEP_1)
	v_dual_cndmask_b32 v166, v176, v166 :: v_dual_lshlrev_b32 v167, v167, v28
	v_and_b32_e32 v167, 7, v167
	s_delay_alu instid0(VALU_DEP_2) | instskip(NEXT) | instid1(VALU_DEP_2)
	v_lshl_add_u32 v166, v166, 23, 0x3b800000
	v_cndmask_b32_e32 v165, v165, v167, vcc_lo
	v_and_b32_e32 v167, 0x80000000, v177
	s_delay_alu instid0(VALU_DEP_2) | instskip(NEXT) | instid1(VALU_DEP_1)
	v_lshlrev_b32_e32 v165, 20, v165
	v_or3_b32 v165, v167, v166, v165
.LBB6_6148:                             ;   in Loop: Header=BB6_5432 Depth=2
	s_or_b32 exec_lo, exec_lo, s24
	s_delay_alu instid0(VALU_DEP_1) | instskip(SKIP_1) | instid1(VALU_DEP_1)
	v_max_f32_e32 v165, v165, v165
	v_max_f32_e32 v33, v33, v33
	v_min_f32_e32 v165, v33, v165
.LBB6_6149:                             ;   in Loop: Header=BB6_5432 Depth=2
	s_delay_alu instid0(VALU_DEP_1) | instskip(NEXT) | instid1(VALU_DEP_1)
	v_and_b32_e32 v33, 0x7f800000, v165
	v_cmp_ne_u32_e32 vcc_lo, 0x7f800000, v33
	v_mov_b32_e32 v33, 0x80
	s_and_saveexec_b32 s24, vcc_lo
	s_cbranch_execz .LBB6_6157
; %bb.6150:                             ;   in Loop: Header=BB6_5432 Depth=2
	v_mov_b32_e32 v33, 0
	s_mov_b32 s25, exec_lo
	v_cmpx_ne_u32_e32 0, v165
	s_cbranch_execz .LBB6_6156
; %bb.6151:                             ;   in Loop: Header=BB6_5432 Depth=2
	v_bfe_u32 v33, v165, 23, 8
	s_delay_alu instid0(VALU_DEP_1) | instskip(SKIP_1) | instid1(VALU_DEP_2)
	v_sub_nc_u32_e32 v167, 0x78, v33
	v_cmp_gt_u32_e32 vcc_lo, 0x79, v33
	v_dual_cndmask_b32 v167, 0, v167 :: v_dual_and_b32 v166, 0x7fffff, v165
	s_delay_alu instid0(VALU_DEP_1) | instskip(SKIP_2) | instid1(VALU_DEP_4)
	v_or_b32_e32 v176, 0x800000, v166
	v_cmp_eq_u32_e32 vcc_lo, 0, v33
	v_add_nc_u32_e32 v33, 0xffffff89, v33
	v_cndmask_b32_e64 v167, v167, 0x77, vcc_lo
	s_delay_alu instid0(VALU_DEP_4) | instskip(NEXT) | instid1(VALU_DEP_3)
	v_cndmask_b32_e32 v166, v176, v166, vcc_lo
	v_cndmask_b32_e64 v33, v33, 0xffffff8a, vcc_lo
	s_delay_alu instid0(VALU_DEP_3) | instskip(NEXT) | instid1(VALU_DEP_3)
	v_lshl_add_u32 v176, 0x100000, v167, -1
	v_lshrrev_b32_e32 v177, v167, v166
	v_lshlrev_b32_e64 v179, v167, 0x80000
	s_delay_alu instid0(VALU_DEP_4) | instskip(NEXT) | instid1(VALU_DEP_4)
	v_add_nc_u32_e32 v167, v167, v33
	v_and_b32_e32 v166, v176, v166
	s_delay_alu instid0(VALU_DEP_4) | instskip(NEXT) | instid1(VALU_DEP_2)
	v_bfe_u32 v178, v177, 20, 1
	v_cmp_eq_u32_e64 s7, v166, v179
	s_delay_alu instid0(VALU_DEP_2) | instskip(NEXT) | instid1(VALU_DEP_1)
	v_add_nc_u32_e32 v176, -1, v178
	v_cndmask_b32_e64 v166, 0, v176, s7
	v_lshrrev_b32_e32 v176, 23, v177
	s_mov_b32 s7, exec_lo
	s_delay_alu instid0(VALU_DEP_2) | instskip(NEXT) | instid1(VALU_DEP_2)
	v_add_nc_u32_e32 v166, v166, v177
	v_xor_b32_e32 v176, 1, v176
	s_delay_alu instid0(VALU_DEP_2) | instskip(NEXT) | instid1(VALU_DEP_1)
	v_and_b32_e32 v33, 0xfffff, v166
	v_add_nc_u32_e32 v166, v33, v177
                                        ; implicit-def: $vgpr33
	s_delay_alu instid0(VALU_DEP_3)
	v_cmpx_ne_u32_e64 v167, v176
	s_xor_b32 s7, exec_lo, s7
; %bb.6152:                             ;   in Loop: Header=BB6_5432 Depth=2
	s_delay_alu instid0(VALU_DEP_2) | instskip(SKIP_2) | instid1(VALU_DEP_2)
	v_cmp_lt_u32_e32 vcc_lo, 0xffffff, v166
	v_sub_nc_u32_e32 v33, v167, v176
	v_cndmask_b32_e64 v167, 0, 1, vcc_lo
	v_add_co_ci_u32_e32 v33, vcc_lo, 0, v33, vcc_lo
	s_delay_alu instid0(VALU_DEP_2)
	v_lshrrev_b32_e32 v166, v167, v166
; %bb.6153:                             ;   in Loop: Header=BB6_5432 Depth=2
	s_and_not1_saveexec_b32 s7, s7
; %bb.6154:                             ;   in Loop: Header=BB6_5432 Depth=2
	s_delay_alu instid0(VALU_DEP_1)
	v_bfe_u32 v33, v166, 23, 1
; %bb.6155:                             ;   in Loop: Header=BB6_5432 Depth=2
	s_or_b32 exec_lo, exec_lo, s7
	v_lshrrev_b32_e32 v166, 20, v166
	s_delay_alu instid0(VALU_DEP_2) | instskip(SKIP_2) | instid1(VALU_DEP_2)
	v_cmp_gt_i32_e32 vcc_lo, 16, v33
	v_lshrrev_b32_e32 v165, 24, v165
	v_min_i32_e32 v167, 15, v33
	v_dual_cndmask_b32 v166, 7, v166 :: v_dual_and_b32 v165, 0x80, v165
	s_delay_alu instid0(VALU_DEP_2) | instskip(NEXT) | instid1(VALU_DEP_2)
	v_lshlrev_b32_e32 v167, 3, v167
	v_or_b32_e32 v33, v33, v166
	s_delay_alu instid0(VALU_DEP_1) | instskip(SKIP_1) | instid1(VALU_DEP_1)
	v_cmp_ne_u32_e32 vcc_lo, 0, v33
	v_and_b32_e32 v176, 7, v166
	v_or3_b32 v165, v167, v165, v176
	s_delay_alu instid0(VALU_DEP_1)
	v_cndmask_b32_e32 v33, 0, v165, vcc_lo
.LBB6_6156:                             ;   in Loop: Header=BB6_5432 Depth=2
	s_or_b32 exec_lo, exec_lo, s25
.LBB6_6157:                             ;   in Loop: Header=BB6_5432 Depth=2
	s_delay_alu instid0(SALU_CYCLE_1)
	s_or_b32 exec_lo, exec_lo, s24
	v_lshrrev_b16 v166, 8, v34
	v_lshrrev_b16 v165, 8, v28
	s_and_not1_b32 vcc_lo, exec_lo, s23
	s_cbranch_vccnz .LBB6_6167
; %bb.6158:                             ;   in Loop: Header=BB6_5432 Depth=2
	s_mov_b32 s7, 0
	s_mov_b32 s25, exec_lo
                                        ; implicit-def: $sgpr24
	v_cmpx_lt_i16_e64 0x7f, v166
	s_xor_b32 s25, exec_lo, s25
	s_cbranch_execnz .LBB6_7686
; %bb.6159:                             ;   in Loop: Header=BB6_5432 Depth=2
	s_or_saveexec_b32 s25, s25
	v_mov_b32_e32 v167, s24
	s_xor_b32 exec_lo, exec_lo, s25
	s_cbranch_execnz .LBB6_7689
.LBB6_6160:                             ;   in Loop: Header=BB6_5432 Depth=2
	s_or_b32 exec_lo, exec_lo, s25
	s_and_saveexec_b32 s24, s7
	s_cbranch_execz .LBB6_6162
.LBB6_6161:                             ;   in Loop: Header=BB6_5432 Depth=2
	v_and_b32_e32 v167, 0xffff, v166
	v_lshlrev_b32_e32 v179, 16, v34
	s_delay_alu instid0(VALU_DEP_2) | instskip(NEXT) | instid1(VALU_DEP_1)
	v_and_b32_e32 v176, 7, v167
	v_clz_i32_u32_e32 v177, v176
	s_delay_alu instid0(VALU_DEP_1) | instskip(NEXT) | instid1(VALU_DEP_1)
	v_min_u32_e32 v177, 32, v177
	v_subrev_nc_u32_e32 v178, 28, v177
	v_sub_nc_u32_e32 v177, 29, v177
	s_delay_alu instid0(VALU_DEP_2) | instskip(SKIP_1) | instid1(VALU_DEP_2)
	v_lshlrev_b32_e32 v178, v178, v167
	v_bfe_u32 v167, v167, 3, 4
	v_and_b32_e32 v178, 7, v178
	s_delay_alu instid0(VALU_DEP_2) | instskip(NEXT) | instid1(VALU_DEP_2)
	v_cmp_eq_u32_e32 vcc_lo, 0, v167
	v_dual_cndmask_b32 v167, v167, v177 :: v_dual_cndmask_b32 v176, v176, v178
	v_and_b32_e32 v177, 0x80000000, v179
	s_delay_alu instid0(VALU_DEP_2) | instskip(NEXT) | instid1(VALU_DEP_3)
	v_lshl_add_u32 v167, v167, 23, 0x3b800000
	v_lshlrev_b32_e32 v176, 20, v176
	s_delay_alu instid0(VALU_DEP_1)
	v_or3_b32 v167, v177, v167, v176
.LBB6_6162:                             ;   in Loop: Header=BB6_5432 Depth=2
	s_or_b32 exec_lo, exec_lo, s24
	s_mov_b32 s7, 0
	s_mov_b32 s25, exec_lo
                                        ; implicit-def: $sgpr24
	v_cmpx_lt_i16_e64 0x7f, v165
	s_xor_b32 s25, exec_lo, s25
	s_cbranch_execnz .LBB6_7690
; %bb.6163:                             ;   in Loop: Header=BB6_5432 Depth=2
	s_or_saveexec_b32 s25, s25
	v_mov_b32_e32 v176, s24
	s_xor_b32 exec_lo, exec_lo, s25
	s_cbranch_execnz .LBB6_7693
.LBB6_6164:                             ;   in Loop: Header=BB6_5432 Depth=2
	s_or_b32 exec_lo, exec_lo, s25
	s_and_saveexec_b32 s24, s7
	s_cbranch_execz .LBB6_6166
.LBB6_6165:                             ;   in Loop: Header=BB6_5432 Depth=2
	v_and_b32_e32 v176, 0xffff, v165
	v_lshlrev_b32_e32 v180, 16, v28
	s_delay_alu instid0(VALU_DEP_2) | instskip(NEXT) | instid1(VALU_DEP_1)
	v_and_b32_e32 v177, 7, v176
	v_clz_i32_u32_e32 v178, v177
	s_delay_alu instid0(VALU_DEP_1) | instskip(NEXT) | instid1(VALU_DEP_1)
	v_min_u32_e32 v178, 32, v178
	v_subrev_nc_u32_e32 v179, 28, v178
	v_sub_nc_u32_e32 v178, 29, v178
	s_delay_alu instid0(VALU_DEP_2) | instskip(SKIP_1) | instid1(VALU_DEP_2)
	v_lshlrev_b32_e32 v179, v179, v176
	v_bfe_u32 v176, v176, 3, 4
	v_and_b32_e32 v179, 7, v179
	s_delay_alu instid0(VALU_DEP_2) | instskip(NEXT) | instid1(VALU_DEP_2)
	v_cmp_eq_u32_e32 vcc_lo, 0, v176
	v_dual_cndmask_b32 v176, v176, v178 :: v_dual_cndmask_b32 v177, v177, v179
	v_and_b32_e32 v178, 0x80000000, v180
	s_delay_alu instid0(VALU_DEP_2) | instskip(NEXT) | instid1(VALU_DEP_3)
	v_lshl_add_u32 v176, v176, 23, 0x3b800000
	v_lshlrev_b32_e32 v177, 20, v177
	s_delay_alu instid0(VALU_DEP_1)
	v_or3_b32 v176, v178, v176, v177
.LBB6_6166:                             ;   in Loop: Header=BB6_5432 Depth=2
	s_or_b32 exec_lo, exec_lo, s24
	s_delay_alu instid0(VALU_DEP_1) | instskip(SKIP_1) | instid1(VALU_DEP_1)
	v_dual_max_f32 v176, v176, v176 :: v_dual_max_f32 v167, v167, v167
	s_mov_b32 s7, 0
	v_max_f32_e32 v167, v167, v176
	s_branch .LBB6_6168
.LBB6_6167:                             ;   in Loop: Header=BB6_5432 Depth=2
	s_mov_b32 s7, -1
                                        ; implicit-def: $vgpr167
.LBB6_6168:                             ;   in Loop: Header=BB6_5432 Depth=2
	s_delay_alu instid0(SALU_CYCLE_1)
	s_and_b32 vcc_lo, exec_lo, s7
	s_cbranch_vccz .LBB6_6178
; %bb.6169:                             ;   in Loop: Header=BB6_5432 Depth=2
	s_mov_b32 s7, 0
	s_mov_b32 s25, exec_lo
                                        ; implicit-def: $sgpr24
	v_cmpx_lt_i16_e64 0x7f, v166
	s_xor_b32 s25, exec_lo, s25
	s_cbranch_execnz .LBB6_7694
; %bb.6170:                             ;   in Loop: Header=BB6_5432 Depth=2
	s_or_saveexec_b32 s25, s25
	v_mov_b32_e32 v167, s24
	s_xor_b32 exec_lo, exec_lo, s25
	s_cbranch_execnz .LBB6_7697
.LBB6_6171:                             ;   in Loop: Header=BB6_5432 Depth=2
	s_or_b32 exec_lo, exec_lo, s25
	s_and_saveexec_b32 s24, s7
	s_cbranch_execz .LBB6_6173
.LBB6_6172:                             ;   in Loop: Header=BB6_5432 Depth=2
	v_and_b32_e32 v166, 0xffff, v166
	v_lshlrev_b32_e32 v178, 16, v34
	s_delay_alu instid0(VALU_DEP_2) | instskip(NEXT) | instid1(VALU_DEP_1)
	v_and_b32_e32 v167, 7, v166
	v_clz_i32_u32_e32 v176, v167
	s_delay_alu instid0(VALU_DEP_1) | instskip(NEXT) | instid1(VALU_DEP_1)
	v_min_u32_e32 v176, 32, v176
	v_subrev_nc_u32_e32 v177, 28, v176
	v_sub_nc_u32_e32 v176, 29, v176
	s_delay_alu instid0(VALU_DEP_2) | instskip(SKIP_1) | instid1(VALU_DEP_2)
	v_lshlrev_b32_e32 v177, v177, v166
	v_bfe_u32 v166, v166, 3, 4
	v_and_b32_e32 v177, 7, v177
	s_delay_alu instid0(VALU_DEP_2) | instskip(NEXT) | instid1(VALU_DEP_2)
	v_cmp_eq_u32_e32 vcc_lo, 0, v166
	v_dual_cndmask_b32 v166, v166, v176 :: v_dual_cndmask_b32 v167, v167, v177
	v_and_b32_e32 v176, 0x80000000, v178
	s_delay_alu instid0(VALU_DEP_2) | instskip(NEXT) | instid1(VALU_DEP_3)
	v_lshl_add_u32 v166, v166, 23, 0x3b800000
	v_lshlrev_b32_e32 v167, 20, v167
	s_delay_alu instid0(VALU_DEP_1)
	v_or3_b32 v167, v176, v166, v167
.LBB6_6173:                             ;   in Loop: Header=BB6_5432 Depth=2
	s_or_b32 exec_lo, exec_lo, s24
	s_mov_b32 s7, 0
	s_mov_b32 s25, exec_lo
                                        ; implicit-def: $sgpr24
	v_cmpx_lt_i16_e64 0x7f, v165
	s_xor_b32 s25, exec_lo, s25
	s_cbranch_execnz .LBB6_7698
; %bb.6174:                             ;   in Loop: Header=BB6_5432 Depth=2
	s_or_saveexec_b32 s25, s25
	v_mov_b32_e32 v166, s24
	s_xor_b32 exec_lo, exec_lo, s25
	s_cbranch_execnz .LBB6_7701
.LBB6_6175:                             ;   in Loop: Header=BB6_5432 Depth=2
	s_or_b32 exec_lo, exec_lo, s25
	s_and_saveexec_b32 s24, s7
	s_cbranch_execz .LBB6_6177
.LBB6_6176:                             ;   in Loop: Header=BB6_5432 Depth=2
	v_and_b32_e32 v165, 0xffff, v165
	v_lshlrev_b32_e32 v178, 16, v28
	s_delay_alu instid0(VALU_DEP_2) | instskip(NEXT) | instid1(VALU_DEP_1)
	v_and_b32_e32 v166, 7, v165
	v_clz_i32_u32_e32 v176, v166
	s_delay_alu instid0(VALU_DEP_1) | instskip(NEXT) | instid1(VALU_DEP_1)
	v_min_u32_e32 v176, 32, v176
	v_subrev_nc_u32_e32 v177, 28, v176
	v_sub_nc_u32_e32 v176, 29, v176
	s_delay_alu instid0(VALU_DEP_2) | instskip(SKIP_1) | instid1(VALU_DEP_2)
	v_lshlrev_b32_e32 v177, v177, v165
	v_bfe_u32 v165, v165, 3, 4
	v_and_b32_e32 v177, 7, v177
	s_delay_alu instid0(VALU_DEP_2) | instskip(NEXT) | instid1(VALU_DEP_2)
	v_cmp_eq_u32_e32 vcc_lo, 0, v165
	v_dual_cndmask_b32 v165, v165, v176 :: v_dual_cndmask_b32 v166, v166, v177
	v_and_b32_e32 v176, 0x80000000, v178
	s_delay_alu instid0(VALU_DEP_2) | instskip(NEXT) | instid1(VALU_DEP_3)
	v_lshl_add_u32 v165, v165, 23, 0x3b800000
	v_lshlrev_b32_e32 v166, 20, v166
	s_delay_alu instid0(VALU_DEP_1)
	v_or3_b32 v166, v176, v165, v166
.LBB6_6177:                             ;   in Loop: Header=BB6_5432 Depth=2
	s_or_b32 exec_lo, exec_lo, s24
	s_delay_alu instid0(VALU_DEP_1) | instskip(NEXT) | instid1(VALU_DEP_1)
	v_dual_max_f32 v165, v166, v166 :: v_dual_max_f32 v166, v167, v167
	v_min_f32_e32 v167, v166, v165
.LBB6_6178:                             ;   in Loop: Header=BB6_5432 Depth=2
	s_delay_alu instid0(VALU_DEP_1) | instskip(NEXT) | instid1(VALU_DEP_1)
	v_and_b32_e32 v165, 0x7f800000, v167
	v_cmp_ne_u32_e32 vcc_lo, 0x7f800000, v165
	v_mov_b32_e32 v165, 0x80
	s_and_saveexec_b32 s24, vcc_lo
	s_cbranch_execz .LBB6_6186
; %bb.6179:                             ;   in Loop: Header=BB6_5432 Depth=2
	v_mov_b32_e32 v165, 0
	s_mov_b32 s25, exec_lo
	v_cmpx_ne_u32_e32 0, v167
	s_cbranch_execz .LBB6_6185
; %bb.6180:                             ;   in Loop: Header=BB6_5432 Depth=2
	v_bfe_u32 v165, v167, 23, 8
	v_and_b32_e32 v166, 0x7fffff, v167
	s_delay_alu instid0(VALU_DEP_2) | instskip(SKIP_1) | instid1(VALU_DEP_3)
	v_sub_nc_u32_e32 v176, 0x78, v165
	v_cmp_gt_u32_e32 vcc_lo, 0x79, v165
	v_or_b32_e32 v177, 0x800000, v166
	s_delay_alu instid0(VALU_DEP_3) | instskip(SKIP_2) | instid1(VALU_DEP_3)
	v_cndmask_b32_e32 v176, 0, v176, vcc_lo
	v_cmp_eq_u32_e32 vcc_lo, 0, v165
	v_add_nc_u32_e32 v165, 0xffffff89, v165
	v_cndmask_b32_e64 v176, v176, 0x77, vcc_lo
	v_cndmask_b32_e32 v166, v177, v166, vcc_lo
	s_delay_alu instid0(VALU_DEP_3) | instskip(NEXT) | instid1(VALU_DEP_3)
	v_cndmask_b32_e64 v165, v165, 0xffffff8a, vcc_lo
	v_lshl_add_u32 v177, 0x100000, v176, -1
	s_delay_alu instid0(VALU_DEP_3) | instskip(SKIP_1) | instid1(VALU_DEP_4)
	v_lshrrev_b32_e32 v178, v176, v166
	v_lshlrev_b32_e64 v180, v176, 0x80000
	v_add_nc_u32_e32 v176, v176, v165
	s_delay_alu instid0(VALU_DEP_4) | instskip(NEXT) | instid1(VALU_DEP_4)
	v_and_b32_e32 v166, v177, v166
	v_bfe_u32 v179, v178, 20, 1
	s_delay_alu instid0(VALU_DEP_2) | instskip(NEXT) | instid1(VALU_DEP_2)
	v_cmp_eq_u32_e64 s7, v166, v180
	v_add_nc_u32_e32 v177, -1, v179
	s_delay_alu instid0(VALU_DEP_1) | instskip(SKIP_2) | instid1(VALU_DEP_2)
	v_cndmask_b32_e64 v166, 0, v177, s7
	v_lshrrev_b32_e32 v177, 23, v178
	s_mov_b32 s7, exec_lo
	v_add_nc_u32_e32 v166, v166, v178
	s_delay_alu instid0(VALU_DEP_2) | instskip(NEXT) | instid1(VALU_DEP_2)
	v_xor_b32_e32 v177, 1, v177
	v_and_b32_e32 v165, 0xfffff, v166
	s_delay_alu instid0(VALU_DEP_1) | instskip(NEXT) | instid1(VALU_DEP_3)
	v_add_nc_u32_e32 v166, v165, v178
                                        ; implicit-def: $vgpr165
	v_cmpx_ne_u32_e64 v176, v177
	s_xor_b32 s7, exec_lo, s7
; %bb.6181:                             ;   in Loop: Header=BB6_5432 Depth=2
	s_delay_alu instid0(VALU_DEP_2) | instskip(SKIP_2) | instid1(VALU_DEP_2)
	v_cmp_lt_u32_e32 vcc_lo, 0xffffff, v166
	v_sub_nc_u32_e32 v165, v176, v177
	v_cndmask_b32_e64 v176, 0, 1, vcc_lo
	v_add_co_ci_u32_e32 v165, vcc_lo, 0, v165, vcc_lo
	s_delay_alu instid0(VALU_DEP_2)
	v_lshrrev_b32_e32 v166, v176, v166
; %bb.6182:                             ;   in Loop: Header=BB6_5432 Depth=2
	s_and_not1_saveexec_b32 s7, s7
; %bb.6183:                             ;   in Loop: Header=BB6_5432 Depth=2
	s_delay_alu instid0(VALU_DEP_1)
	v_bfe_u32 v165, v166, 23, 1
; %bb.6184:                             ;   in Loop: Header=BB6_5432 Depth=2
	s_or_b32 exec_lo, exec_lo, s7
	v_lshrrev_b32_e32 v166, 20, v166
	s_delay_alu instid0(VALU_DEP_2) | instskip(SKIP_2) | instid1(VALU_DEP_2)
	v_cmp_gt_i32_e32 vcc_lo, 16, v165
	v_lshrrev_b32_e32 v167, 24, v167
	v_min_i32_e32 v176, 15, v165
	v_dual_cndmask_b32 v166, 7, v166 :: v_dual_and_b32 v167, 0x80, v167
	s_delay_alu instid0(VALU_DEP_1) | instskip(SKIP_1) | instid1(VALU_DEP_2)
	v_or_b32_e32 v165, v165, v166
	v_and_b32_e32 v177, 7, v166
	v_cmp_ne_u32_e32 vcc_lo, 0, v165
	v_lshlrev_b32_e32 v176, 3, v176
	s_delay_alu instid0(VALU_DEP_1) | instskip(NEXT) | instid1(VALU_DEP_1)
	v_or3_b32 v166, v176, v167, v177
	v_cndmask_b32_e32 v165, 0, v166, vcc_lo
.LBB6_6185:                             ;   in Loop: Header=BB6_5432 Depth=2
	s_or_b32 exec_lo, exec_lo, s25
.LBB6_6186:                             ;   in Loop: Header=BB6_5432 Depth=2
	s_delay_alu instid0(SALU_CYCLE_1)
	s_or_b32 exec_lo, exec_lo, s24
	v_lshrrev_b32_e32 v167, 16, v34
	v_lshrrev_b32_e32 v166, 16, v28
	s_and_not1_b32 vcc_lo, exec_lo, s23
	s_cbranch_vccnz .LBB6_6196
; %bb.6187:                             ;   in Loop: Header=BB6_5432 Depth=2
	s_delay_alu instid0(VALU_DEP_2) | instskip(SKIP_2) | instid1(VALU_DEP_1)
	v_and_b32_e32 v177, 0xff, v167
	s_mov_b32 s7, 0
	s_mov_b32 s25, exec_lo
                                        ; implicit-def: $sgpr24
	v_cmpx_lt_i16_e64 0x7f, v177
	s_xor_b32 s25, exec_lo, s25
	s_cbranch_execnz .LBB6_7702
; %bb.6188:                             ;   in Loop: Header=BB6_5432 Depth=2
	s_or_saveexec_b32 s25, s25
	v_mov_b32_e32 v176, s24
	s_xor_b32 exec_lo, exec_lo, s25
	s_cbranch_execnz .LBB6_7705
.LBB6_6189:                             ;   in Loop: Header=BB6_5432 Depth=2
	s_or_b32 exec_lo, exec_lo, s25
	s_and_saveexec_b32 s24, s7
	s_cbranch_execz .LBB6_6191
.LBB6_6190:                             ;   in Loop: Header=BB6_5432 Depth=2
	v_bfe_u32 v176, v34, 16, 3
	v_bfe_u32 v179, v34, 19, 4
	v_lshlrev_b32_e32 v180, 24, v167
	s_delay_alu instid0(VALU_DEP_3) | instskip(NEXT) | instid1(VALU_DEP_3)
	v_clz_i32_u32_e32 v177, v176
	v_cmp_eq_u32_e32 vcc_lo, 0, v179
	s_delay_alu instid0(VALU_DEP_2) | instskip(NEXT) | instid1(VALU_DEP_1)
	v_min_u32_e32 v177, 32, v177
	v_subrev_nc_u32_e32 v178, 28, v177
	v_sub_nc_u32_e32 v177, 29, v177
	s_delay_alu instid0(VALU_DEP_1) | instskip(NEXT) | instid1(VALU_DEP_1)
	v_dual_cndmask_b32 v177, v179, v177 :: v_dual_lshlrev_b32 v178, v178, v167
	v_and_b32_e32 v178, 7, v178
	s_delay_alu instid0(VALU_DEP_2) | instskip(NEXT) | instid1(VALU_DEP_2)
	v_lshl_add_u32 v177, v177, 23, 0x3b800000
	v_cndmask_b32_e32 v176, v176, v178, vcc_lo
	v_and_b32_e32 v178, 0x80000000, v180
	s_delay_alu instid0(VALU_DEP_2) | instskip(NEXT) | instid1(VALU_DEP_1)
	v_lshlrev_b32_e32 v176, 20, v176
	v_or3_b32 v176, v178, v177, v176
.LBB6_6191:                             ;   in Loop: Header=BB6_5432 Depth=2
	s_or_b32 exec_lo, exec_lo, s24
	v_and_b32_e32 v178, 0xff, v166
	s_mov_b32 s7, 0
	s_mov_b32 s25, exec_lo
                                        ; implicit-def: $sgpr24
	s_delay_alu instid0(VALU_DEP_1)
	v_cmpx_lt_i16_e64 0x7f, v178
	s_xor_b32 s25, exec_lo, s25
	s_cbranch_execnz .LBB6_7706
; %bb.6192:                             ;   in Loop: Header=BB6_5432 Depth=2
	s_or_saveexec_b32 s25, s25
	v_mov_b32_e32 v177, s24
	s_xor_b32 exec_lo, exec_lo, s25
	s_cbranch_execnz .LBB6_7709
.LBB6_6193:                             ;   in Loop: Header=BB6_5432 Depth=2
	s_or_b32 exec_lo, exec_lo, s25
	s_and_saveexec_b32 s24, s7
	s_cbranch_execz .LBB6_6195
.LBB6_6194:                             ;   in Loop: Header=BB6_5432 Depth=2
	v_bfe_u32 v177, v28, 16, 3
	v_bfe_u32 v180, v28, 19, 4
	v_lshlrev_b32_e32 v181, 24, v166
	s_delay_alu instid0(VALU_DEP_3) | instskip(NEXT) | instid1(VALU_DEP_3)
	v_clz_i32_u32_e32 v178, v177
	v_cmp_eq_u32_e32 vcc_lo, 0, v180
	s_delay_alu instid0(VALU_DEP_2) | instskip(NEXT) | instid1(VALU_DEP_1)
	v_min_u32_e32 v178, 32, v178
	v_subrev_nc_u32_e32 v179, 28, v178
	v_sub_nc_u32_e32 v178, 29, v178
	s_delay_alu instid0(VALU_DEP_2) | instskip(NEXT) | instid1(VALU_DEP_1)
	v_lshlrev_b32_e32 v179, v179, v166
	v_dual_cndmask_b32 v178, v180, v178 :: v_dual_and_b32 v179, 7, v179
	s_delay_alu instid0(VALU_DEP_1) | instskip(NEXT) | instid1(VALU_DEP_2)
	v_lshl_add_u32 v178, v178, 23, 0x3b800000
	v_cndmask_b32_e32 v177, v177, v179, vcc_lo
	v_and_b32_e32 v179, 0x80000000, v181
	s_delay_alu instid0(VALU_DEP_2) | instskip(NEXT) | instid1(VALU_DEP_1)
	v_lshlrev_b32_e32 v177, 20, v177
	v_or3_b32 v177, v179, v178, v177
.LBB6_6195:                             ;   in Loop: Header=BB6_5432 Depth=2
	s_or_b32 exec_lo, exec_lo, s24
	s_delay_alu instid0(VALU_DEP_1) | instskip(SKIP_1) | instid1(VALU_DEP_1)
	v_dual_max_f32 v177, v177, v177 :: v_dual_max_f32 v176, v176, v176
	s_mov_b32 s7, 0
	v_max_f32_e32 v176, v176, v177
	s_branch .LBB6_6197
.LBB6_6196:                             ;   in Loop: Header=BB6_5432 Depth=2
	s_mov_b32 s7, -1
                                        ; implicit-def: $vgpr176
.LBB6_6197:                             ;   in Loop: Header=BB6_5432 Depth=2
	s_delay_alu instid0(SALU_CYCLE_1)
	s_and_b32 vcc_lo, exec_lo, s7
	s_cbranch_vccz .LBB6_6207
; %bb.6198:                             ;   in Loop: Header=BB6_5432 Depth=2
	v_and_b32_e32 v177, 0xff, v167
	s_mov_b32 s7, 0
	s_mov_b32 s25, exec_lo
                                        ; implicit-def: $sgpr24
	s_delay_alu instid0(VALU_DEP_1)
	v_cmpx_lt_i16_e64 0x7f, v177
	s_xor_b32 s25, exec_lo, s25
	s_cbranch_execnz .LBB6_7710
; %bb.6199:                             ;   in Loop: Header=BB6_5432 Depth=2
	s_or_saveexec_b32 s25, s25
	v_mov_b32_e32 v176, s24
	s_xor_b32 exec_lo, exec_lo, s25
	s_cbranch_execnz .LBB6_7713
.LBB6_6200:                             ;   in Loop: Header=BB6_5432 Depth=2
	s_or_b32 exec_lo, exec_lo, s25
	s_and_saveexec_b32 s24, s7
	s_cbranch_execz .LBB6_6202
.LBB6_6201:                             ;   in Loop: Header=BB6_5432 Depth=2
	v_bfe_u32 v176, v34, 16, 3
	v_bfe_u32 v179, v34, 19, 4
	s_delay_alu instid0(VALU_DEP_2) | instskip(NEXT) | instid1(VALU_DEP_2)
	v_clz_i32_u32_e32 v177, v176
	v_cmp_eq_u32_e32 vcc_lo, 0, v179
	s_delay_alu instid0(VALU_DEP_2) | instskip(NEXT) | instid1(VALU_DEP_1)
	v_min_u32_e32 v177, 32, v177
	v_subrev_nc_u32_e32 v178, 28, v177
	v_sub_nc_u32_e32 v177, 29, v177
	s_delay_alu instid0(VALU_DEP_1) | instskip(NEXT) | instid1(VALU_DEP_1)
	v_dual_cndmask_b32 v177, v179, v177 :: v_dual_lshlrev_b32 v178, v178, v167
	v_and_b32_e32 v178, 7, v178
	v_lshlrev_b32_e32 v167, 24, v167
	s_delay_alu instid0(VALU_DEP_3) | instskip(NEXT) | instid1(VALU_DEP_2)
	v_lshl_add_u32 v177, v177, 23, 0x3b800000
	v_dual_cndmask_b32 v176, v176, v178 :: v_dual_and_b32 v167, 0x80000000, v167
	s_delay_alu instid0(VALU_DEP_1) | instskip(NEXT) | instid1(VALU_DEP_1)
	v_lshlrev_b32_e32 v176, 20, v176
	v_or3_b32 v176, v167, v177, v176
.LBB6_6202:                             ;   in Loop: Header=BB6_5432 Depth=2
	s_or_b32 exec_lo, exec_lo, s24
	v_and_b32_e32 v177, 0xff, v166
	s_mov_b32 s7, 0
	s_mov_b32 s25, exec_lo
                                        ; implicit-def: $sgpr24
	s_delay_alu instid0(VALU_DEP_1)
	v_cmpx_lt_i16_e64 0x7f, v177
	s_xor_b32 s25, exec_lo, s25
	s_cbranch_execnz .LBB6_7714
; %bb.6203:                             ;   in Loop: Header=BB6_5432 Depth=2
	s_or_saveexec_b32 s25, s25
	v_mov_b32_e32 v167, s24
	s_xor_b32 exec_lo, exec_lo, s25
	s_cbranch_execnz .LBB6_7717
.LBB6_6204:                             ;   in Loop: Header=BB6_5432 Depth=2
	s_or_b32 exec_lo, exec_lo, s25
	s_and_saveexec_b32 s24, s7
	s_cbranch_execz .LBB6_6206
.LBB6_6205:                             ;   in Loop: Header=BB6_5432 Depth=2
	v_bfe_u32 v167, v28, 16, 3
	v_bfe_u32 v179, v28, 19, 4
	s_delay_alu instid0(VALU_DEP_2) | instskip(NEXT) | instid1(VALU_DEP_2)
	v_clz_i32_u32_e32 v177, v167
	v_cmp_eq_u32_e32 vcc_lo, 0, v179
	s_delay_alu instid0(VALU_DEP_2) | instskip(NEXT) | instid1(VALU_DEP_1)
	v_min_u32_e32 v177, 32, v177
	v_subrev_nc_u32_e32 v178, 28, v177
	v_sub_nc_u32_e32 v177, 29, v177
	s_delay_alu instid0(VALU_DEP_1) | instskip(SKIP_1) | instid1(VALU_DEP_2)
	v_dual_cndmask_b32 v177, v179, v177 :: v_dual_lshlrev_b32 v178, v178, v166
	v_lshlrev_b32_e32 v166, 24, v166
	v_and_b32_e32 v178, 7, v178
	s_delay_alu instid0(VALU_DEP_3) | instskip(NEXT) | instid1(VALU_DEP_3)
	v_lshl_add_u32 v177, v177, 23, 0x3b800000
	v_and_b32_e32 v166, 0x80000000, v166
	s_delay_alu instid0(VALU_DEP_3) | instskip(NEXT) | instid1(VALU_DEP_1)
	v_cndmask_b32_e32 v167, v167, v178, vcc_lo
	v_lshlrev_b32_e32 v167, 20, v167
	s_delay_alu instid0(VALU_DEP_1)
	v_or3_b32 v167, v166, v177, v167
.LBB6_6206:                             ;   in Loop: Header=BB6_5432 Depth=2
	s_or_b32 exec_lo, exec_lo, s24
	s_delay_alu instid0(VALU_DEP_1) | instskip(NEXT) | instid1(VALU_DEP_1)
	v_dual_max_f32 v166, v167, v167 :: v_dual_max_f32 v167, v176, v176
	v_min_f32_e32 v176, v167, v166
.LBB6_6207:                             ;   in Loop: Header=BB6_5432 Depth=2
	s_delay_alu instid0(VALU_DEP_1) | instskip(NEXT) | instid1(VALU_DEP_1)
	v_and_b32_e32 v166, 0x7f800000, v176
	v_cmp_ne_u32_e32 vcc_lo, 0x7f800000, v166
	v_mov_b32_e32 v166, 0x80
	s_and_saveexec_b32 s24, vcc_lo
	s_cbranch_execz .LBB6_6215
; %bb.6208:                             ;   in Loop: Header=BB6_5432 Depth=2
	v_mov_b32_e32 v166, 0
	s_mov_b32 s25, exec_lo
	v_cmpx_ne_u32_e32 0, v176
	s_cbranch_execz .LBB6_6214
; %bb.6209:                             ;   in Loop: Header=BB6_5432 Depth=2
	v_bfe_u32 v166, v176, 23, 8
	v_and_b32_e32 v167, 0x7fffff, v176
	s_delay_alu instid0(VALU_DEP_2) | instskip(SKIP_1) | instid1(VALU_DEP_3)
	v_sub_nc_u32_e32 v177, 0x78, v166
	v_cmp_gt_u32_e32 vcc_lo, 0x79, v166
	v_or_b32_e32 v178, 0x800000, v167
	s_delay_alu instid0(VALU_DEP_3) | instskip(SKIP_2) | instid1(VALU_DEP_3)
	v_cndmask_b32_e32 v177, 0, v177, vcc_lo
	v_cmp_eq_u32_e32 vcc_lo, 0, v166
	v_add_nc_u32_e32 v166, 0xffffff89, v166
	v_cndmask_b32_e64 v177, v177, 0x77, vcc_lo
	v_cndmask_b32_e32 v167, v178, v167, vcc_lo
	s_delay_alu instid0(VALU_DEP_3) | instskip(NEXT) | instid1(VALU_DEP_3)
	v_cndmask_b32_e64 v166, v166, 0xffffff8a, vcc_lo
	v_lshl_add_u32 v178, 0x100000, v177, -1
	s_delay_alu instid0(VALU_DEP_3) | instskip(SKIP_1) | instid1(VALU_DEP_4)
	v_lshrrev_b32_e32 v179, v177, v167
	v_lshlrev_b32_e64 v181, v177, 0x80000
	v_add_nc_u32_e32 v177, v177, v166
	s_delay_alu instid0(VALU_DEP_4) | instskip(NEXT) | instid1(VALU_DEP_4)
	v_and_b32_e32 v167, v178, v167
	v_bfe_u32 v180, v179, 20, 1
	s_delay_alu instid0(VALU_DEP_2) | instskip(NEXT) | instid1(VALU_DEP_2)
	v_cmp_eq_u32_e64 s7, v167, v181
	v_add_nc_u32_e32 v178, -1, v180
	s_delay_alu instid0(VALU_DEP_1) | instskip(SKIP_2) | instid1(VALU_DEP_2)
	v_cndmask_b32_e64 v167, 0, v178, s7
	v_lshrrev_b32_e32 v178, 23, v179
	s_mov_b32 s7, exec_lo
	v_add_nc_u32_e32 v167, v167, v179
	s_delay_alu instid0(VALU_DEP_2) | instskip(NEXT) | instid1(VALU_DEP_2)
	v_xor_b32_e32 v178, 1, v178
	v_and_b32_e32 v166, 0xfffff, v167
	s_delay_alu instid0(VALU_DEP_1) | instskip(NEXT) | instid1(VALU_DEP_3)
	v_add_nc_u32_e32 v167, v166, v179
                                        ; implicit-def: $vgpr166
	v_cmpx_ne_u32_e64 v177, v178
	s_xor_b32 s7, exec_lo, s7
; %bb.6210:                             ;   in Loop: Header=BB6_5432 Depth=2
	s_delay_alu instid0(VALU_DEP_2) | instskip(SKIP_2) | instid1(VALU_DEP_2)
	v_cmp_lt_u32_e32 vcc_lo, 0xffffff, v167
	v_sub_nc_u32_e32 v166, v177, v178
	v_cndmask_b32_e64 v177, 0, 1, vcc_lo
	v_add_co_ci_u32_e32 v166, vcc_lo, 0, v166, vcc_lo
	s_delay_alu instid0(VALU_DEP_2)
	v_lshrrev_b32_e32 v167, v177, v167
; %bb.6211:                             ;   in Loop: Header=BB6_5432 Depth=2
	s_and_not1_saveexec_b32 s7, s7
; %bb.6212:                             ;   in Loop: Header=BB6_5432 Depth=2
	s_delay_alu instid0(VALU_DEP_1)
	v_bfe_u32 v166, v167, 23, 1
; %bb.6213:                             ;   in Loop: Header=BB6_5432 Depth=2
	s_or_b32 exec_lo, exec_lo, s7
	v_lshrrev_b32_e32 v167, 20, v167
	s_delay_alu instid0(VALU_DEP_2) | instskip(SKIP_2) | instid1(VALU_DEP_2)
	v_cmp_gt_i32_e32 vcc_lo, 16, v166
	v_lshrrev_b32_e32 v176, 24, v176
	v_min_i32_e32 v177, 15, v166
	v_dual_cndmask_b32 v167, 7, v167 :: v_dual_and_b32 v176, 0x80, v176
	s_delay_alu instid0(VALU_DEP_1) | instskip(SKIP_1) | instid1(VALU_DEP_2)
	v_or_b32_e32 v166, v166, v167
	v_and_b32_e32 v178, 7, v167
	v_cmp_ne_u32_e32 vcc_lo, 0, v166
	v_lshlrev_b32_e32 v177, 3, v177
	s_delay_alu instid0(VALU_DEP_1) | instskip(NEXT) | instid1(VALU_DEP_1)
	v_or3_b32 v167, v177, v176, v178
	v_cndmask_b32_e32 v166, 0, v167, vcc_lo
.LBB6_6214:                             ;   in Loop: Header=BB6_5432 Depth=2
	s_or_b32 exec_lo, exec_lo, s25
.LBB6_6215:                             ;   in Loop: Header=BB6_5432 Depth=2
	s_delay_alu instid0(SALU_CYCLE_1)
	s_or_b32 exec_lo, exec_lo, s24
	v_lshrrev_b32_e32 v176, 24, v34
	v_lshrrev_b32_e32 v167, 24, v28
	s_and_not1_b32 vcc_lo, exec_lo, s23
	s_cbranch_vccnz .LBB6_6225
; %bb.6216:                             ;   in Loop: Header=BB6_5432 Depth=2
	s_mov_b32 s7, 0
	s_mov_b32 s25, exec_lo
                                        ; implicit-def: $sgpr24
	v_cmpx_lt_i16_e64 0x7f, v176
	s_xor_b32 s25, exec_lo, s25
	s_cbranch_execnz .LBB6_7718
; %bb.6217:                             ;   in Loop: Header=BB6_5432 Depth=2
	s_or_saveexec_b32 s25, s25
	v_mov_b32_e32 v177, s24
	s_xor_b32 exec_lo, exec_lo, s25
	s_cbranch_execnz .LBB6_7721
.LBB6_6218:                             ;   in Loop: Header=BB6_5432 Depth=2
	s_or_b32 exec_lo, exec_lo, s25
	s_and_saveexec_b32 s24, s7
	s_cbranch_execz .LBB6_6220
.LBB6_6219:                             ;   in Loop: Header=BB6_5432 Depth=2
	v_bfe_u32 v177, v34, 24, 3
	v_bfe_u32 v180, v34, 27, 4
	s_delay_alu instid0(VALU_DEP_2) | instskip(NEXT) | instid1(VALU_DEP_2)
	v_clz_i32_u32_e32 v178, v177
	v_cmp_eq_u32_e32 vcc_lo, 0, v180
	s_delay_alu instid0(VALU_DEP_2) | instskip(NEXT) | instid1(VALU_DEP_1)
	v_min_u32_e32 v178, 32, v178
	v_subrev_nc_u32_e32 v179, 28, v178
	v_sub_nc_u32_e32 v178, 29, v178
	s_delay_alu instid0(VALU_DEP_1) | instskip(NEXT) | instid1(VALU_DEP_1)
	v_dual_cndmask_b32 v178, v180, v178 :: v_dual_lshlrev_b32 v179, v179, v176
	v_and_b32_e32 v179, 7, v179
	s_delay_alu instid0(VALU_DEP_2) | instskip(NEXT) | instid1(VALU_DEP_2)
	v_lshl_add_u32 v178, v178, 23, 0x3b800000
	v_cndmask_b32_e32 v177, v177, v179, vcc_lo
	v_and_b32_e32 v179, 0x80000000, v34
	s_delay_alu instid0(VALU_DEP_2) | instskip(NEXT) | instid1(VALU_DEP_1)
	v_lshlrev_b32_e32 v177, 20, v177
	v_or3_b32 v177, v179, v178, v177
.LBB6_6220:                             ;   in Loop: Header=BB6_5432 Depth=2
	s_or_b32 exec_lo, exec_lo, s24
	s_mov_b32 s7, 0
	s_mov_b32 s25, exec_lo
                                        ; implicit-def: $sgpr24
	v_cmpx_lt_i16_e64 0x7f, v167
	s_xor_b32 s25, exec_lo, s25
	s_cbranch_execnz .LBB6_7722
; %bb.6221:                             ;   in Loop: Header=BB6_5432 Depth=2
	s_or_saveexec_b32 s25, s25
	v_mov_b32_e32 v178, s24
	s_xor_b32 exec_lo, exec_lo, s25
	s_cbranch_execnz .LBB6_7725
.LBB6_6222:                             ;   in Loop: Header=BB6_5432 Depth=2
	s_or_b32 exec_lo, exec_lo, s25
	s_and_saveexec_b32 s24, s7
	s_cbranch_execz .LBB6_6224
.LBB6_6223:                             ;   in Loop: Header=BB6_5432 Depth=2
	v_bfe_u32 v178, v28, 24, 3
	v_bfe_u32 v181, v28, 27, 4
	s_delay_alu instid0(VALU_DEP_2) | instskip(NEXT) | instid1(VALU_DEP_2)
	v_clz_i32_u32_e32 v179, v178
	v_cmp_eq_u32_e32 vcc_lo, 0, v181
	s_delay_alu instid0(VALU_DEP_2) | instskip(NEXT) | instid1(VALU_DEP_1)
	v_min_u32_e32 v179, 32, v179
	v_subrev_nc_u32_e32 v180, 28, v179
	v_sub_nc_u32_e32 v179, 29, v179
	s_delay_alu instid0(VALU_DEP_2) | instskip(NEXT) | instid1(VALU_DEP_1)
	v_lshlrev_b32_e32 v180, v180, v167
	v_dual_cndmask_b32 v179, v181, v179 :: v_dual_and_b32 v180, 7, v180
	s_delay_alu instid0(VALU_DEP_1) | instskip(NEXT) | instid1(VALU_DEP_2)
	v_lshl_add_u32 v179, v179, 23, 0x3b800000
	v_cndmask_b32_e32 v178, v178, v180, vcc_lo
	v_and_b32_e32 v180, 0x80000000, v28
	s_delay_alu instid0(VALU_DEP_2) | instskip(NEXT) | instid1(VALU_DEP_1)
	v_lshlrev_b32_e32 v178, 20, v178
	v_or3_b32 v178, v180, v179, v178
.LBB6_6224:                             ;   in Loop: Header=BB6_5432 Depth=2
	s_or_b32 exec_lo, exec_lo, s24
	s_delay_alu instid0(VALU_DEP_1) | instskip(SKIP_1) | instid1(VALU_DEP_1)
	v_dual_max_f32 v178, v178, v178 :: v_dual_max_f32 v177, v177, v177
	s_mov_b32 s7, 0
	v_max_f32_e32 v177, v177, v178
	s_branch .LBB6_6226
.LBB6_6225:                             ;   in Loop: Header=BB6_5432 Depth=2
	s_mov_b32 s7, -1
                                        ; implicit-def: $vgpr177
.LBB6_6226:                             ;   in Loop: Header=BB6_5432 Depth=2
	s_delay_alu instid0(SALU_CYCLE_1)
	s_and_b32 vcc_lo, exec_lo, s7
	s_cbranch_vccz .LBB6_6236
; %bb.6227:                             ;   in Loop: Header=BB6_5432 Depth=2
	s_mov_b32 s7, 0
	s_mov_b32 s25, exec_lo
                                        ; implicit-def: $sgpr24
	v_cmpx_lt_i16_e64 0x7f, v176
	s_xor_b32 s25, exec_lo, s25
	s_cbranch_execnz .LBB6_7726
; %bb.6228:                             ;   in Loop: Header=BB6_5432 Depth=2
	s_or_saveexec_b32 s25, s25
	v_mov_b32_e32 v177, s24
	s_xor_b32 exec_lo, exec_lo, s25
	s_cbranch_execnz .LBB6_7729
.LBB6_6229:                             ;   in Loop: Header=BB6_5432 Depth=2
	s_or_b32 exec_lo, exec_lo, s25
	s_and_saveexec_b32 s24, s7
	s_cbranch_execz .LBB6_6231
.LBB6_6230:                             ;   in Loop: Header=BB6_5432 Depth=2
	v_bfe_u32 v177, v34, 24, 3
	s_delay_alu instid0(VALU_DEP_1) | instskip(NEXT) | instid1(VALU_DEP_1)
	v_clz_i32_u32_e32 v178, v177
	v_min_u32_e32 v178, 32, v178
	s_delay_alu instid0(VALU_DEP_1) | instskip(SKIP_1) | instid1(VALU_DEP_2)
	v_subrev_nc_u32_e32 v179, 28, v178
	v_sub_nc_u32_e32 v178, 29, v178
	v_lshlrev_b32_e32 v176, v179, v176
	v_bfe_u32 v179, v34, 27, 4
	v_and_b32_e32 v34, 0x80000000, v34
	s_delay_alu instid0(VALU_DEP_3) | instskip(NEXT) | instid1(VALU_DEP_3)
	v_and_b32_e32 v176, 7, v176
	v_cmp_eq_u32_e32 vcc_lo, 0, v179
	v_cndmask_b32_e32 v178, v179, v178, vcc_lo
	s_delay_alu instid0(VALU_DEP_3) | instskip(NEXT) | instid1(VALU_DEP_2)
	v_cndmask_b32_e32 v176, v177, v176, vcc_lo
	v_lshl_add_u32 v177, v178, 23, 0x3b800000
	s_delay_alu instid0(VALU_DEP_2) | instskip(NEXT) | instid1(VALU_DEP_1)
	v_lshlrev_b32_e32 v176, 20, v176
	v_or3_b32 v177, v34, v177, v176
.LBB6_6231:                             ;   in Loop: Header=BB6_5432 Depth=2
	s_or_b32 exec_lo, exec_lo, s24
	s_mov_b32 s7, 0
	s_mov_b32 s25, exec_lo
                                        ; implicit-def: $sgpr24
	v_cmpx_lt_i16_e64 0x7f, v167
	s_xor_b32 s25, exec_lo, s25
	s_cbranch_execnz .LBB6_7730
; %bb.6232:                             ;   in Loop: Header=BB6_5432 Depth=2
	s_or_saveexec_b32 s25, s25
	v_mov_b32_e32 v34, s24
	s_xor_b32 exec_lo, exec_lo, s25
	s_cbranch_execnz .LBB6_7733
.LBB6_6233:                             ;   in Loop: Header=BB6_5432 Depth=2
	s_or_b32 exec_lo, exec_lo, s25
	s_and_saveexec_b32 s24, s7
	s_cbranch_execz .LBB6_6235
.LBB6_6234:                             ;   in Loop: Header=BB6_5432 Depth=2
	v_bfe_u32 v34, v28, 24, 3
	s_delay_alu instid0(VALU_DEP_1) | instskip(NEXT) | instid1(VALU_DEP_1)
	v_clz_i32_u32_e32 v176, v34
	v_min_u32_e32 v176, 32, v176
	s_delay_alu instid0(VALU_DEP_1) | instskip(SKIP_1) | instid1(VALU_DEP_2)
	v_subrev_nc_u32_e32 v178, 28, v176
	v_sub_nc_u32_e32 v176, 29, v176
	v_lshlrev_b32_e32 v167, v178, v167
	v_bfe_u32 v178, v28, 27, 4
	v_and_b32_e32 v28, 0x80000000, v28
	s_delay_alu instid0(VALU_DEP_2) | instskip(NEXT) | instid1(VALU_DEP_4)
	v_cmp_eq_u32_e32 vcc_lo, 0, v178
	v_dual_cndmask_b32 v176, v178, v176 :: v_dual_and_b32 v167, 7, v167
	s_delay_alu instid0(VALU_DEP_1) | instskip(NEXT) | instid1(VALU_DEP_2)
	v_cndmask_b32_e32 v34, v34, v167, vcc_lo
	v_lshl_add_u32 v167, v176, 23, 0x3b800000
	s_delay_alu instid0(VALU_DEP_2) | instskip(NEXT) | instid1(VALU_DEP_1)
	v_lshlrev_b32_e32 v34, 20, v34
	v_or3_b32 v34, v28, v167, v34
.LBB6_6235:                             ;   in Loop: Header=BB6_5432 Depth=2
	s_or_b32 exec_lo, exec_lo, s24
	s_delay_alu instid0(VALU_DEP_1) | instskip(SKIP_1) | instid1(VALU_DEP_1)
	v_max_f32_e32 v28, v34, v34
	v_max_f32_e32 v34, v177, v177
	v_min_f32_e32 v177, v34, v28
.LBB6_6236:                             ;   in Loop: Header=BB6_5432 Depth=2
	s_delay_alu instid0(VALU_DEP_1) | instskip(NEXT) | instid1(VALU_DEP_1)
	v_and_b32_e32 v28, 0x7f800000, v177
	v_cmp_ne_u32_e32 vcc_lo, 0x7f800000, v28
	v_mov_b32_e32 v28, 0x80
	s_and_saveexec_b32 s24, vcc_lo
	s_cbranch_execz .LBB6_6244
; %bb.6237:                             ;   in Loop: Header=BB6_5432 Depth=2
	v_mov_b32_e32 v28, 0
	s_mov_b32 s25, exec_lo
	v_cmpx_ne_u32_e32 0, v177
	s_cbranch_execz .LBB6_6243
; %bb.6238:                             ;   in Loop: Header=BB6_5432 Depth=2
	v_bfe_u32 v28, v177, 23, 8
	s_delay_alu instid0(VALU_DEP_1) | instskip(SKIP_1) | instid1(VALU_DEP_2)
	v_sub_nc_u32_e32 v167, 0x78, v28
	v_cmp_gt_u32_e32 vcc_lo, 0x79, v28
	v_dual_cndmask_b32 v167, 0, v167 :: v_dual_and_b32 v34, 0x7fffff, v177
	s_delay_alu instid0(VALU_DEP_1) | instskip(SKIP_2) | instid1(VALU_DEP_4)
	v_or_b32_e32 v176, 0x800000, v34
	v_cmp_eq_u32_e32 vcc_lo, 0, v28
	v_add_nc_u32_e32 v28, 0xffffff89, v28
	v_cndmask_b32_e64 v167, v167, 0x77, vcc_lo
	s_delay_alu instid0(VALU_DEP_2) | instskip(SKIP_1) | instid1(VALU_DEP_3)
	v_cndmask_b32_e64 v28, v28, 0xffffff8a, vcc_lo
	v_cndmask_b32_e32 v34, v176, v34, vcc_lo
	v_lshl_add_u32 v176, 0x100000, v167, -1
	v_lshlrev_b32_e64 v180, v167, 0x80000
	s_delay_alu instid0(VALU_DEP_3) | instskip(SKIP_1) | instid1(VALU_DEP_4)
	v_lshrrev_b32_e32 v178, v167, v34
	v_add_nc_u32_e32 v167, v167, v28
	v_and_b32_e32 v34, v176, v34
	s_delay_alu instid0(VALU_DEP_3) | instskip(NEXT) | instid1(VALU_DEP_2)
	v_bfe_u32 v179, v178, 20, 1
	v_cmp_eq_u32_e64 s7, v34, v180
	s_delay_alu instid0(VALU_DEP_2) | instskip(NEXT) | instid1(VALU_DEP_1)
	v_add_nc_u32_e32 v176, -1, v179
	v_cndmask_b32_e64 v34, 0, v176, s7
	v_lshrrev_b32_e32 v176, 23, v178
	s_mov_b32 s7, exec_lo
	s_delay_alu instid0(VALU_DEP_2) | instskip(NEXT) | instid1(VALU_DEP_2)
	v_add_nc_u32_e32 v34, v34, v178
	v_xor_b32_e32 v176, 1, v176
	s_delay_alu instid0(VALU_DEP_2) | instskip(NEXT) | instid1(VALU_DEP_1)
	v_and_b32_e32 v28, 0xfffff, v34
	v_add_nc_u32_e32 v34, v28, v178
                                        ; implicit-def: $vgpr28
	s_delay_alu instid0(VALU_DEP_3)
	v_cmpx_ne_u32_e64 v167, v176
	s_xor_b32 s7, exec_lo, s7
; %bb.6239:                             ;   in Loop: Header=BB6_5432 Depth=2
	s_delay_alu instid0(VALU_DEP_2) | instskip(SKIP_2) | instid1(VALU_DEP_2)
	v_cmp_lt_u32_e32 vcc_lo, 0xffffff, v34
	v_sub_nc_u32_e32 v28, v167, v176
	v_cndmask_b32_e64 v167, 0, 1, vcc_lo
	v_add_co_ci_u32_e32 v28, vcc_lo, 0, v28, vcc_lo
	s_delay_alu instid0(VALU_DEP_2)
	v_lshrrev_b32_e32 v34, v167, v34
; %bb.6240:                             ;   in Loop: Header=BB6_5432 Depth=2
	s_and_not1_saveexec_b32 s7, s7
; %bb.6241:                             ;   in Loop: Header=BB6_5432 Depth=2
	s_delay_alu instid0(VALU_DEP_1)
	v_bfe_u32 v28, v34, 23, 1
; %bb.6242:                             ;   in Loop: Header=BB6_5432 Depth=2
	s_or_b32 exec_lo, exec_lo, s7
	v_lshrrev_b32_e32 v34, 20, v34
	s_delay_alu instid0(VALU_DEP_2) | instskip(SKIP_2) | instid1(VALU_DEP_2)
	v_cmp_gt_i32_e32 vcc_lo, 16, v28
	v_lshrrev_b32_e32 v167, 24, v177
	v_min_i32_e32 v176, 15, v28
	v_dual_cndmask_b32 v34, 7, v34 :: v_dual_and_b32 v167, 0x80, v167
	s_delay_alu instid0(VALU_DEP_2) | instskip(NEXT) | instid1(VALU_DEP_2)
	v_lshlrev_b32_e32 v176, 3, v176
	v_and_b32_e32 v177, 7, v34
	v_or_b32_e32 v28, v28, v34
	s_delay_alu instid0(VALU_DEP_2) | instskip(NEXT) | instid1(VALU_DEP_2)
	v_or3_b32 v34, v176, v167, v177
	v_cmp_ne_u32_e32 vcc_lo, 0, v28
	s_delay_alu instid0(VALU_DEP_2)
	v_cndmask_b32_e32 v28, 0, v34, vcc_lo
.LBB6_6243:                             ;   in Loop: Header=BB6_5432 Depth=2
	s_or_b32 exec_lo, exec_lo, s25
.LBB6_6244:                             ;   in Loop: Header=BB6_5432 Depth=2
	s_delay_alu instid0(SALU_CYCLE_1) | instskip(NEXT) | instid1(SALU_CYCLE_1)
	s_or_b32 exec_lo, exec_lo, s24
	s_and_not1_b32 vcc_lo, exec_lo, s23
	s_cbranch_vccnz .LBB6_6254
; %bb.6245:                             ;   in Loop: Header=BB6_5432 Depth=2
	v_and_b32_e32 v167, 0xff, v35
	s_mov_b32 s7, 0
	s_mov_b32 s25, exec_lo
                                        ; implicit-def: $sgpr24
	s_delay_alu instid0(VALU_DEP_1)
	v_cmpx_lt_i16_e64 0x7f, v167
	s_xor_b32 s25, exec_lo, s25
	s_cbranch_execnz .LBB6_7734
; %bb.6246:                             ;   in Loop: Header=BB6_5432 Depth=2
	s_or_saveexec_b32 s25, s25
	v_mov_b32_e32 v34, s24
	s_xor_b32 exec_lo, exec_lo, s25
	s_cbranch_execnz .LBB6_7737
.LBB6_6247:                             ;   in Loop: Header=BB6_5432 Depth=2
	s_or_b32 exec_lo, exec_lo, s25
	s_and_saveexec_b32 s24, s7
	s_cbranch_execz .LBB6_6249
.LBB6_6248:                             ;   in Loop: Header=BB6_5432 Depth=2
	v_and_b32_e32 v34, 7, v35
	v_bfe_u32 v177, v35, 3, 4
	v_lshlrev_b32_e32 v178, 24, v35
	s_delay_alu instid0(VALU_DEP_3) | instskip(NEXT) | instid1(VALU_DEP_3)
	v_clz_i32_u32_e32 v167, v34
	v_cmp_eq_u32_e32 vcc_lo, 0, v177
	s_delay_alu instid0(VALU_DEP_2) | instskip(NEXT) | instid1(VALU_DEP_1)
	v_min_u32_e32 v167, 32, v167
	v_subrev_nc_u32_e32 v176, 28, v167
	v_sub_nc_u32_e32 v167, 29, v167
	s_delay_alu instid0(VALU_DEP_2) | instskip(NEXT) | instid1(VALU_DEP_1)
	v_lshlrev_b32_e32 v176, v176, v35
	v_dual_cndmask_b32 v167, v177, v167 :: v_dual_and_b32 v176, 7, v176
	s_delay_alu instid0(VALU_DEP_1) | instskip(NEXT) | instid1(VALU_DEP_2)
	v_lshl_add_u32 v167, v167, 23, 0x3b800000
	v_cndmask_b32_e32 v34, v34, v176, vcc_lo
	v_and_b32_e32 v176, 0x80000000, v178
	s_delay_alu instid0(VALU_DEP_2) | instskip(NEXT) | instid1(VALU_DEP_1)
	v_lshlrev_b32_e32 v34, 20, v34
	v_or3_b32 v34, v176, v167, v34
.LBB6_6249:                             ;   in Loop: Header=BB6_5432 Depth=2
	s_or_b32 exec_lo, exec_lo, s24
	v_and_b32_e32 v176, 0xff, v29
	s_mov_b32 s7, 0
	s_mov_b32 s25, exec_lo
                                        ; implicit-def: $sgpr24
	s_delay_alu instid0(VALU_DEP_1)
	v_cmpx_lt_i16_e64 0x7f, v176
	s_xor_b32 s25, exec_lo, s25
	s_cbranch_execnz .LBB6_7738
; %bb.6250:                             ;   in Loop: Header=BB6_5432 Depth=2
	s_or_saveexec_b32 s25, s25
	v_mov_b32_e32 v167, s24
	s_xor_b32 exec_lo, exec_lo, s25
	s_cbranch_execnz .LBB6_7741
.LBB6_6251:                             ;   in Loop: Header=BB6_5432 Depth=2
	s_or_b32 exec_lo, exec_lo, s25
	s_and_saveexec_b32 s24, s7
	s_cbranch_execz .LBB6_6253
.LBB6_6252:                             ;   in Loop: Header=BB6_5432 Depth=2
	v_bfe_u32 v178, v29, 3, 4
	v_lshlrev_b32_e32 v179, 24, v29
	s_delay_alu instid0(VALU_DEP_2) | instskip(SKIP_1) | instid1(VALU_DEP_1)
	v_cmp_eq_u32_e32 vcc_lo, 0, v178
	v_and_b32_e32 v167, 7, v29
	v_clz_i32_u32_e32 v176, v167
	s_delay_alu instid0(VALU_DEP_1) | instskip(NEXT) | instid1(VALU_DEP_1)
	v_min_u32_e32 v176, 32, v176
	v_subrev_nc_u32_e32 v177, 28, v176
	v_sub_nc_u32_e32 v176, 29, v176
	s_delay_alu instid0(VALU_DEP_1) | instskip(NEXT) | instid1(VALU_DEP_1)
	v_dual_cndmask_b32 v176, v178, v176 :: v_dual_lshlrev_b32 v177, v177, v29
	v_and_b32_e32 v177, 7, v177
	s_delay_alu instid0(VALU_DEP_2) | instskip(NEXT) | instid1(VALU_DEP_2)
	v_lshl_add_u32 v176, v176, 23, 0x3b800000
	v_cndmask_b32_e32 v167, v167, v177, vcc_lo
	v_and_b32_e32 v177, 0x80000000, v179
	s_delay_alu instid0(VALU_DEP_2) | instskip(NEXT) | instid1(VALU_DEP_1)
	v_lshlrev_b32_e32 v167, 20, v167
	v_or3_b32 v167, v177, v176, v167
.LBB6_6253:                             ;   in Loop: Header=BB6_5432 Depth=2
	s_or_b32 exec_lo, exec_lo, s24
	s_delay_alu instid0(VALU_DEP_1) | instskip(SKIP_1) | instid1(VALU_DEP_1)
	v_dual_max_f32 v167, v167, v167 :: v_dual_max_f32 v34, v34, v34
	s_mov_b32 s7, 0
	v_max_f32_e32 v167, v34, v167
	s_branch .LBB6_6255
.LBB6_6254:                             ;   in Loop: Header=BB6_5432 Depth=2
	s_mov_b32 s7, -1
                                        ; implicit-def: $vgpr167
.LBB6_6255:                             ;   in Loop: Header=BB6_5432 Depth=2
	s_delay_alu instid0(SALU_CYCLE_1)
	s_and_b32 vcc_lo, exec_lo, s7
	s_cbranch_vccz .LBB6_6265
; %bb.6256:                             ;   in Loop: Header=BB6_5432 Depth=2
	v_and_b32_e32 v167, 0xff, v35
	s_mov_b32 s7, 0
	s_mov_b32 s25, exec_lo
                                        ; implicit-def: $sgpr24
	s_delay_alu instid0(VALU_DEP_1)
	v_cmpx_lt_i16_e64 0x7f, v167
	s_xor_b32 s25, exec_lo, s25
	s_cbranch_execnz .LBB6_7742
; %bb.6257:                             ;   in Loop: Header=BB6_5432 Depth=2
	s_or_saveexec_b32 s25, s25
	v_mov_b32_e32 v34, s24
	s_xor_b32 exec_lo, exec_lo, s25
	s_cbranch_execnz .LBB6_7745
.LBB6_6258:                             ;   in Loop: Header=BB6_5432 Depth=2
	s_or_b32 exec_lo, exec_lo, s25
	s_and_saveexec_b32 s24, s7
	s_cbranch_execz .LBB6_6260
.LBB6_6259:                             ;   in Loop: Header=BB6_5432 Depth=2
	v_and_b32_e32 v34, 7, v35
	v_bfe_u32 v177, v35, 3, 4
	v_lshlrev_b32_e32 v178, 24, v35
	s_delay_alu instid0(VALU_DEP_3) | instskip(NEXT) | instid1(VALU_DEP_3)
	v_clz_i32_u32_e32 v167, v34
	v_cmp_eq_u32_e32 vcc_lo, 0, v177
	s_delay_alu instid0(VALU_DEP_2) | instskip(NEXT) | instid1(VALU_DEP_1)
	v_min_u32_e32 v167, 32, v167
	v_subrev_nc_u32_e32 v176, 28, v167
	v_sub_nc_u32_e32 v167, 29, v167
	s_delay_alu instid0(VALU_DEP_2) | instskip(NEXT) | instid1(VALU_DEP_1)
	v_lshlrev_b32_e32 v176, v176, v35
	v_dual_cndmask_b32 v167, v177, v167 :: v_dual_and_b32 v176, 7, v176
	s_delay_alu instid0(VALU_DEP_1) | instskip(NEXT) | instid1(VALU_DEP_2)
	v_lshl_add_u32 v167, v167, 23, 0x3b800000
	v_cndmask_b32_e32 v34, v34, v176, vcc_lo
	v_and_b32_e32 v176, 0x80000000, v178
	s_delay_alu instid0(VALU_DEP_2) | instskip(NEXT) | instid1(VALU_DEP_1)
	v_lshlrev_b32_e32 v34, 20, v34
	v_or3_b32 v34, v176, v167, v34
.LBB6_6260:                             ;   in Loop: Header=BB6_5432 Depth=2
	s_or_b32 exec_lo, exec_lo, s24
	v_and_b32_e32 v176, 0xff, v29
	s_mov_b32 s7, 0
	s_mov_b32 s25, exec_lo
                                        ; implicit-def: $sgpr24
	s_delay_alu instid0(VALU_DEP_1)
	v_cmpx_lt_i16_e64 0x7f, v176
	s_xor_b32 s25, exec_lo, s25
	s_cbranch_execnz .LBB6_7746
; %bb.6261:                             ;   in Loop: Header=BB6_5432 Depth=2
	s_or_saveexec_b32 s25, s25
	v_mov_b32_e32 v167, s24
	s_xor_b32 exec_lo, exec_lo, s25
	s_cbranch_execnz .LBB6_7749
.LBB6_6262:                             ;   in Loop: Header=BB6_5432 Depth=2
	s_or_b32 exec_lo, exec_lo, s25
	s_and_saveexec_b32 s24, s7
	s_cbranch_execz .LBB6_6264
.LBB6_6263:                             ;   in Loop: Header=BB6_5432 Depth=2
	v_bfe_u32 v178, v29, 3, 4
	v_lshlrev_b32_e32 v179, 24, v29
	s_delay_alu instid0(VALU_DEP_2) | instskip(SKIP_1) | instid1(VALU_DEP_1)
	v_cmp_eq_u32_e32 vcc_lo, 0, v178
	v_and_b32_e32 v167, 7, v29
	v_clz_i32_u32_e32 v176, v167
	s_delay_alu instid0(VALU_DEP_1) | instskip(NEXT) | instid1(VALU_DEP_1)
	v_min_u32_e32 v176, 32, v176
	v_subrev_nc_u32_e32 v177, 28, v176
	v_sub_nc_u32_e32 v176, 29, v176
	s_delay_alu instid0(VALU_DEP_1) | instskip(NEXT) | instid1(VALU_DEP_1)
	v_dual_cndmask_b32 v176, v178, v176 :: v_dual_lshlrev_b32 v177, v177, v29
	v_and_b32_e32 v177, 7, v177
	s_delay_alu instid0(VALU_DEP_2) | instskip(NEXT) | instid1(VALU_DEP_2)
	v_lshl_add_u32 v176, v176, 23, 0x3b800000
	v_cndmask_b32_e32 v167, v167, v177, vcc_lo
	v_and_b32_e32 v177, 0x80000000, v179
	s_delay_alu instid0(VALU_DEP_2) | instskip(NEXT) | instid1(VALU_DEP_1)
	v_lshlrev_b32_e32 v167, 20, v167
	v_or3_b32 v167, v177, v176, v167
.LBB6_6264:                             ;   in Loop: Header=BB6_5432 Depth=2
	s_or_b32 exec_lo, exec_lo, s24
	s_delay_alu instid0(VALU_DEP_1) | instskip(NEXT) | instid1(VALU_DEP_1)
	v_dual_max_f32 v167, v167, v167 :: v_dual_max_f32 v34, v34, v34
	v_min_f32_e32 v167, v34, v167
.LBB6_6265:                             ;   in Loop: Header=BB6_5432 Depth=2
	s_delay_alu instid0(VALU_DEP_1) | instskip(NEXT) | instid1(VALU_DEP_1)
	v_and_b32_e32 v34, 0x7f800000, v167
	v_cmp_ne_u32_e32 vcc_lo, 0x7f800000, v34
	v_mov_b32_e32 v34, 0x80
	s_and_saveexec_b32 s24, vcc_lo
	s_cbranch_execz .LBB6_6273
; %bb.6266:                             ;   in Loop: Header=BB6_5432 Depth=2
	v_mov_b32_e32 v34, 0
	s_mov_b32 s25, exec_lo
	v_cmpx_ne_u32_e32 0, v167
	s_cbranch_execz .LBB6_6272
; %bb.6267:                             ;   in Loop: Header=BB6_5432 Depth=2
	v_bfe_u32 v34, v167, 23, 8
	s_delay_alu instid0(VALU_DEP_1) | instskip(SKIP_1) | instid1(VALU_DEP_2)
	v_sub_nc_u32_e32 v177, 0x78, v34
	v_cmp_gt_u32_e32 vcc_lo, 0x79, v34
	v_dual_cndmask_b32 v177, 0, v177 :: v_dual_and_b32 v176, 0x7fffff, v167
	s_delay_alu instid0(VALU_DEP_1) | instskip(SKIP_2) | instid1(VALU_DEP_4)
	v_or_b32_e32 v178, 0x800000, v176
	v_cmp_eq_u32_e32 vcc_lo, 0, v34
	v_add_nc_u32_e32 v34, 0xffffff89, v34
	v_cndmask_b32_e64 v177, v177, 0x77, vcc_lo
	s_delay_alu instid0(VALU_DEP_2) | instskip(SKIP_1) | instid1(VALU_DEP_3)
	v_cndmask_b32_e64 v34, v34, 0xffffff8a, vcc_lo
	v_cndmask_b32_e32 v176, v178, v176, vcc_lo
	v_lshl_add_u32 v178, 0x100000, v177, -1
	v_lshlrev_b32_e64 v181, v177, 0x80000
	s_delay_alu instid0(VALU_DEP_3) | instskip(SKIP_1) | instid1(VALU_DEP_4)
	v_lshrrev_b32_e32 v179, v177, v176
	v_add_nc_u32_e32 v177, v177, v34
	v_and_b32_e32 v176, v178, v176
	s_delay_alu instid0(VALU_DEP_3) | instskip(NEXT) | instid1(VALU_DEP_2)
	v_bfe_u32 v180, v179, 20, 1
	v_cmp_eq_u32_e64 s7, v176, v181
	s_delay_alu instid0(VALU_DEP_2) | instskip(NEXT) | instid1(VALU_DEP_1)
	v_add_nc_u32_e32 v178, -1, v180
	v_cndmask_b32_e64 v176, 0, v178, s7
	v_lshrrev_b32_e32 v178, 23, v179
	s_mov_b32 s7, exec_lo
	s_delay_alu instid0(VALU_DEP_2) | instskip(NEXT) | instid1(VALU_DEP_2)
	v_add_nc_u32_e32 v176, v176, v179
	v_xor_b32_e32 v178, 1, v178
	s_delay_alu instid0(VALU_DEP_2) | instskip(NEXT) | instid1(VALU_DEP_1)
	v_and_b32_e32 v34, 0xfffff, v176
	v_add_nc_u32_e32 v176, v34, v179
                                        ; implicit-def: $vgpr34
	s_delay_alu instid0(VALU_DEP_3)
	v_cmpx_ne_u32_e64 v177, v178
	s_xor_b32 s7, exec_lo, s7
; %bb.6268:                             ;   in Loop: Header=BB6_5432 Depth=2
	s_delay_alu instid0(VALU_DEP_2) | instskip(SKIP_2) | instid1(VALU_DEP_2)
	v_cmp_lt_u32_e32 vcc_lo, 0xffffff, v176
	v_sub_nc_u32_e32 v34, v177, v178
	v_cndmask_b32_e64 v177, 0, 1, vcc_lo
	v_add_co_ci_u32_e32 v34, vcc_lo, 0, v34, vcc_lo
	s_delay_alu instid0(VALU_DEP_2)
	v_lshrrev_b32_e32 v176, v177, v176
; %bb.6269:                             ;   in Loop: Header=BB6_5432 Depth=2
	s_and_not1_saveexec_b32 s7, s7
; %bb.6270:                             ;   in Loop: Header=BB6_5432 Depth=2
	s_delay_alu instid0(VALU_DEP_1)
	v_bfe_u32 v34, v176, 23, 1
; %bb.6271:                             ;   in Loop: Header=BB6_5432 Depth=2
	s_or_b32 exec_lo, exec_lo, s7
	v_lshrrev_b32_e32 v176, 20, v176
	s_delay_alu instid0(VALU_DEP_2) | instskip(SKIP_2) | instid1(VALU_DEP_2)
	v_cmp_gt_i32_e32 vcc_lo, 16, v34
	v_lshrrev_b32_e32 v167, 24, v167
	v_min_i32_e32 v177, 15, v34
	v_dual_cndmask_b32 v176, 7, v176 :: v_dual_and_b32 v167, 0x80, v167
	s_delay_alu instid0(VALU_DEP_1) | instskip(SKIP_1) | instid1(VALU_DEP_2)
	v_or_b32_e32 v34, v34, v176
	v_and_b32_e32 v178, 7, v176
	v_cmp_ne_u32_e32 vcc_lo, 0, v34
	v_lshlrev_b32_e32 v177, 3, v177
	s_delay_alu instid0(VALU_DEP_1) | instskip(NEXT) | instid1(VALU_DEP_1)
	v_or3_b32 v167, v177, v167, v178
	v_cndmask_b32_e32 v34, 0, v167, vcc_lo
.LBB6_6272:                             ;   in Loop: Header=BB6_5432 Depth=2
	s_or_b32 exec_lo, exec_lo, s25
.LBB6_6273:                             ;   in Loop: Header=BB6_5432 Depth=2
	s_delay_alu instid0(SALU_CYCLE_1)
	s_or_b32 exec_lo, exec_lo, s24
	v_lshrrev_b16 v176, 8, v35
	v_lshrrev_b16 v167, 8, v29
	s_and_not1_b32 vcc_lo, exec_lo, s23
	s_cbranch_vccnz .LBB6_6283
; %bb.6274:                             ;   in Loop: Header=BB6_5432 Depth=2
	s_mov_b32 s7, 0
	s_mov_b32 s25, exec_lo
                                        ; implicit-def: $sgpr24
	v_cmpx_lt_i16_e64 0x7f, v176
	s_xor_b32 s25, exec_lo, s25
	s_cbranch_execnz .LBB6_7750
; %bb.6275:                             ;   in Loop: Header=BB6_5432 Depth=2
	s_or_saveexec_b32 s25, s25
	v_mov_b32_e32 v177, s24
	s_xor_b32 exec_lo, exec_lo, s25
	s_cbranch_execnz .LBB6_7753
.LBB6_6276:                             ;   in Loop: Header=BB6_5432 Depth=2
	s_or_b32 exec_lo, exec_lo, s25
	s_and_saveexec_b32 s24, s7
	s_cbranch_execz .LBB6_6278
.LBB6_6277:                             ;   in Loop: Header=BB6_5432 Depth=2
	v_and_b32_e32 v177, 0xffff, v176
	s_delay_alu instid0(VALU_DEP_1) | instskip(NEXT) | instid1(VALU_DEP_1)
	v_and_b32_e32 v178, 7, v177
	v_clz_i32_u32_e32 v179, v178
	s_delay_alu instid0(VALU_DEP_1) | instskip(NEXT) | instid1(VALU_DEP_1)
	v_min_u32_e32 v179, 32, v179
	v_subrev_nc_u32_e32 v180, 28, v179
	v_sub_nc_u32_e32 v179, 29, v179
	s_delay_alu instid0(VALU_DEP_2) | instskip(SKIP_1) | instid1(VALU_DEP_2)
	v_lshlrev_b32_e32 v180, v180, v177
	v_bfe_u32 v177, v177, 3, 4
	v_and_b32_e32 v180, 7, v180
	s_delay_alu instid0(VALU_DEP_2) | instskip(SKIP_1) | instid1(VALU_DEP_3)
	v_cmp_eq_u32_e32 vcc_lo, 0, v177
	v_cndmask_b32_e32 v177, v177, v179, vcc_lo
	v_dual_cndmask_b32 v178, v178, v180 :: v_dual_lshlrev_b32 v181, 16, v35
	s_delay_alu instid0(VALU_DEP_2) | instskip(NEXT) | instid1(VALU_DEP_2)
	v_lshl_add_u32 v177, v177, 23, 0x3b800000
	v_and_b32_e32 v179, 0x80000000, v181
	s_delay_alu instid0(VALU_DEP_3) | instskip(NEXT) | instid1(VALU_DEP_1)
	v_lshlrev_b32_e32 v178, 20, v178
	v_or3_b32 v177, v179, v177, v178
.LBB6_6278:                             ;   in Loop: Header=BB6_5432 Depth=2
	s_or_b32 exec_lo, exec_lo, s24
	s_mov_b32 s7, 0
	s_mov_b32 s25, exec_lo
                                        ; implicit-def: $sgpr24
	v_cmpx_lt_i16_e64 0x7f, v167
	s_xor_b32 s25, exec_lo, s25
	s_cbranch_execnz .LBB6_7754
; %bb.6279:                             ;   in Loop: Header=BB6_5432 Depth=2
	s_or_saveexec_b32 s25, s25
	v_mov_b32_e32 v178, s24
	s_xor_b32 exec_lo, exec_lo, s25
	s_cbranch_execnz .LBB6_7757
.LBB6_6280:                             ;   in Loop: Header=BB6_5432 Depth=2
	s_or_b32 exec_lo, exec_lo, s25
	s_and_saveexec_b32 s24, s7
	s_cbranch_execz .LBB6_6282
.LBB6_6281:                             ;   in Loop: Header=BB6_5432 Depth=2
	v_and_b32_e32 v178, 0xffff, v167
	v_lshlrev_b32_e32 v182, 16, v29
	s_delay_alu instid0(VALU_DEP_2) | instskip(NEXT) | instid1(VALU_DEP_1)
	v_and_b32_e32 v179, 7, v178
	v_clz_i32_u32_e32 v180, v179
	s_delay_alu instid0(VALU_DEP_1) | instskip(NEXT) | instid1(VALU_DEP_1)
	v_min_u32_e32 v180, 32, v180
	v_subrev_nc_u32_e32 v181, 28, v180
	v_sub_nc_u32_e32 v180, 29, v180
	s_delay_alu instid0(VALU_DEP_2) | instskip(SKIP_1) | instid1(VALU_DEP_2)
	v_lshlrev_b32_e32 v181, v181, v178
	v_bfe_u32 v178, v178, 3, 4
	v_and_b32_e32 v181, 7, v181
	s_delay_alu instid0(VALU_DEP_2) | instskip(NEXT) | instid1(VALU_DEP_2)
	v_cmp_eq_u32_e32 vcc_lo, 0, v178
	v_dual_cndmask_b32 v178, v178, v180 :: v_dual_cndmask_b32 v179, v179, v181
	v_and_b32_e32 v180, 0x80000000, v182
	s_delay_alu instid0(VALU_DEP_2) | instskip(NEXT) | instid1(VALU_DEP_3)
	v_lshl_add_u32 v178, v178, 23, 0x3b800000
	v_lshlrev_b32_e32 v179, 20, v179
	s_delay_alu instid0(VALU_DEP_1)
	v_or3_b32 v178, v180, v178, v179
.LBB6_6282:                             ;   in Loop: Header=BB6_5432 Depth=2
	s_or_b32 exec_lo, exec_lo, s24
	s_delay_alu instid0(VALU_DEP_1) | instskip(SKIP_1) | instid1(VALU_DEP_1)
	v_dual_max_f32 v178, v178, v178 :: v_dual_max_f32 v177, v177, v177
	s_mov_b32 s7, 0
	v_max_f32_e32 v177, v177, v178
	s_branch .LBB6_6284
.LBB6_6283:                             ;   in Loop: Header=BB6_5432 Depth=2
	s_mov_b32 s7, -1
                                        ; implicit-def: $vgpr177
.LBB6_6284:                             ;   in Loop: Header=BB6_5432 Depth=2
	s_delay_alu instid0(SALU_CYCLE_1)
	s_and_b32 vcc_lo, exec_lo, s7
	s_cbranch_vccz .LBB6_6294
; %bb.6285:                             ;   in Loop: Header=BB6_5432 Depth=2
	s_mov_b32 s7, 0
	s_mov_b32 s25, exec_lo
                                        ; implicit-def: $sgpr24
	v_cmpx_lt_i16_e64 0x7f, v176
	s_xor_b32 s25, exec_lo, s25
	s_cbranch_execnz .LBB6_7758
; %bb.6286:                             ;   in Loop: Header=BB6_5432 Depth=2
	s_or_saveexec_b32 s25, s25
	v_mov_b32_e32 v177, s24
	s_xor_b32 exec_lo, exec_lo, s25
	s_cbranch_execnz .LBB6_7761
.LBB6_6287:                             ;   in Loop: Header=BB6_5432 Depth=2
	s_or_b32 exec_lo, exec_lo, s25
	s_and_saveexec_b32 s24, s7
	s_cbranch_execz .LBB6_6289
.LBB6_6288:                             ;   in Loop: Header=BB6_5432 Depth=2
	v_and_b32_e32 v176, 0xffff, v176
	v_lshlrev_b32_e32 v180, 16, v35
	s_delay_alu instid0(VALU_DEP_2) | instskip(NEXT) | instid1(VALU_DEP_1)
	v_and_b32_e32 v177, 7, v176
	v_clz_i32_u32_e32 v178, v177
	s_delay_alu instid0(VALU_DEP_1) | instskip(NEXT) | instid1(VALU_DEP_1)
	v_min_u32_e32 v178, 32, v178
	v_subrev_nc_u32_e32 v179, 28, v178
	v_sub_nc_u32_e32 v178, 29, v178
	s_delay_alu instid0(VALU_DEP_2) | instskip(SKIP_1) | instid1(VALU_DEP_2)
	v_lshlrev_b32_e32 v179, v179, v176
	v_bfe_u32 v176, v176, 3, 4
	v_and_b32_e32 v179, 7, v179
	s_delay_alu instid0(VALU_DEP_2) | instskip(NEXT) | instid1(VALU_DEP_2)
	v_cmp_eq_u32_e32 vcc_lo, 0, v176
	v_dual_cndmask_b32 v176, v176, v178 :: v_dual_cndmask_b32 v177, v177, v179
	v_and_b32_e32 v178, 0x80000000, v180
	s_delay_alu instid0(VALU_DEP_2) | instskip(NEXT) | instid1(VALU_DEP_3)
	v_lshl_add_u32 v176, v176, 23, 0x3b800000
	v_lshlrev_b32_e32 v177, 20, v177
	s_delay_alu instid0(VALU_DEP_1)
	v_or3_b32 v177, v178, v176, v177
.LBB6_6289:                             ;   in Loop: Header=BB6_5432 Depth=2
	s_or_b32 exec_lo, exec_lo, s24
	s_mov_b32 s7, 0
	s_mov_b32 s25, exec_lo
                                        ; implicit-def: $sgpr24
	v_cmpx_lt_i16_e64 0x7f, v167
	s_xor_b32 s25, exec_lo, s25
	s_cbranch_execnz .LBB6_7762
; %bb.6290:                             ;   in Loop: Header=BB6_5432 Depth=2
	s_or_saveexec_b32 s25, s25
	v_mov_b32_e32 v176, s24
	s_xor_b32 exec_lo, exec_lo, s25
	s_cbranch_execnz .LBB6_7765
.LBB6_6291:                             ;   in Loop: Header=BB6_5432 Depth=2
	s_or_b32 exec_lo, exec_lo, s25
	s_and_saveexec_b32 s24, s7
	s_cbranch_execz .LBB6_6293
.LBB6_6292:                             ;   in Loop: Header=BB6_5432 Depth=2
	v_and_b32_e32 v167, 0xffff, v167
	v_lshlrev_b32_e32 v180, 16, v29
	s_delay_alu instid0(VALU_DEP_2) | instskip(NEXT) | instid1(VALU_DEP_1)
	v_and_b32_e32 v176, 7, v167
	v_clz_i32_u32_e32 v178, v176
	s_delay_alu instid0(VALU_DEP_1) | instskip(NEXT) | instid1(VALU_DEP_1)
	v_min_u32_e32 v178, 32, v178
	v_subrev_nc_u32_e32 v179, 28, v178
	v_sub_nc_u32_e32 v178, 29, v178
	s_delay_alu instid0(VALU_DEP_2) | instskip(SKIP_1) | instid1(VALU_DEP_2)
	v_lshlrev_b32_e32 v179, v179, v167
	v_bfe_u32 v167, v167, 3, 4
	v_and_b32_e32 v179, 7, v179
	s_delay_alu instid0(VALU_DEP_2) | instskip(NEXT) | instid1(VALU_DEP_2)
	v_cmp_eq_u32_e32 vcc_lo, 0, v167
	v_dual_cndmask_b32 v167, v167, v178 :: v_dual_cndmask_b32 v176, v176, v179
	v_and_b32_e32 v178, 0x80000000, v180
	s_delay_alu instid0(VALU_DEP_2) | instskip(NEXT) | instid1(VALU_DEP_3)
	v_lshl_add_u32 v167, v167, 23, 0x3b800000
	v_lshlrev_b32_e32 v176, 20, v176
	s_delay_alu instid0(VALU_DEP_1)
	v_or3_b32 v176, v178, v167, v176
.LBB6_6293:                             ;   in Loop: Header=BB6_5432 Depth=2
	s_or_b32 exec_lo, exec_lo, s24
	s_delay_alu instid0(VALU_DEP_1) | instskip(NEXT) | instid1(VALU_DEP_1)
	v_dual_max_f32 v167, v176, v176 :: v_dual_max_f32 v176, v177, v177
	v_min_f32_e32 v177, v176, v167
.LBB6_6294:                             ;   in Loop: Header=BB6_5432 Depth=2
	s_delay_alu instid0(VALU_DEP_1) | instskip(NEXT) | instid1(VALU_DEP_1)
	v_and_b32_e32 v167, 0x7f800000, v177
	v_cmp_ne_u32_e32 vcc_lo, 0x7f800000, v167
	v_mov_b32_e32 v167, 0x80
	s_and_saveexec_b32 s24, vcc_lo
	s_cbranch_execz .LBB6_6302
; %bb.6295:                             ;   in Loop: Header=BB6_5432 Depth=2
	v_mov_b32_e32 v167, 0
	s_mov_b32 s25, exec_lo
	v_cmpx_ne_u32_e32 0, v177
	s_cbranch_execz .LBB6_6301
; %bb.6296:                             ;   in Loop: Header=BB6_5432 Depth=2
	v_bfe_u32 v167, v177, 23, 8
	v_and_b32_e32 v176, 0x7fffff, v177
	s_delay_alu instid0(VALU_DEP_2) | instskip(SKIP_1) | instid1(VALU_DEP_3)
	v_sub_nc_u32_e32 v178, 0x78, v167
	v_cmp_gt_u32_e32 vcc_lo, 0x79, v167
	v_or_b32_e32 v179, 0x800000, v176
	s_delay_alu instid0(VALU_DEP_3) | instskip(SKIP_2) | instid1(VALU_DEP_3)
	v_cndmask_b32_e32 v178, 0, v178, vcc_lo
	v_cmp_eq_u32_e32 vcc_lo, 0, v167
	v_add_nc_u32_e32 v167, 0xffffff89, v167
	v_cndmask_b32_e64 v178, v178, 0x77, vcc_lo
	v_cndmask_b32_e32 v176, v179, v176, vcc_lo
	s_delay_alu instid0(VALU_DEP_3) | instskip(NEXT) | instid1(VALU_DEP_3)
	v_cndmask_b32_e64 v167, v167, 0xffffff8a, vcc_lo
	v_lshl_add_u32 v179, 0x100000, v178, -1
	s_delay_alu instid0(VALU_DEP_3) | instskip(SKIP_1) | instid1(VALU_DEP_4)
	v_lshrrev_b32_e32 v180, v178, v176
	v_lshlrev_b32_e64 v182, v178, 0x80000
	v_add_nc_u32_e32 v178, v178, v167
	s_delay_alu instid0(VALU_DEP_4) | instskip(NEXT) | instid1(VALU_DEP_4)
	v_and_b32_e32 v176, v179, v176
	v_bfe_u32 v181, v180, 20, 1
	s_delay_alu instid0(VALU_DEP_2) | instskip(NEXT) | instid1(VALU_DEP_2)
	v_cmp_eq_u32_e64 s7, v176, v182
	v_add_nc_u32_e32 v179, -1, v181
	s_delay_alu instid0(VALU_DEP_1) | instskip(SKIP_2) | instid1(VALU_DEP_2)
	v_cndmask_b32_e64 v176, 0, v179, s7
	v_lshrrev_b32_e32 v179, 23, v180
	s_mov_b32 s7, exec_lo
	v_add_nc_u32_e32 v176, v176, v180
	s_delay_alu instid0(VALU_DEP_2) | instskip(NEXT) | instid1(VALU_DEP_2)
	v_xor_b32_e32 v179, 1, v179
	v_and_b32_e32 v167, 0xfffff, v176
	s_delay_alu instid0(VALU_DEP_1) | instskip(NEXT) | instid1(VALU_DEP_3)
	v_add_nc_u32_e32 v176, v167, v180
                                        ; implicit-def: $vgpr167
	v_cmpx_ne_u32_e64 v178, v179
	s_xor_b32 s7, exec_lo, s7
; %bb.6297:                             ;   in Loop: Header=BB6_5432 Depth=2
	s_delay_alu instid0(VALU_DEP_2) | instskip(SKIP_2) | instid1(VALU_DEP_2)
	v_cmp_lt_u32_e32 vcc_lo, 0xffffff, v176
	v_sub_nc_u32_e32 v167, v178, v179
	v_cndmask_b32_e64 v178, 0, 1, vcc_lo
	v_add_co_ci_u32_e32 v167, vcc_lo, 0, v167, vcc_lo
	s_delay_alu instid0(VALU_DEP_2)
	v_lshrrev_b32_e32 v176, v178, v176
; %bb.6298:                             ;   in Loop: Header=BB6_5432 Depth=2
	s_and_not1_saveexec_b32 s7, s7
; %bb.6299:                             ;   in Loop: Header=BB6_5432 Depth=2
	s_delay_alu instid0(VALU_DEP_1)
	v_bfe_u32 v167, v176, 23, 1
; %bb.6300:                             ;   in Loop: Header=BB6_5432 Depth=2
	s_or_b32 exec_lo, exec_lo, s7
	v_lshrrev_b32_e32 v176, 20, v176
	s_delay_alu instid0(VALU_DEP_2) | instskip(SKIP_2) | instid1(VALU_DEP_2)
	v_cmp_gt_i32_e32 vcc_lo, 16, v167
	v_lshrrev_b32_e32 v177, 24, v177
	v_min_i32_e32 v178, 15, v167
	v_dual_cndmask_b32 v176, 7, v176 :: v_dual_and_b32 v177, 0x80, v177
	s_delay_alu instid0(VALU_DEP_1) | instskip(SKIP_1) | instid1(VALU_DEP_2)
	v_or_b32_e32 v167, v167, v176
	v_and_b32_e32 v179, 7, v176
	v_cmp_ne_u32_e32 vcc_lo, 0, v167
	v_lshlrev_b32_e32 v178, 3, v178
	s_delay_alu instid0(VALU_DEP_1) | instskip(NEXT) | instid1(VALU_DEP_1)
	v_or3_b32 v176, v178, v177, v179
	v_cndmask_b32_e32 v167, 0, v176, vcc_lo
.LBB6_6301:                             ;   in Loop: Header=BB6_5432 Depth=2
	s_or_b32 exec_lo, exec_lo, s25
.LBB6_6302:                             ;   in Loop: Header=BB6_5432 Depth=2
	s_delay_alu instid0(SALU_CYCLE_1)
	s_or_b32 exec_lo, exec_lo, s24
	v_lshrrev_b32_e32 v177, 16, v35
	v_lshrrev_b32_e32 v176, 16, v29
	s_and_not1_b32 vcc_lo, exec_lo, s23
	s_cbranch_vccnz .LBB6_6312
; %bb.6303:                             ;   in Loop: Header=BB6_5432 Depth=2
	s_delay_alu instid0(VALU_DEP_2) | instskip(SKIP_2) | instid1(VALU_DEP_1)
	v_and_b32_e32 v179, 0xff, v177
	s_mov_b32 s7, 0
	s_mov_b32 s25, exec_lo
                                        ; implicit-def: $sgpr24
	v_cmpx_lt_i16_e64 0x7f, v179
	s_xor_b32 s25, exec_lo, s25
	s_cbranch_execnz .LBB6_7766
; %bb.6304:                             ;   in Loop: Header=BB6_5432 Depth=2
	s_or_saveexec_b32 s25, s25
	v_mov_b32_e32 v178, s24
	s_xor_b32 exec_lo, exec_lo, s25
	s_cbranch_execnz .LBB6_7769
.LBB6_6305:                             ;   in Loop: Header=BB6_5432 Depth=2
	s_or_b32 exec_lo, exec_lo, s25
	s_and_saveexec_b32 s24, s7
	s_cbranch_execz .LBB6_6307
.LBB6_6306:                             ;   in Loop: Header=BB6_5432 Depth=2
	v_bfe_u32 v178, v35, 16, 3
	v_bfe_u32 v181, v35, 19, 4
	v_lshlrev_b32_e32 v182, 24, v177
	s_delay_alu instid0(VALU_DEP_3) | instskip(NEXT) | instid1(VALU_DEP_3)
	v_clz_i32_u32_e32 v179, v178
	v_cmp_eq_u32_e32 vcc_lo, 0, v181
	s_delay_alu instid0(VALU_DEP_2) | instskip(NEXT) | instid1(VALU_DEP_1)
	v_min_u32_e32 v179, 32, v179
	v_subrev_nc_u32_e32 v180, 28, v179
	v_sub_nc_u32_e32 v179, 29, v179
	s_delay_alu instid0(VALU_DEP_1) | instskip(NEXT) | instid1(VALU_DEP_1)
	v_dual_cndmask_b32 v179, v181, v179 :: v_dual_lshlrev_b32 v180, v180, v177
	v_and_b32_e32 v180, 7, v180
	s_delay_alu instid0(VALU_DEP_2) | instskip(NEXT) | instid1(VALU_DEP_2)
	v_lshl_add_u32 v179, v179, 23, 0x3b800000
	v_cndmask_b32_e32 v178, v178, v180, vcc_lo
	v_and_b32_e32 v180, 0x80000000, v182
	s_delay_alu instid0(VALU_DEP_2) | instskip(NEXT) | instid1(VALU_DEP_1)
	v_lshlrev_b32_e32 v178, 20, v178
	v_or3_b32 v178, v180, v179, v178
.LBB6_6307:                             ;   in Loop: Header=BB6_5432 Depth=2
	s_or_b32 exec_lo, exec_lo, s24
	v_and_b32_e32 v180, 0xff, v176
	s_mov_b32 s7, 0
	s_mov_b32 s25, exec_lo
                                        ; implicit-def: $sgpr24
	s_delay_alu instid0(VALU_DEP_1)
	v_cmpx_lt_i16_e64 0x7f, v180
	s_xor_b32 s25, exec_lo, s25
	s_cbranch_execnz .LBB6_7770
; %bb.6308:                             ;   in Loop: Header=BB6_5432 Depth=2
	s_or_saveexec_b32 s25, s25
	v_mov_b32_e32 v179, s24
	s_xor_b32 exec_lo, exec_lo, s25
	s_cbranch_execnz .LBB6_7773
.LBB6_6309:                             ;   in Loop: Header=BB6_5432 Depth=2
	s_or_b32 exec_lo, exec_lo, s25
	s_and_saveexec_b32 s24, s7
	s_cbranch_execz .LBB6_6311
.LBB6_6310:                             ;   in Loop: Header=BB6_5432 Depth=2
	v_bfe_u32 v179, v29, 16, 3
	v_bfe_u32 v182, v29, 19, 4
	v_lshlrev_b32_e32 v183, 24, v176
	s_delay_alu instid0(VALU_DEP_3) | instskip(NEXT) | instid1(VALU_DEP_3)
	v_clz_i32_u32_e32 v180, v179
	v_cmp_eq_u32_e32 vcc_lo, 0, v182
	s_delay_alu instid0(VALU_DEP_2) | instskip(NEXT) | instid1(VALU_DEP_1)
	v_min_u32_e32 v180, 32, v180
	v_subrev_nc_u32_e32 v181, 28, v180
	v_sub_nc_u32_e32 v180, 29, v180
	s_delay_alu instid0(VALU_DEP_2) | instskip(NEXT) | instid1(VALU_DEP_1)
	v_lshlrev_b32_e32 v181, v181, v176
	v_dual_cndmask_b32 v180, v182, v180 :: v_dual_and_b32 v181, 7, v181
	s_delay_alu instid0(VALU_DEP_1) | instskip(NEXT) | instid1(VALU_DEP_2)
	v_lshl_add_u32 v180, v180, 23, 0x3b800000
	v_cndmask_b32_e32 v179, v179, v181, vcc_lo
	v_and_b32_e32 v181, 0x80000000, v183
	s_delay_alu instid0(VALU_DEP_2) | instskip(NEXT) | instid1(VALU_DEP_1)
	v_lshlrev_b32_e32 v179, 20, v179
	v_or3_b32 v179, v181, v180, v179
.LBB6_6311:                             ;   in Loop: Header=BB6_5432 Depth=2
	s_or_b32 exec_lo, exec_lo, s24
	s_delay_alu instid0(VALU_DEP_1) | instskip(SKIP_1) | instid1(VALU_DEP_1)
	v_dual_max_f32 v179, v179, v179 :: v_dual_max_f32 v178, v178, v178
	s_mov_b32 s7, 0
	v_max_f32_e32 v178, v178, v179
	s_branch .LBB6_6313
.LBB6_6312:                             ;   in Loop: Header=BB6_5432 Depth=2
	s_mov_b32 s7, -1
                                        ; implicit-def: $vgpr178
.LBB6_6313:                             ;   in Loop: Header=BB6_5432 Depth=2
	s_delay_alu instid0(SALU_CYCLE_1)
	s_and_b32 vcc_lo, exec_lo, s7
	s_cbranch_vccz .LBB6_6323
; %bb.6314:                             ;   in Loop: Header=BB6_5432 Depth=2
	v_and_b32_e32 v179, 0xff, v177
	s_mov_b32 s7, 0
	s_mov_b32 s25, exec_lo
                                        ; implicit-def: $sgpr24
	s_delay_alu instid0(VALU_DEP_1)
	v_cmpx_lt_i16_e64 0x7f, v179
	s_xor_b32 s25, exec_lo, s25
	s_cbranch_execnz .LBB6_7774
; %bb.6315:                             ;   in Loop: Header=BB6_5432 Depth=2
	s_or_saveexec_b32 s25, s25
	v_mov_b32_e32 v178, s24
	s_xor_b32 exec_lo, exec_lo, s25
	s_cbranch_execnz .LBB6_7777
.LBB6_6316:                             ;   in Loop: Header=BB6_5432 Depth=2
	s_or_b32 exec_lo, exec_lo, s25
	s_and_saveexec_b32 s24, s7
	s_cbranch_execz .LBB6_6318
.LBB6_6317:                             ;   in Loop: Header=BB6_5432 Depth=2
	v_bfe_u32 v178, v35, 16, 3
	v_bfe_u32 v181, v35, 19, 4
	s_delay_alu instid0(VALU_DEP_2) | instskip(NEXT) | instid1(VALU_DEP_2)
	v_clz_i32_u32_e32 v179, v178
	v_cmp_eq_u32_e32 vcc_lo, 0, v181
	s_delay_alu instid0(VALU_DEP_2) | instskip(NEXT) | instid1(VALU_DEP_1)
	v_min_u32_e32 v179, 32, v179
	v_subrev_nc_u32_e32 v180, 28, v179
	v_sub_nc_u32_e32 v179, 29, v179
	s_delay_alu instid0(VALU_DEP_1) | instskip(NEXT) | instid1(VALU_DEP_1)
	v_dual_cndmask_b32 v179, v181, v179 :: v_dual_lshlrev_b32 v180, v180, v177
	v_and_b32_e32 v180, 7, v180
	v_lshlrev_b32_e32 v177, 24, v177
	s_delay_alu instid0(VALU_DEP_3) | instskip(NEXT) | instid1(VALU_DEP_2)
	v_lshl_add_u32 v179, v179, 23, 0x3b800000
	v_dual_cndmask_b32 v178, v178, v180 :: v_dual_and_b32 v177, 0x80000000, v177
	s_delay_alu instid0(VALU_DEP_1) | instskip(NEXT) | instid1(VALU_DEP_1)
	v_lshlrev_b32_e32 v178, 20, v178
	v_or3_b32 v178, v177, v179, v178
.LBB6_6318:                             ;   in Loop: Header=BB6_5432 Depth=2
	s_or_b32 exec_lo, exec_lo, s24
	v_and_b32_e32 v179, 0xff, v176
	s_mov_b32 s7, 0
	s_mov_b32 s25, exec_lo
                                        ; implicit-def: $sgpr24
	s_delay_alu instid0(VALU_DEP_1)
	v_cmpx_lt_i16_e64 0x7f, v179
	s_xor_b32 s25, exec_lo, s25
	s_cbranch_execnz .LBB6_7778
; %bb.6319:                             ;   in Loop: Header=BB6_5432 Depth=2
	s_or_saveexec_b32 s25, s25
	v_mov_b32_e32 v177, s24
	s_xor_b32 exec_lo, exec_lo, s25
	s_cbranch_execnz .LBB6_7781
.LBB6_6320:                             ;   in Loop: Header=BB6_5432 Depth=2
	s_or_b32 exec_lo, exec_lo, s25
	s_and_saveexec_b32 s24, s7
	s_cbranch_execz .LBB6_6322
.LBB6_6321:                             ;   in Loop: Header=BB6_5432 Depth=2
	v_bfe_u32 v177, v29, 16, 3
	v_bfe_u32 v181, v29, 19, 4
	s_delay_alu instid0(VALU_DEP_2) | instskip(NEXT) | instid1(VALU_DEP_2)
	v_clz_i32_u32_e32 v179, v177
	v_cmp_eq_u32_e32 vcc_lo, 0, v181
	s_delay_alu instid0(VALU_DEP_2) | instskip(NEXT) | instid1(VALU_DEP_1)
	v_min_u32_e32 v179, 32, v179
	v_subrev_nc_u32_e32 v180, 28, v179
	v_sub_nc_u32_e32 v179, 29, v179
	s_delay_alu instid0(VALU_DEP_1) | instskip(SKIP_1) | instid1(VALU_DEP_2)
	v_dual_cndmask_b32 v179, v181, v179 :: v_dual_lshlrev_b32 v180, v180, v176
	v_lshlrev_b32_e32 v176, 24, v176
	v_and_b32_e32 v180, 7, v180
	s_delay_alu instid0(VALU_DEP_3) | instskip(NEXT) | instid1(VALU_DEP_3)
	v_lshl_add_u32 v179, v179, 23, 0x3b800000
	v_and_b32_e32 v176, 0x80000000, v176
	s_delay_alu instid0(VALU_DEP_3) | instskip(NEXT) | instid1(VALU_DEP_1)
	v_cndmask_b32_e32 v177, v177, v180, vcc_lo
	v_lshlrev_b32_e32 v177, 20, v177
	s_delay_alu instid0(VALU_DEP_1)
	v_or3_b32 v177, v176, v179, v177
.LBB6_6322:                             ;   in Loop: Header=BB6_5432 Depth=2
	s_or_b32 exec_lo, exec_lo, s24
	s_delay_alu instid0(VALU_DEP_1) | instskip(NEXT) | instid1(VALU_DEP_1)
	v_dual_max_f32 v176, v177, v177 :: v_dual_max_f32 v177, v178, v178
	v_min_f32_e32 v178, v177, v176
.LBB6_6323:                             ;   in Loop: Header=BB6_5432 Depth=2
	s_delay_alu instid0(VALU_DEP_1) | instskip(NEXT) | instid1(VALU_DEP_1)
	v_and_b32_e32 v176, 0x7f800000, v178
	v_cmp_ne_u32_e32 vcc_lo, 0x7f800000, v176
	v_mov_b32_e32 v176, 0x80
	s_and_saveexec_b32 s24, vcc_lo
	s_cbranch_execz .LBB6_6331
; %bb.6324:                             ;   in Loop: Header=BB6_5432 Depth=2
	v_mov_b32_e32 v176, 0
	s_mov_b32 s25, exec_lo
	v_cmpx_ne_u32_e32 0, v178
	s_cbranch_execz .LBB6_6330
; %bb.6325:                             ;   in Loop: Header=BB6_5432 Depth=2
	v_bfe_u32 v176, v178, 23, 8
	v_and_b32_e32 v177, 0x7fffff, v178
	s_delay_alu instid0(VALU_DEP_2) | instskip(SKIP_1) | instid1(VALU_DEP_3)
	v_sub_nc_u32_e32 v179, 0x78, v176
	v_cmp_gt_u32_e32 vcc_lo, 0x79, v176
	v_or_b32_e32 v180, 0x800000, v177
	s_delay_alu instid0(VALU_DEP_3) | instskip(SKIP_2) | instid1(VALU_DEP_3)
	v_cndmask_b32_e32 v179, 0, v179, vcc_lo
	v_cmp_eq_u32_e32 vcc_lo, 0, v176
	v_add_nc_u32_e32 v176, 0xffffff89, v176
	v_cndmask_b32_e64 v179, v179, 0x77, vcc_lo
	v_cndmask_b32_e32 v177, v180, v177, vcc_lo
	s_delay_alu instid0(VALU_DEP_3) | instskip(NEXT) | instid1(VALU_DEP_3)
	v_cndmask_b32_e64 v176, v176, 0xffffff8a, vcc_lo
	v_lshl_add_u32 v180, 0x100000, v179, -1
	s_delay_alu instid0(VALU_DEP_3) | instskip(SKIP_1) | instid1(VALU_DEP_4)
	v_lshrrev_b32_e32 v181, v179, v177
	v_lshlrev_b32_e64 v183, v179, 0x80000
	v_add_nc_u32_e32 v179, v179, v176
	s_delay_alu instid0(VALU_DEP_4) | instskip(NEXT) | instid1(VALU_DEP_4)
	v_and_b32_e32 v177, v180, v177
	v_bfe_u32 v182, v181, 20, 1
	s_delay_alu instid0(VALU_DEP_2) | instskip(NEXT) | instid1(VALU_DEP_2)
	v_cmp_eq_u32_e64 s7, v177, v183
	v_add_nc_u32_e32 v180, -1, v182
	s_delay_alu instid0(VALU_DEP_1) | instskip(SKIP_2) | instid1(VALU_DEP_2)
	v_cndmask_b32_e64 v177, 0, v180, s7
	v_lshrrev_b32_e32 v180, 23, v181
	s_mov_b32 s7, exec_lo
	v_add_nc_u32_e32 v177, v177, v181
	s_delay_alu instid0(VALU_DEP_2) | instskip(NEXT) | instid1(VALU_DEP_2)
	v_xor_b32_e32 v180, 1, v180
	v_and_b32_e32 v176, 0xfffff, v177
	s_delay_alu instid0(VALU_DEP_1) | instskip(NEXT) | instid1(VALU_DEP_3)
	v_add_nc_u32_e32 v177, v176, v181
                                        ; implicit-def: $vgpr176
	v_cmpx_ne_u32_e64 v179, v180
	s_xor_b32 s7, exec_lo, s7
; %bb.6326:                             ;   in Loop: Header=BB6_5432 Depth=2
	s_delay_alu instid0(VALU_DEP_2) | instskip(SKIP_2) | instid1(VALU_DEP_2)
	v_cmp_lt_u32_e32 vcc_lo, 0xffffff, v177
	v_sub_nc_u32_e32 v176, v179, v180
	v_cndmask_b32_e64 v179, 0, 1, vcc_lo
	v_add_co_ci_u32_e32 v176, vcc_lo, 0, v176, vcc_lo
	s_delay_alu instid0(VALU_DEP_2)
	v_lshrrev_b32_e32 v177, v179, v177
; %bb.6327:                             ;   in Loop: Header=BB6_5432 Depth=2
	s_and_not1_saveexec_b32 s7, s7
; %bb.6328:                             ;   in Loop: Header=BB6_5432 Depth=2
	s_delay_alu instid0(VALU_DEP_1)
	v_bfe_u32 v176, v177, 23, 1
; %bb.6329:                             ;   in Loop: Header=BB6_5432 Depth=2
	s_or_b32 exec_lo, exec_lo, s7
	v_lshrrev_b32_e32 v177, 20, v177
	s_delay_alu instid0(VALU_DEP_2) | instskip(SKIP_2) | instid1(VALU_DEP_2)
	v_cmp_gt_i32_e32 vcc_lo, 16, v176
	v_lshrrev_b32_e32 v178, 24, v178
	v_min_i32_e32 v179, 15, v176
	v_dual_cndmask_b32 v177, 7, v177 :: v_dual_and_b32 v178, 0x80, v178
	s_delay_alu instid0(VALU_DEP_1) | instskip(SKIP_1) | instid1(VALU_DEP_2)
	v_or_b32_e32 v176, v176, v177
	v_and_b32_e32 v180, 7, v177
	v_cmp_ne_u32_e32 vcc_lo, 0, v176
	v_lshlrev_b32_e32 v179, 3, v179
	s_delay_alu instid0(VALU_DEP_1) | instskip(NEXT) | instid1(VALU_DEP_1)
	v_and_b32_e32 v179, 0xf8, v179
	v_or3_b32 v177, v179, v178, v180
	s_delay_alu instid0(VALU_DEP_1)
	v_cndmask_b32_e32 v176, 0, v177, vcc_lo
.LBB6_6330:                             ;   in Loop: Header=BB6_5432 Depth=2
	s_or_b32 exec_lo, exec_lo, s25
.LBB6_6331:                             ;   in Loop: Header=BB6_5432 Depth=2
	s_delay_alu instid0(SALU_CYCLE_1)
	s_or_b32 exec_lo, exec_lo, s24
	v_lshrrev_b32_e32 v178, 24, v35
	v_lshrrev_b32_e32 v177, 24, v29
	s_and_not1_b32 vcc_lo, exec_lo, s23
	s_cbranch_vccnz .LBB6_6341
; %bb.6332:                             ;   in Loop: Header=BB6_5432 Depth=2
	s_mov_b32 s7, 0
	s_mov_b32 s25, exec_lo
                                        ; implicit-def: $sgpr24
	v_cmpx_lt_i16_e64 0x7f, v178
	s_xor_b32 s25, exec_lo, s25
	s_cbranch_execnz .LBB6_7782
; %bb.6333:                             ;   in Loop: Header=BB6_5432 Depth=2
	s_or_saveexec_b32 s25, s25
	v_mov_b32_e32 v179, s24
	s_xor_b32 exec_lo, exec_lo, s25
	s_cbranch_execnz .LBB6_7785
.LBB6_6334:                             ;   in Loop: Header=BB6_5432 Depth=2
	s_or_b32 exec_lo, exec_lo, s25
	s_and_saveexec_b32 s24, s7
	s_cbranch_execz .LBB6_6336
.LBB6_6335:                             ;   in Loop: Header=BB6_5432 Depth=2
	v_bfe_u32 v179, v35, 24, 3
	v_bfe_u32 v182, v35, 27, 4
	s_delay_alu instid0(VALU_DEP_2) | instskip(NEXT) | instid1(VALU_DEP_2)
	v_clz_i32_u32_e32 v180, v179
	v_cmp_eq_u32_e32 vcc_lo, 0, v182
	s_delay_alu instid0(VALU_DEP_2) | instskip(NEXT) | instid1(VALU_DEP_1)
	v_min_u32_e32 v180, 32, v180
	v_subrev_nc_u32_e32 v181, 28, v180
	v_sub_nc_u32_e32 v180, 29, v180
	s_delay_alu instid0(VALU_DEP_1) | instskip(NEXT) | instid1(VALU_DEP_1)
	v_dual_cndmask_b32 v180, v182, v180 :: v_dual_lshlrev_b32 v181, v181, v178
	v_and_b32_e32 v181, 7, v181
	s_delay_alu instid0(VALU_DEP_2) | instskip(NEXT) | instid1(VALU_DEP_2)
	v_lshl_add_u32 v180, v180, 23, 0x3b800000
	v_cndmask_b32_e32 v179, v179, v181, vcc_lo
	v_and_b32_e32 v181, 0x80000000, v35
	s_delay_alu instid0(VALU_DEP_2) | instskip(NEXT) | instid1(VALU_DEP_1)
	v_lshlrev_b32_e32 v179, 20, v179
	v_or3_b32 v179, v181, v180, v179
.LBB6_6336:                             ;   in Loop: Header=BB6_5432 Depth=2
	s_or_b32 exec_lo, exec_lo, s24
	s_mov_b32 s7, 0
	s_mov_b32 s25, exec_lo
                                        ; implicit-def: $sgpr24
	v_cmpx_lt_i16_e64 0x7f, v177
	s_xor_b32 s25, exec_lo, s25
	s_cbranch_execnz .LBB6_7786
; %bb.6337:                             ;   in Loop: Header=BB6_5432 Depth=2
	s_or_saveexec_b32 s25, s25
	v_mov_b32_e32 v180, s24
	s_xor_b32 exec_lo, exec_lo, s25
	s_cbranch_execnz .LBB6_7789
.LBB6_6338:                             ;   in Loop: Header=BB6_5432 Depth=2
	s_or_b32 exec_lo, exec_lo, s25
	s_and_saveexec_b32 s24, s7
	s_cbranch_execz .LBB6_6340
.LBB6_6339:                             ;   in Loop: Header=BB6_5432 Depth=2
	v_bfe_u32 v180, v29, 24, 3
	v_bfe_u32 v183, v29, 27, 4
	s_delay_alu instid0(VALU_DEP_2) | instskip(NEXT) | instid1(VALU_DEP_2)
	v_clz_i32_u32_e32 v181, v180
	v_cmp_eq_u32_e32 vcc_lo, 0, v183
	s_delay_alu instid0(VALU_DEP_2) | instskip(NEXT) | instid1(VALU_DEP_1)
	v_min_u32_e32 v181, 32, v181
	v_subrev_nc_u32_e32 v182, 28, v181
	v_sub_nc_u32_e32 v181, 29, v181
	s_delay_alu instid0(VALU_DEP_2) | instskip(NEXT) | instid1(VALU_DEP_1)
	v_lshlrev_b32_e32 v182, v182, v177
	v_dual_cndmask_b32 v181, v183, v181 :: v_dual_and_b32 v182, 7, v182
	s_delay_alu instid0(VALU_DEP_1) | instskip(NEXT) | instid1(VALU_DEP_2)
	v_lshl_add_u32 v181, v181, 23, 0x3b800000
	v_cndmask_b32_e32 v180, v180, v182, vcc_lo
	v_and_b32_e32 v182, 0x80000000, v29
	s_delay_alu instid0(VALU_DEP_2) | instskip(NEXT) | instid1(VALU_DEP_1)
	v_lshlrev_b32_e32 v180, 20, v180
	v_or3_b32 v180, v182, v181, v180
.LBB6_6340:                             ;   in Loop: Header=BB6_5432 Depth=2
	s_or_b32 exec_lo, exec_lo, s24
	s_delay_alu instid0(VALU_DEP_1) | instskip(SKIP_1) | instid1(VALU_DEP_1)
	v_dual_max_f32 v180, v180, v180 :: v_dual_max_f32 v179, v179, v179
	s_mov_b32 s7, 0
	v_max_f32_e32 v179, v179, v180
	s_branch .LBB6_6342
.LBB6_6341:                             ;   in Loop: Header=BB6_5432 Depth=2
	s_mov_b32 s7, -1
                                        ; implicit-def: $vgpr179
.LBB6_6342:                             ;   in Loop: Header=BB6_5432 Depth=2
	s_delay_alu instid0(SALU_CYCLE_1)
	s_and_b32 vcc_lo, exec_lo, s7
	s_cbranch_vccz .LBB6_6352
; %bb.6343:                             ;   in Loop: Header=BB6_5432 Depth=2
	s_mov_b32 s7, 0
	s_mov_b32 s25, exec_lo
                                        ; implicit-def: $sgpr24
	v_cmpx_lt_i16_e64 0x7f, v178
	s_xor_b32 s25, exec_lo, s25
	s_cbranch_execnz .LBB6_7790
; %bb.6344:                             ;   in Loop: Header=BB6_5432 Depth=2
	s_or_saveexec_b32 s25, s25
	v_mov_b32_e32 v179, s24
	s_xor_b32 exec_lo, exec_lo, s25
	s_cbranch_execnz .LBB6_7793
.LBB6_6345:                             ;   in Loop: Header=BB6_5432 Depth=2
	s_or_b32 exec_lo, exec_lo, s25
	s_and_saveexec_b32 s24, s7
	s_cbranch_execz .LBB6_6347
.LBB6_6346:                             ;   in Loop: Header=BB6_5432 Depth=2
	v_bfe_u32 v179, v35, 24, 3
	s_delay_alu instid0(VALU_DEP_1) | instskip(NEXT) | instid1(VALU_DEP_1)
	v_clz_i32_u32_e32 v180, v179
	v_min_u32_e32 v180, 32, v180
	s_delay_alu instid0(VALU_DEP_1) | instskip(SKIP_1) | instid1(VALU_DEP_2)
	v_subrev_nc_u32_e32 v181, 28, v180
	v_sub_nc_u32_e32 v180, 29, v180
	v_lshlrev_b32_e32 v178, v181, v178
	v_bfe_u32 v181, v35, 27, 4
	v_and_b32_e32 v35, 0x80000000, v35
	s_delay_alu instid0(VALU_DEP_3) | instskip(NEXT) | instid1(VALU_DEP_3)
	v_and_b32_e32 v178, 7, v178
	v_cmp_eq_u32_e32 vcc_lo, 0, v181
	v_cndmask_b32_e32 v180, v181, v180, vcc_lo
	s_delay_alu instid0(VALU_DEP_3) | instskip(NEXT) | instid1(VALU_DEP_2)
	v_cndmask_b32_e32 v178, v179, v178, vcc_lo
	v_lshl_add_u32 v179, v180, 23, 0x3b800000
	s_delay_alu instid0(VALU_DEP_2) | instskip(NEXT) | instid1(VALU_DEP_1)
	v_lshlrev_b32_e32 v178, 20, v178
	v_or3_b32 v179, v35, v179, v178
.LBB6_6347:                             ;   in Loop: Header=BB6_5432 Depth=2
	s_or_b32 exec_lo, exec_lo, s24
	s_mov_b32 s7, 0
	s_mov_b32 s25, exec_lo
                                        ; implicit-def: $sgpr24
	v_cmpx_lt_i16_e64 0x7f, v177
	s_xor_b32 s25, exec_lo, s25
	s_cbranch_execnz .LBB6_7794
; %bb.6348:                             ;   in Loop: Header=BB6_5432 Depth=2
	s_or_saveexec_b32 s25, s25
	v_mov_b32_e32 v35, s24
	s_xor_b32 exec_lo, exec_lo, s25
	s_cbranch_execnz .LBB6_7797
.LBB6_6349:                             ;   in Loop: Header=BB6_5432 Depth=2
	s_or_b32 exec_lo, exec_lo, s25
	s_and_saveexec_b32 s24, s7
	s_cbranch_execz .LBB6_6351
.LBB6_6350:                             ;   in Loop: Header=BB6_5432 Depth=2
	v_bfe_u32 v35, v29, 24, 3
	s_delay_alu instid0(VALU_DEP_1) | instskip(NEXT) | instid1(VALU_DEP_1)
	v_clz_i32_u32_e32 v178, v35
	v_min_u32_e32 v178, 32, v178
	s_delay_alu instid0(VALU_DEP_1) | instskip(SKIP_1) | instid1(VALU_DEP_2)
	v_subrev_nc_u32_e32 v180, 28, v178
	v_sub_nc_u32_e32 v178, 29, v178
	v_lshlrev_b32_e32 v177, v180, v177
	v_bfe_u32 v180, v29, 27, 4
	v_and_b32_e32 v29, 0x80000000, v29
	s_delay_alu instid0(VALU_DEP_2) | instskip(NEXT) | instid1(VALU_DEP_4)
	v_cmp_eq_u32_e32 vcc_lo, 0, v180
	v_dual_cndmask_b32 v178, v180, v178 :: v_dual_and_b32 v177, 7, v177
	s_delay_alu instid0(VALU_DEP_1) | instskip(NEXT) | instid1(VALU_DEP_2)
	v_cndmask_b32_e32 v35, v35, v177, vcc_lo
	v_lshl_add_u32 v177, v178, 23, 0x3b800000
	s_delay_alu instid0(VALU_DEP_2) | instskip(NEXT) | instid1(VALU_DEP_1)
	v_lshlrev_b32_e32 v35, 20, v35
	v_or3_b32 v35, v29, v177, v35
.LBB6_6351:                             ;   in Loop: Header=BB6_5432 Depth=2
	s_or_b32 exec_lo, exec_lo, s24
	s_delay_alu instid0(VALU_DEP_1) | instskip(SKIP_1) | instid1(VALU_DEP_1)
	v_max_f32_e32 v29, v35, v35
	v_max_f32_e32 v35, v179, v179
	v_min_f32_e32 v179, v35, v29
.LBB6_6352:                             ;   in Loop: Header=BB6_5432 Depth=2
	s_delay_alu instid0(VALU_DEP_1) | instskip(NEXT) | instid1(VALU_DEP_1)
	v_and_b32_e32 v29, 0x7f800000, v179
	v_cmp_ne_u32_e32 vcc_lo, 0x7f800000, v29
	v_mov_b32_e32 v29, 0x8000
	s_and_saveexec_b32 s24, vcc_lo
	s_cbranch_execz .LBB6_6360
; %bb.6353:                             ;   in Loop: Header=BB6_5432 Depth=2
	v_mov_b32_e32 v29, 0
	s_mov_b32 s25, exec_lo
	v_cmpx_ne_u32_e32 0, v179
	s_cbranch_execz .LBB6_6359
; %bb.6354:                             ;   in Loop: Header=BB6_5432 Depth=2
	v_bfe_u32 v29, v179, 23, 8
	v_and_b32_e32 v35, 0x7fffff, v179
	s_delay_alu instid0(VALU_DEP_2) | instskip(SKIP_1) | instid1(VALU_DEP_3)
	v_sub_nc_u32_e32 v177, 0x78, v29
	v_cmp_gt_u32_e32 vcc_lo, 0x79, v29
	v_or_b32_e32 v178, 0x800000, v35
	s_delay_alu instid0(VALU_DEP_3) | instskip(SKIP_2) | instid1(VALU_DEP_3)
	v_cndmask_b32_e32 v177, 0, v177, vcc_lo
	v_cmp_eq_u32_e32 vcc_lo, 0, v29
	v_add_nc_u32_e32 v29, 0xffffff89, v29
	v_cndmask_b32_e64 v177, v177, 0x77, vcc_lo
	v_cndmask_b32_e32 v35, v178, v35, vcc_lo
	s_delay_alu instid0(VALU_DEP_3) | instskip(NEXT) | instid1(VALU_DEP_3)
	v_cndmask_b32_e64 v29, v29, 0xffffff8a, vcc_lo
	v_lshl_add_u32 v178, 0x100000, v177, -1
	s_delay_alu instid0(VALU_DEP_3) | instskip(SKIP_1) | instid1(VALU_DEP_4)
	v_lshrrev_b32_e32 v180, v177, v35
	v_lshlrev_b32_e64 v182, v177, 0x80000
	v_add_nc_u32_e32 v177, v177, v29
	s_delay_alu instid0(VALU_DEP_4) | instskip(NEXT) | instid1(VALU_DEP_4)
	v_and_b32_e32 v35, v178, v35
	v_bfe_u32 v181, v180, 20, 1
	s_delay_alu instid0(VALU_DEP_2) | instskip(NEXT) | instid1(VALU_DEP_2)
	v_cmp_eq_u32_e64 s7, v35, v182
	v_add_nc_u32_e32 v178, -1, v181
	s_delay_alu instid0(VALU_DEP_1) | instskip(SKIP_2) | instid1(VALU_DEP_2)
	v_cndmask_b32_e64 v35, 0, v178, s7
	v_lshrrev_b32_e32 v178, 23, v180
	s_mov_b32 s7, exec_lo
	v_add_nc_u32_e32 v35, v35, v180
	s_delay_alu instid0(VALU_DEP_2) | instskip(NEXT) | instid1(VALU_DEP_2)
	v_xor_b32_e32 v178, 1, v178
	v_and_b32_e32 v29, 0xfffff, v35
	s_delay_alu instid0(VALU_DEP_1) | instskip(NEXT) | instid1(VALU_DEP_3)
	v_add_nc_u32_e32 v35, v29, v180
                                        ; implicit-def: $vgpr29
	v_cmpx_ne_u32_e64 v177, v178
	s_xor_b32 s7, exec_lo, s7
; %bb.6355:                             ;   in Loop: Header=BB6_5432 Depth=2
	s_delay_alu instid0(VALU_DEP_2) | instskip(SKIP_2) | instid1(VALU_DEP_2)
	v_cmp_lt_u32_e32 vcc_lo, 0xffffff, v35
	v_sub_nc_u32_e32 v29, v177, v178
	v_cndmask_b32_e64 v177, 0, 1, vcc_lo
	v_add_co_ci_u32_e32 v29, vcc_lo, 0, v29, vcc_lo
	s_delay_alu instid0(VALU_DEP_2)
	v_lshrrev_b32_e32 v35, v177, v35
; %bb.6356:                             ;   in Loop: Header=BB6_5432 Depth=2
	s_and_not1_saveexec_b32 s7, s7
; %bb.6357:                             ;   in Loop: Header=BB6_5432 Depth=2
	s_delay_alu instid0(VALU_DEP_1)
	v_bfe_u32 v29, v35, 23, 1
; %bb.6358:                             ;   in Loop: Header=BB6_5432 Depth=2
	s_or_b32 exec_lo, exec_lo, s7
	v_lshrrev_b32_e32 v35, 20, v35
	s_delay_alu instid0(VALU_DEP_2) | instskip(SKIP_2) | instid1(VALU_DEP_3)
	v_min_i32_e32 v177, 15, v29
	v_cmp_gt_i32_e32 vcc_lo, 16, v29
	v_lshrrev_b32_e32 v178, 24, v179
	v_lshlrev_b32_e32 v177, 3, v177
	s_delay_alu instid0(VALU_DEP_2) | instskip(NEXT) | instid1(VALU_DEP_2)
	v_dual_cndmask_b32 v35, 7, v35 :: v_dual_and_b32 v178, 0x80, v178
	v_and_b32_e32 v177, 0xf8, v177
	s_delay_alu instid0(VALU_DEP_2) | instskip(SKIP_1) | instid1(VALU_DEP_2)
	v_and_b32_e32 v179, 7, v35
	v_or_b32_e32 v29, v29, v35
	v_or3_b32 v177, v178, v177, v179
	s_delay_alu instid0(VALU_DEP_2) | instskip(NEXT) | instid1(VALU_DEP_2)
	v_cmp_ne_u32_e32 vcc_lo, 0, v29
	v_lshlrev_b32_e32 v35, 8, v177
	s_delay_alu instid0(VALU_DEP_1)
	v_cndmask_b32_e32 v29, 0, v35, vcc_lo
.LBB6_6359:                             ;   in Loop: Header=BB6_5432 Depth=2
	s_or_b32 exec_lo, exec_lo, s25
.LBB6_6360:                             ;   in Loop: Header=BB6_5432 Depth=2
	s_delay_alu instid0(SALU_CYCLE_1) | instskip(NEXT) | instid1(SALU_CYCLE_1)
	s_or_b32 exec_lo, exec_lo, s24
	s_and_not1_b32 vcc_lo, exec_lo, s23
	s_cbranch_vccnz .LBB6_6370
; %bb.6361:                             ;   in Loop: Header=BB6_5432 Depth=2
	v_and_b32_e32 v177, 0xff, v22
	s_mov_b32 s7, 0
	s_mov_b32 s25, exec_lo
                                        ; implicit-def: $sgpr24
	s_delay_alu instid0(VALU_DEP_1)
	v_cmpx_lt_i16_e64 0x7f, v177
	s_xor_b32 s25, exec_lo, s25
	s_cbranch_execnz .LBB6_7798
; %bb.6362:                             ;   in Loop: Header=BB6_5432 Depth=2
	s_or_saveexec_b32 s25, s25
	v_mov_b32_e32 v35, s24
	s_xor_b32 exec_lo, exec_lo, s25
	s_cbranch_execnz .LBB6_7801
.LBB6_6363:                             ;   in Loop: Header=BB6_5432 Depth=2
	s_or_b32 exec_lo, exec_lo, s25
	s_and_saveexec_b32 s24, s7
	s_cbranch_execz .LBB6_6365
.LBB6_6364:                             ;   in Loop: Header=BB6_5432 Depth=2
	v_and_b32_e32 v35, 7, v22
	v_bfe_u32 v179, v22, 3, 4
	v_lshlrev_b32_e32 v180, 24, v22
	s_delay_alu instid0(VALU_DEP_3) | instskip(NEXT) | instid1(VALU_DEP_3)
	v_clz_i32_u32_e32 v177, v35
	v_cmp_eq_u32_e32 vcc_lo, 0, v179
	s_delay_alu instid0(VALU_DEP_2) | instskip(NEXT) | instid1(VALU_DEP_1)
	v_min_u32_e32 v177, 32, v177
	v_subrev_nc_u32_e32 v178, 28, v177
	v_sub_nc_u32_e32 v177, 29, v177
	s_delay_alu instid0(VALU_DEP_1) | instskip(NEXT) | instid1(VALU_DEP_1)
	v_dual_cndmask_b32 v177, v179, v177 :: v_dual_lshlrev_b32 v178, v178, v22
	v_and_b32_e32 v178, 7, v178
	s_delay_alu instid0(VALU_DEP_2) | instskip(NEXT) | instid1(VALU_DEP_2)
	v_lshl_add_u32 v177, v177, 23, 0x3b800000
	v_dual_cndmask_b32 v35, v35, v178 :: v_dual_and_b32 v178, 0x80000000, v180
	s_delay_alu instid0(VALU_DEP_1) | instskip(NEXT) | instid1(VALU_DEP_1)
	v_lshlrev_b32_e32 v35, 20, v35
	v_or3_b32 v35, v178, v177, v35
.LBB6_6365:                             ;   in Loop: Header=BB6_5432 Depth=2
	s_or_b32 exec_lo, exec_lo, s24
	s_waitcnt vmcnt(1)
	v_and_b32_e32 v178, 0xff, v18
	s_mov_b32 s7, 0
	s_mov_b32 s25, exec_lo
                                        ; implicit-def: $sgpr24
	s_delay_alu instid0(VALU_DEP_1)
	v_cmpx_lt_i16_e64 0x7f, v178
	s_xor_b32 s25, exec_lo, s25
	s_cbranch_execnz .LBB6_7802
; %bb.6366:                             ;   in Loop: Header=BB6_5432 Depth=2
	s_or_saveexec_b32 s25, s25
	v_mov_b32_e32 v177, s24
	s_xor_b32 exec_lo, exec_lo, s25
	s_cbranch_execnz .LBB6_7805
.LBB6_6367:                             ;   in Loop: Header=BB6_5432 Depth=2
	s_or_b32 exec_lo, exec_lo, s25
	s_and_saveexec_b32 s24, s7
	s_cbranch_execz .LBB6_6369
.LBB6_6368:                             ;   in Loop: Header=BB6_5432 Depth=2
	v_and_b32_e32 v177, 7, v18
	v_bfe_u32 v180, v18, 3, 4
	v_lshlrev_b32_e32 v181, 24, v18
	s_delay_alu instid0(VALU_DEP_3) | instskip(NEXT) | instid1(VALU_DEP_3)
	v_clz_i32_u32_e32 v178, v177
	v_cmp_eq_u32_e32 vcc_lo, 0, v180
	s_delay_alu instid0(VALU_DEP_2) | instskip(NEXT) | instid1(VALU_DEP_1)
	v_min_u32_e32 v178, 32, v178
	v_subrev_nc_u32_e32 v179, 28, v178
	v_sub_nc_u32_e32 v178, 29, v178
	s_delay_alu instid0(VALU_DEP_2) | instskip(NEXT) | instid1(VALU_DEP_1)
	v_lshlrev_b32_e32 v179, v179, v18
	v_dual_cndmask_b32 v178, v180, v178 :: v_dual_and_b32 v179, 7, v179
	s_delay_alu instid0(VALU_DEP_1) | instskip(NEXT) | instid1(VALU_DEP_2)
	v_lshl_add_u32 v178, v178, 23, 0x3b800000
	v_cndmask_b32_e32 v177, v177, v179, vcc_lo
	v_and_b32_e32 v179, 0x80000000, v181
	s_delay_alu instid0(VALU_DEP_2) | instskip(NEXT) | instid1(VALU_DEP_1)
	v_lshlrev_b32_e32 v177, 20, v177
	v_or3_b32 v177, v179, v178, v177
.LBB6_6369:                             ;   in Loop: Header=BB6_5432 Depth=2
	s_or_b32 exec_lo, exec_lo, s24
	s_delay_alu instid0(VALU_DEP_1) | instskip(SKIP_2) | instid1(VALU_DEP_1)
	v_max_f32_e32 v177, v177, v177
	v_max_f32_e32 v35, v35, v35
	s_mov_b32 s7, 0
	v_max_f32_e32 v177, v35, v177
	s_branch .LBB6_6371
.LBB6_6370:                             ;   in Loop: Header=BB6_5432 Depth=2
	s_mov_b32 s7, -1
                                        ; implicit-def: $vgpr177
.LBB6_6371:                             ;   in Loop: Header=BB6_5432 Depth=2
	s_delay_alu instid0(SALU_CYCLE_1)
	s_and_b32 vcc_lo, exec_lo, s7
	s_cbranch_vccz .LBB6_6381
; %bb.6372:                             ;   in Loop: Header=BB6_5432 Depth=2
	v_and_b32_e32 v177, 0xff, v22
	s_mov_b32 s7, 0
	s_mov_b32 s25, exec_lo
                                        ; implicit-def: $sgpr24
	s_delay_alu instid0(VALU_DEP_1)
	v_cmpx_lt_i16_e64 0x7f, v177
	s_xor_b32 s25, exec_lo, s25
	s_cbranch_execnz .LBB6_7806
; %bb.6373:                             ;   in Loop: Header=BB6_5432 Depth=2
	s_or_saveexec_b32 s25, s25
	v_mov_b32_e32 v35, s24
	s_xor_b32 exec_lo, exec_lo, s25
	s_cbranch_execnz .LBB6_7809
.LBB6_6374:                             ;   in Loop: Header=BB6_5432 Depth=2
	s_or_b32 exec_lo, exec_lo, s25
	s_and_saveexec_b32 s24, s7
	s_cbranch_execz .LBB6_6376
.LBB6_6375:                             ;   in Loop: Header=BB6_5432 Depth=2
	v_and_b32_e32 v35, 7, v22
	v_bfe_u32 v179, v22, 3, 4
	v_lshlrev_b32_e32 v180, 24, v22
	s_delay_alu instid0(VALU_DEP_3) | instskip(NEXT) | instid1(VALU_DEP_3)
	v_clz_i32_u32_e32 v177, v35
	v_cmp_eq_u32_e32 vcc_lo, 0, v179
	s_delay_alu instid0(VALU_DEP_2) | instskip(NEXT) | instid1(VALU_DEP_1)
	v_min_u32_e32 v177, 32, v177
	v_subrev_nc_u32_e32 v178, 28, v177
	v_sub_nc_u32_e32 v177, 29, v177
	s_delay_alu instid0(VALU_DEP_1) | instskip(NEXT) | instid1(VALU_DEP_1)
	v_dual_cndmask_b32 v177, v179, v177 :: v_dual_lshlrev_b32 v178, v178, v22
	v_and_b32_e32 v178, 7, v178
	s_delay_alu instid0(VALU_DEP_2) | instskip(NEXT) | instid1(VALU_DEP_2)
	v_lshl_add_u32 v177, v177, 23, 0x3b800000
	v_dual_cndmask_b32 v35, v35, v178 :: v_dual_and_b32 v178, 0x80000000, v180
	s_delay_alu instid0(VALU_DEP_1) | instskip(NEXT) | instid1(VALU_DEP_1)
	v_lshlrev_b32_e32 v35, 20, v35
	v_or3_b32 v35, v178, v177, v35
.LBB6_6376:                             ;   in Loop: Header=BB6_5432 Depth=2
	s_or_b32 exec_lo, exec_lo, s24
	s_waitcnt vmcnt(1)
	v_and_b32_e32 v178, 0xff, v18
	s_mov_b32 s7, 0
	s_mov_b32 s25, exec_lo
                                        ; implicit-def: $sgpr24
	s_delay_alu instid0(VALU_DEP_1)
	v_cmpx_lt_i16_e64 0x7f, v178
	s_xor_b32 s25, exec_lo, s25
	s_cbranch_execnz .LBB6_7810
; %bb.6377:                             ;   in Loop: Header=BB6_5432 Depth=2
	s_or_saveexec_b32 s25, s25
	v_mov_b32_e32 v177, s24
	s_xor_b32 exec_lo, exec_lo, s25
	s_cbranch_execnz .LBB6_7813
.LBB6_6378:                             ;   in Loop: Header=BB6_5432 Depth=2
	s_or_b32 exec_lo, exec_lo, s25
	s_and_saveexec_b32 s24, s7
	s_cbranch_execz .LBB6_6380
.LBB6_6379:                             ;   in Loop: Header=BB6_5432 Depth=2
	v_and_b32_e32 v177, 7, v18
	v_bfe_u32 v180, v18, 3, 4
	v_lshlrev_b32_e32 v181, 24, v18
	s_delay_alu instid0(VALU_DEP_3) | instskip(NEXT) | instid1(VALU_DEP_3)
	v_clz_i32_u32_e32 v178, v177
	v_cmp_eq_u32_e32 vcc_lo, 0, v180
	s_delay_alu instid0(VALU_DEP_2) | instskip(NEXT) | instid1(VALU_DEP_1)
	v_min_u32_e32 v178, 32, v178
	v_subrev_nc_u32_e32 v179, 28, v178
	v_sub_nc_u32_e32 v178, 29, v178
	s_delay_alu instid0(VALU_DEP_2) | instskip(NEXT) | instid1(VALU_DEP_1)
	v_lshlrev_b32_e32 v179, v179, v18
	v_dual_cndmask_b32 v178, v180, v178 :: v_dual_and_b32 v179, 7, v179
	s_delay_alu instid0(VALU_DEP_1) | instskip(NEXT) | instid1(VALU_DEP_2)
	v_lshl_add_u32 v178, v178, 23, 0x3b800000
	v_cndmask_b32_e32 v177, v177, v179, vcc_lo
	v_and_b32_e32 v179, 0x80000000, v181
	s_delay_alu instid0(VALU_DEP_2) | instskip(NEXT) | instid1(VALU_DEP_1)
	v_lshlrev_b32_e32 v177, 20, v177
	v_or3_b32 v177, v179, v178, v177
.LBB6_6380:                             ;   in Loop: Header=BB6_5432 Depth=2
	s_or_b32 exec_lo, exec_lo, s24
	s_delay_alu instid0(VALU_DEP_1) | instskip(SKIP_1) | instid1(VALU_DEP_1)
	v_max_f32_e32 v177, v177, v177
	v_max_f32_e32 v35, v35, v35
	v_min_f32_e32 v177, v35, v177
.LBB6_6381:                             ;   in Loop: Header=BB6_5432 Depth=2
	s_delay_alu instid0(VALU_DEP_1) | instskip(NEXT) | instid1(VALU_DEP_1)
	v_and_b32_e32 v35, 0x7f800000, v177
	v_cmp_ne_u32_e32 vcc_lo, 0x7f800000, v35
	v_mov_b32_e32 v35, 0x80
	s_and_saveexec_b32 s24, vcc_lo
	s_cbranch_execz .LBB6_6389
; %bb.6382:                             ;   in Loop: Header=BB6_5432 Depth=2
	v_mov_b32_e32 v35, 0
	s_mov_b32 s25, exec_lo
	v_cmpx_ne_u32_e32 0, v177
	s_cbranch_execz .LBB6_6388
; %bb.6383:                             ;   in Loop: Header=BB6_5432 Depth=2
	v_bfe_u32 v35, v177, 23, 8
	s_delay_alu instid0(VALU_DEP_1) | instskip(SKIP_1) | instid1(VALU_DEP_2)
	v_sub_nc_u32_e32 v179, 0x78, v35
	v_cmp_gt_u32_e32 vcc_lo, 0x79, v35
	v_dual_cndmask_b32 v179, 0, v179 :: v_dual_and_b32 v178, 0x7fffff, v177
	s_delay_alu instid0(VALU_DEP_1) | instskip(SKIP_2) | instid1(VALU_DEP_4)
	v_or_b32_e32 v180, 0x800000, v178
	v_cmp_eq_u32_e32 vcc_lo, 0, v35
	v_add_nc_u32_e32 v35, 0xffffff89, v35
	v_cndmask_b32_e64 v179, v179, 0x77, vcc_lo
	s_delay_alu instid0(VALU_DEP_4) | instskip(NEXT) | instid1(VALU_DEP_3)
	v_cndmask_b32_e32 v178, v180, v178, vcc_lo
	v_cndmask_b32_e64 v35, v35, 0xffffff8a, vcc_lo
	s_delay_alu instid0(VALU_DEP_3) | instskip(NEXT) | instid1(VALU_DEP_3)
	v_lshl_add_u32 v180, 0x100000, v179, -1
	v_lshrrev_b32_e32 v181, v179, v178
	v_lshlrev_b32_e64 v183, v179, 0x80000
	s_delay_alu instid0(VALU_DEP_4) | instskip(NEXT) | instid1(VALU_DEP_4)
	v_add_nc_u32_e32 v179, v179, v35
	v_and_b32_e32 v178, v180, v178
	s_delay_alu instid0(VALU_DEP_4) | instskip(NEXT) | instid1(VALU_DEP_2)
	v_bfe_u32 v182, v181, 20, 1
	v_cmp_eq_u32_e64 s7, v178, v183
	s_delay_alu instid0(VALU_DEP_2) | instskip(NEXT) | instid1(VALU_DEP_1)
	v_add_nc_u32_e32 v180, -1, v182
	v_cndmask_b32_e64 v178, 0, v180, s7
	v_lshrrev_b32_e32 v180, 23, v181
	s_mov_b32 s7, exec_lo
	s_delay_alu instid0(VALU_DEP_2) | instskip(NEXT) | instid1(VALU_DEP_2)
	v_add_nc_u32_e32 v178, v178, v181
	v_xor_b32_e32 v180, 1, v180
	s_delay_alu instid0(VALU_DEP_2) | instskip(NEXT) | instid1(VALU_DEP_1)
	v_and_b32_e32 v35, 0xfffff, v178
	v_add_nc_u32_e32 v178, v35, v181
                                        ; implicit-def: $vgpr35
	s_delay_alu instid0(VALU_DEP_3)
	v_cmpx_ne_u32_e64 v179, v180
	s_xor_b32 s7, exec_lo, s7
; %bb.6384:                             ;   in Loop: Header=BB6_5432 Depth=2
	s_delay_alu instid0(VALU_DEP_2) | instskip(SKIP_2) | instid1(VALU_DEP_2)
	v_cmp_lt_u32_e32 vcc_lo, 0xffffff, v178
	v_sub_nc_u32_e32 v35, v179, v180
	v_cndmask_b32_e64 v179, 0, 1, vcc_lo
	v_add_co_ci_u32_e32 v35, vcc_lo, 0, v35, vcc_lo
	s_delay_alu instid0(VALU_DEP_2)
	v_lshrrev_b32_e32 v178, v179, v178
; %bb.6385:                             ;   in Loop: Header=BB6_5432 Depth=2
	s_and_not1_saveexec_b32 s7, s7
; %bb.6386:                             ;   in Loop: Header=BB6_5432 Depth=2
	s_delay_alu instid0(VALU_DEP_1)
	v_bfe_u32 v35, v178, 23, 1
; %bb.6387:                             ;   in Loop: Header=BB6_5432 Depth=2
	s_or_b32 exec_lo, exec_lo, s7
	v_lshrrev_b32_e32 v178, 20, v178
	s_delay_alu instid0(VALU_DEP_2) | instskip(SKIP_2) | instid1(VALU_DEP_2)
	v_cmp_gt_i32_e32 vcc_lo, 16, v35
	v_lshrrev_b32_e32 v177, 24, v177
	v_min_i32_e32 v179, 15, v35
	v_dual_cndmask_b32 v178, 7, v178 :: v_dual_and_b32 v177, 0x80, v177
	s_delay_alu instid0(VALU_DEP_2) | instskip(NEXT) | instid1(VALU_DEP_2)
	v_lshlrev_b32_e32 v179, 3, v179
	v_or_b32_e32 v35, v35, v178
	s_delay_alu instid0(VALU_DEP_1) | instskip(SKIP_1) | instid1(VALU_DEP_1)
	v_cmp_ne_u32_e32 vcc_lo, 0, v35
	v_and_b32_e32 v180, 7, v178
	v_or3_b32 v177, v179, v177, v180
	s_delay_alu instid0(VALU_DEP_1)
	v_cndmask_b32_e32 v35, 0, v177, vcc_lo
.LBB6_6388:                             ;   in Loop: Header=BB6_5432 Depth=2
	s_or_b32 exec_lo, exec_lo, s25
.LBB6_6389:                             ;   in Loop: Header=BB6_5432 Depth=2
	s_delay_alu instid0(SALU_CYCLE_1)
	s_or_b32 exec_lo, exec_lo, s24
	v_lshrrev_b16 v178, 8, v22
	s_waitcnt vmcnt(1)
	v_lshrrev_b16 v177, 8, v18
	s_and_not1_b32 vcc_lo, exec_lo, s23
	s_cbranch_vccnz .LBB6_6399
; %bb.6390:                             ;   in Loop: Header=BB6_5432 Depth=2
	s_mov_b32 s7, 0
	s_mov_b32 s25, exec_lo
                                        ; implicit-def: $sgpr24
	v_cmpx_lt_i16_e64 0x7f, v178
	s_xor_b32 s25, exec_lo, s25
	s_cbranch_execnz .LBB6_7814
; %bb.6391:                             ;   in Loop: Header=BB6_5432 Depth=2
	s_or_saveexec_b32 s25, s25
	v_mov_b32_e32 v179, s24
	s_xor_b32 exec_lo, exec_lo, s25
	s_cbranch_execnz .LBB6_7817
.LBB6_6392:                             ;   in Loop: Header=BB6_5432 Depth=2
	s_or_b32 exec_lo, exec_lo, s25
	s_and_saveexec_b32 s24, s7
	s_cbranch_execz .LBB6_6394
.LBB6_6393:                             ;   in Loop: Header=BB6_5432 Depth=2
	v_and_b32_e32 v179, 0xffff, v178
	v_lshlrev_b32_e32 v183, 16, v22
	s_delay_alu instid0(VALU_DEP_2) | instskip(NEXT) | instid1(VALU_DEP_1)
	v_and_b32_e32 v180, 7, v179
	v_clz_i32_u32_e32 v181, v180
	s_delay_alu instid0(VALU_DEP_1) | instskip(NEXT) | instid1(VALU_DEP_1)
	v_min_u32_e32 v181, 32, v181
	v_subrev_nc_u32_e32 v182, 28, v181
	v_sub_nc_u32_e32 v181, 29, v181
	s_delay_alu instid0(VALU_DEP_2) | instskip(SKIP_1) | instid1(VALU_DEP_2)
	v_lshlrev_b32_e32 v182, v182, v179
	v_bfe_u32 v179, v179, 3, 4
	v_and_b32_e32 v182, 7, v182
	s_delay_alu instid0(VALU_DEP_2) | instskip(NEXT) | instid1(VALU_DEP_2)
	v_cmp_eq_u32_e32 vcc_lo, 0, v179
	v_dual_cndmask_b32 v179, v179, v181 :: v_dual_cndmask_b32 v180, v180, v182
	v_and_b32_e32 v181, 0x80000000, v183
	s_delay_alu instid0(VALU_DEP_2) | instskip(NEXT) | instid1(VALU_DEP_3)
	v_lshl_add_u32 v179, v179, 23, 0x3b800000
	v_lshlrev_b32_e32 v180, 20, v180
	s_delay_alu instid0(VALU_DEP_1)
	v_or3_b32 v179, v181, v179, v180
.LBB6_6394:                             ;   in Loop: Header=BB6_5432 Depth=2
	s_or_b32 exec_lo, exec_lo, s24
	s_mov_b32 s7, 0
	s_mov_b32 s25, exec_lo
                                        ; implicit-def: $sgpr24
	v_cmpx_lt_i16_e64 0x7f, v177
	s_xor_b32 s25, exec_lo, s25
	s_cbranch_execnz .LBB6_7818
; %bb.6395:                             ;   in Loop: Header=BB6_5432 Depth=2
	s_or_saveexec_b32 s25, s25
	v_mov_b32_e32 v180, s24
	s_xor_b32 exec_lo, exec_lo, s25
	s_cbranch_execnz .LBB6_7821
.LBB6_6396:                             ;   in Loop: Header=BB6_5432 Depth=2
	s_or_b32 exec_lo, exec_lo, s25
	s_and_saveexec_b32 s24, s7
	s_cbranch_execz .LBB6_6398
.LBB6_6397:                             ;   in Loop: Header=BB6_5432 Depth=2
	v_and_b32_e32 v180, 0xffff, v177
	v_lshlrev_b32_e32 v40, 16, v18
	s_delay_alu instid0(VALU_DEP_2) | instskip(NEXT) | instid1(VALU_DEP_1)
	v_and_b32_e32 v181, 7, v180
	v_clz_i32_u32_e32 v182, v181
	s_delay_alu instid0(VALU_DEP_1) | instskip(NEXT) | instid1(VALU_DEP_1)
	v_min_u32_e32 v182, 32, v182
	v_subrev_nc_u32_e32 v183, 28, v182
	v_sub_nc_u32_e32 v182, 29, v182
	s_delay_alu instid0(VALU_DEP_2) | instskip(SKIP_1) | instid1(VALU_DEP_2)
	v_lshlrev_b32_e32 v183, v183, v180
	v_bfe_u32 v180, v180, 3, 4
	v_and_b32_e32 v183, 7, v183
	s_delay_alu instid0(VALU_DEP_2) | instskip(NEXT) | instid1(VALU_DEP_2)
	v_cmp_eq_u32_e32 vcc_lo, 0, v180
	v_dual_cndmask_b32 v180, v180, v182 :: v_dual_cndmask_b32 v181, v181, v183
	v_and_b32_e32 v182, 0x80000000, v40
	s_delay_alu instid0(VALU_DEP_2) | instskip(NEXT) | instid1(VALU_DEP_3)
	v_lshl_add_u32 v180, v180, 23, 0x3b800000
	v_lshlrev_b32_e32 v181, 20, v181
	s_delay_alu instid0(VALU_DEP_1)
	v_or3_b32 v180, v182, v180, v181
.LBB6_6398:                             ;   in Loop: Header=BB6_5432 Depth=2
	s_or_b32 exec_lo, exec_lo, s24
	s_delay_alu instid0(VALU_DEP_1) | instskip(SKIP_1) | instid1(VALU_DEP_1)
	v_dual_max_f32 v180, v180, v180 :: v_dual_max_f32 v179, v179, v179
	s_mov_b32 s7, 0
	v_max_f32_e32 v179, v179, v180
	s_branch .LBB6_6400
.LBB6_6399:                             ;   in Loop: Header=BB6_5432 Depth=2
	s_mov_b32 s7, -1
                                        ; implicit-def: $vgpr179
.LBB6_6400:                             ;   in Loop: Header=BB6_5432 Depth=2
	s_delay_alu instid0(SALU_CYCLE_1)
	s_and_b32 vcc_lo, exec_lo, s7
	s_cbranch_vccz .LBB6_6410
; %bb.6401:                             ;   in Loop: Header=BB6_5432 Depth=2
	s_mov_b32 s7, 0
	s_mov_b32 s25, exec_lo
                                        ; implicit-def: $sgpr24
	v_cmpx_lt_i16_e64 0x7f, v178
	s_xor_b32 s25, exec_lo, s25
	s_cbranch_execnz .LBB6_7822
; %bb.6402:                             ;   in Loop: Header=BB6_5432 Depth=2
	s_or_saveexec_b32 s25, s25
	v_mov_b32_e32 v179, s24
	s_xor_b32 exec_lo, exec_lo, s25
	s_cbranch_execnz .LBB6_7825
.LBB6_6403:                             ;   in Loop: Header=BB6_5432 Depth=2
	s_or_b32 exec_lo, exec_lo, s25
	s_and_saveexec_b32 s24, s7
	s_cbranch_execz .LBB6_6405
.LBB6_6404:                             ;   in Loop: Header=BB6_5432 Depth=2
	v_and_b32_e32 v178, 0xffff, v178
	v_lshlrev_b32_e32 v182, 16, v22
	s_delay_alu instid0(VALU_DEP_2) | instskip(NEXT) | instid1(VALU_DEP_1)
	v_and_b32_e32 v179, 7, v178
	v_clz_i32_u32_e32 v180, v179
	s_delay_alu instid0(VALU_DEP_1) | instskip(NEXT) | instid1(VALU_DEP_1)
	v_min_u32_e32 v180, 32, v180
	v_subrev_nc_u32_e32 v181, 28, v180
	v_sub_nc_u32_e32 v180, 29, v180
	s_delay_alu instid0(VALU_DEP_2) | instskip(SKIP_1) | instid1(VALU_DEP_2)
	v_lshlrev_b32_e32 v181, v181, v178
	v_bfe_u32 v178, v178, 3, 4
	v_and_b32_e32 v181, 7, v181
	s_delay_alu instid0(VALU_DEP_2) | instskip(NEXT) | instid1(VALU_DEP_2)
	v_cmp_eq_u32_e32 vcc_lo, 0, v178
	v_dual_cndmask_b32 v178, v178, v180 :: v_dual_cndmask_b32 v179, v179, v181
	v_and_b32_e32 v180, 0x80000000, v182
	s_delay_alu instid0(VALU_DEP_2) | instskip(NEXT) | instid1(VALU_DEP_3)
	v_lshl_add_u32 v178, v178, 23, 0x3b800000
	v_lshlrev_b32_e32 v179, 20, v179
	s_delay_alu instid0(VALU_DEP_1)
	v_or3_b32 v179, v180, v178, v179
.LBB6_6405:                             ;   in Loop: Header=BB6_5432 Depth=2
	s_or_b32 exec_lo, exec_lo, s24
	s_mov_b32 s7, 0
	s_mov_b32 s25, exec_lo
                                        ; implicit-def: $sgpr24
	v_cmpx_lt_i16_e64 0x7f, v177
	s_xor_b32 s25, exec_lo, s25
	s_cbranch_execnz .LBB6_7826
; %bb.6406:                             ;   in Loop: Header=BB6_5432 Depth=2
	s_or_saveexec_b32 s25, s25
	v_mov_b32_e32 v178, s24
	s_xor_b32 exec_lo, exec_lo, s25
	s_cbranch_execnz .LBB6_7829
.LBB6_6407:                             ;   in Loop: Header=BB6_5432 Depth=2
	s_or_b32 exec_lo, exec_lo, s25
	s_and_saveexec_b32 s24, s7
	s_cbranch_execz .LBB6_6409
.LBB6_6408:                             ;   in Loop: Header=BB6_5432 Depth=2
	v_and_b32_e32 v177, 0xffff, v177
	v_lshlrev_b32_e32 v182, 16, v18
	s_delay_alu instid0(VALU_DEP_2) | instskip(NEXT) | instid1(VALU_DEP_1)
	v_and_b32_e32 v178, 7, v177
	v_clz_i32_u32_e32 v180, v178
	s_delay_alu instid0(VALU_DEP_1) | instskip(NEXT) | instid1(VALU_DEP_1)
	v_min_u32_e32 v180, 32, v180
	v_subrev_nc_u32_e32 v181, 28, v180
	v_sub_nc_u32_e32 v180, 29, v180
	s_delay_alu instid0(VALU_DEP_2) | instskip(SKIP_1) | instid1(VALU_DEP_2)
	v_lshlrev_b32_e32 v181, v181, v177
	v_bfe_u32 v177, v177, 3, 4
	v_and_b32_e32 v181, 7, v181
	s_delay_alu instid0(VALU_DEP_2) | instskip(NEXT) | instid1(VALU_DEP_2)
	v_cmp_eq_u32_e32 vcc_lo, 0, v177
	v_dual_cndmask_b32 v177, v177, v180 :: v_dual_cndmask_b32 v178, v178, v181
	v_and_b32_e32 v180, 0x80000000, v182
	s_delay_alu instid0(VALU_DEP_2) | instskip(NEXT) | instid1(VALU_DEP_3)
	v_lshl_add_u32 v177, v177, 23, 0x3b800000
	v_lshlrev_b32_e32 v178, 20, v178
	s_delay_alu instid0(VALU_DEP_1)
	v_or3_b32 v178, v180, v177, v178
.LBB6_6409:                             ;   in Loop: Header=BB6_5432 Depth=2
	s_or_b32 exec_lo, exec_lo, s24
	s_delay_alu instid0(VALU_DEP_1) | instskip(NEXT) | instid1(VALU_DEP_1)
	v_dual_max_f32 v177, v178, v178 :: v_dual_max_f32 v178, v179, v179
	v_min_f32_e32 v179, v178, v177
.LBB6_6410:                             ;   in Loop: Header=BB6_5432 Depth=2
	s_delay_alu instid0(VALU_DEP_1) | instskip(NEXT) | instid1(VALU_DEP_1)
	v_and_b32_e32 v177, 0x7f800000, v179
	v_cmp_ne_u32_e32 vcc_lo, 0x7f800000, v177
	v_mov_b32_e32 v177, 0x80
	s_and_saveexec_b32 s24, vcc_lo
	s_cbranch_execz .LBB6_6418
; %bb.6411:                             ;   in Loop: Header=BB6_5432 Depth=2
	v_mov_b32_e32 v177, 0
	s_mov_b32 s25, exec_lo
	v_cmpx_ne_u32_e32 0, v179
	s_cbranch_execz .LBB6_6417
; %bb.6412:                             ;   in Loop: Header=BB6_5432 Depth=2
	v_bfe_u32 v177, v179, 23, 8
	v_and_b32_e32 v178, 0x7fffff, v179
	s_delay_alu instid0(VALU_DEP_2) | instskip(SKIP_1) | instid1(VALU_DEP_3)
	v_sub_nc_u32_e32 v180, 0x78, v177
	v_cmp_gt_u32_e32 vcc_lo, 0x79, v177
	v_or_b32_e32 v181, 0x800000, v178
	s_delay_alu instid0(VALU_DEP_3) | instskip(SKIP_2) | instid1(VALU_DEP_3)
	v_cndmask_b32_e32 v180, 0, v180, vcc_lo
	v_cmp_eq_u32_e32 vcc_lo, 0, v177
	v_add_nc_u32_e32 v177, 0xffffff89, v177
	v_cndmask_b32_e64 v180, v180, 0x77, vcc_lo
	v_cndmask_b32_e32 v178, v181, v178, vcc_lo
	s_delay_alu instid0(VALU_DEP_3) | instskip(NEXT) | instid1(VALU_DEP_3)
	v_cndmask_b32_e64 v177, v177, 0xffffff8a, vcc_lo
	v_lshl_add_u32 v181, 0x100000, v180, -1
	s_delay_alu instid0(VALU_DEP_3) | instskip(SKIP_1) | instid1(VALU_DEP_4)
	v_lshrrev_b32_e32 v182, v180, v178
	v_lshlrev_b32_e64 v40, v180, 0x80000
	v_add_nc_u32_e32 v180, v180, v177
	s_delay_alu instid0(VALU_DEP_4) | instskip(NEXT) | instid1(VALU_DEP_4)
	v_and_b32_e32 v178, v181, v178
	v_bfe_u32 v183, v182, 20, 1
	s_delay_alu instid0(VALU_DEP_2) | instskip(NEXT) | instid1(VALU_DEP_2)
	v_cmp_eq_u32_e64 s7, v178, v40
	v_add_nc_u32_e32 v181, -1, v183
	s_delay_alu instid0(VALU_DEP_1) | instskip(SKIP_2) | instid1(VALU_DEP_2)
	v_cndmask_b32_e64 v178, 0, v181, s7
	v_lshrrev_b32_e32 v181, 23, v182
	s_mov_b32 s7, exec_lo
	v_add_nc_u32_e32 v178, v178, v182
	s_delay_alu instid0(VALU_DEP_2) | instskip(NEXT) | instid1(VALU_DEP_2)
	v_xor_b32_e32 v181, 1, v181
	v_and_b32_e32 v177, 0xfffff, v178
	s_delay_alu instid0(VALU_DEP_1) | instskip(NEXT) | instid1(VALU_DEP_3)
	v_add_nc_u32_e32 v178, v177, v182
                                        ; implicit-def: $vgpr177
	v_cmpx_ne_u32_e64 v180, v181
	s_xor_b32 s7, exec_lo, s7
; %bb.6413:                             ;   in Loop: Header=BB6_5432 Depth=2
	s_delay_alu instid0(VALU_DEP_2) | instskip(SKIP_2) | instid1(VALU_DEP_2)
	v_cmp_lt_u32_e32 vcc_lo, 0xffffff, v178
	v_sub_nc_u32_e32 v177, v180, v181
	v_cndmask_b32_e64 v180, 0, 1, vcc_lo
	v_add_co_ci_u32_e32 v177, vcc_lo, 0, v177, vcc_lo
	s_delay_alu instid0(VALU_DEP_2)
	v_lshrrev_b32_e32 v178, v180, v178
; %bb.6414:                             ;   in Loop: Header=BB6_5432 Depth=2
	s_and_not1_saveexec_b32 s7, s7
; %bb.6415:                             ;   in Loop: Header=BB6_5432 Depth=2
	s_delay_alu instid0(VALU_DEP_1)
	v_bfe_u32 v177, v178, 23, 1
; %bb.6416:                             ;   in Loop: Header=BB6_5432 Depth=2
	s_or_b32 exec_lo, exec_lo, s7
	v_lshrrev_b32_e32 v178, 20, v178
	s_delay_alu instid0(VALU_DEP_2) | instskip(SKIP_2) | instid1(VALU_DEP_2)
	v_cmp_gt_i32_e32 vcc_lo, 16, v177
	v_lshrrev_b32_e32 v179, 24, v179
	v_min_i32_e32 v180, 15, v177
	v_dual_cndmask_b32 v178, 7, v178 :: v_dual_and_b32 v179, 0x80, v179
	s_delay_alu instid0(VALU_DEP_1) | instskip(SKIP_1) | instid1(VALU_DEP_2)
	v_or_b32_e32 v177, v177, v178
	v_and_b32_e32 v181, 7, v178
	v_cmp_ne_u32_e32 vcc_lo, 0, v177
	v_lshlrev_b32_e32 v180, 3, v180
	s_delay_alu instid0(VALU_DEP_1) | instskip(NEXT) | instid1(VALU_DEP_1)
	v_or3_b32 v178, v180, v179, v181
	v_cndmask_b32_e32 v177, 0, v178, vcc_lo
.LBB6_6417:                             ;   in Loop: Header=BB6_5432 Depth=2
	s_or_b32 exec_lo, exec_lo, s25
.LBB6_6418:                             ;   in Loop: Header=BB6_5432 Depth=2
	s_delay_alu instid0(SALU_CYCLE_1)
	s_or_b32 exec_lo, exec_lo, s24
	v_lshrrev_b32_e32 v179, 16, v22
	v_lshrrev_b32_e32 v178, 16, v18
	s_and_not1_b32 vcc_lo, exec_lo, s23
	s_cbranch_vccnz .LBB6_6428
; %bb.6419:                             ;   in Loop: Header=BB6_5432 Depth=2
	s_delay_alu instid0(VALU_DEP_2) | instskip(SKIP_2) | instid1(VALU_DEP_1)
	v_and_b32_e32 v181, 0xff, v179
	s_mov_b32 s7, 0
	s_mov_b32 s25, exec_lo
                                        ; implicit-def: $sgpr24
	v_cmpx_lt_i16_e64 0x7f, v181
	s_xor_b32 s25, exec_lo, s25
	s_cbranch_execnz .LBB6_7830
; %bb.6420:                             ;   in Loop: Header=BB6_5432 Depth=2
	s_or_saveexec_b32 s25, s25
	v_mov_b32_e32 v180, s24
	s_xor_b32 exec_lo, exec_lo, s25
	s_cbranch_execnz .LBB6_7833
.LBB6_6421:                             ;   in Loop: Header=BB6_5432 Depth=2
	s_or_b32 exec_lo, exec_lo, s25
	s_and_saveexec_b32 s24, s7
	s_cbranch_execz .LBB6_6423
.LBB6_6422:                             ;   in Loop: Header=BB6_5432 Depth=2
	v_bfe_u32 v180, v22, 16, 3
	v_bfe_u32 v183, v22, 19, 4
	v_lshlrev_b32_e32 v40, 24, v179
	s_delay_alu instid0(VALU_DEP_3) | instskip(NEXT) | instid1(VALU_DEP_3)
	v_clz_i32_u32_e32 v181, v180
	v_cmp_eq_u32_e32 vcc_lo, 0, v183
	s_delay_alu instid0(VALU_DEP_2) | instskip(NEXT) | instid1(VALU_DEP_1)
	v_min_u32_e32 v181, 32, v181
	v_subrev_nc_u32_e32 v182, 28, v181
	v_sub_nc_u32_e32 v181, 29, v181
	s_delay_alu instid0(VALU_DEP_1) | instskip(NEXT) | instid1(VALU_DEP_1)
	v_dual_cndmask_b32 v181, v183, v181 :: v_dual_lshlrev_b32 v182, v182, v179
	v_and_b32_e32 v182, 7, v182
	s_delay_alu instid0(VALU_DEP_2) | instskip(NEXT) | instid1(VALU_DEP_2)
	v_lshl_add_u32 v181, v181, 23, 0x3b800000
	v_cndmask_b32_e32 v180, v180, v182, vcc_lo
	v_and_b32_e32 v182, 0x80000000, v40
	s_delay_alu instid0(VALU_DEP_2) | instskip(NEXT) | instid1(VALU_DEP_1)
	v_lshlrev_b32_e32 v180, 20, v180
	v_or3_b32 v180, v182, v181, v180
.LBB6_6423:                             ;   in Loop: Header=BB6_5432 Depth=2
	s_or_b32 exec_lo, exec_lo, s24
	v_and_b32_e32 v182, 0xff, v178
	s_mov_b32 s7, 0
	s_mov_b32 s25, exec_lo
                                        ; implicit-def: $sgpr24
	s_delay_alu instid0(VALU_DEP_1)
	v_cmpx_lt_i16_e64 0x7f, v182
	s_xor_b32 s25, exec_lo, s25
	s_cbranch_execnz .LBB6_7834
; %bb.6424:                             ;   in Loop: Header=BB6_5432 Depth=2
	s_or_saveexec_b32 s25, s25
	v_mov_b32_e32 v181, s24
	s_xor_b32 exec_lo, exec_lo, s25
	s_cbranch_execnz .LBB6_7837
.LBB6_6425:                             ;   in Loop: Header=BB6_5432 Depth=2
	s_or_b32 exec_lo, exec_lo, s25
	s_and_saveexec_b32 s24, s7
	s_cbranch_execz .LBB6_6427
.LBB6_6426:                             ;   in Loop: Header=BB6_5432 Depth=2
	v_bfe_u32 v181, v18, 16, 3
	v_bfe_u32 v40, v18, 19, 4
	v_lshlrev_b32_e32 v41, 24, v178
	s_delay_alu instid0(VALU_DEP_3) | instskip(NEXT) | instid1(VALU_DEP_3)
	v_clz_i32_u32_e32 v182, v181
	v_cmp_eq_u32_e32 vcc_lo, 0, v40
	s_delay_alu instid0(VALU_DEP_2) | instskip(NEXT) | instid1(VALU_DEP_1)
	v_min_u32_e32 v182, 32, v182
	v_subrev_nc_u32_e32 v183, 28, v182
	v_sub_nc_u32_e32 v182, 29, v182
	s_delay_alu instid0(VALU_DEP_2) | instskip(NEXT) | instid1(VALU_DEP_1)
	v_lshlrev_b32_e32 v183, v183, v178
	v_dual_cndmask_b32 v182, v40, v182 :: v_dual_and_b32 v183, 7, v183
	s_delay_alu instid0(VALU_DEP_1) | instskip(NEXT) | instid1(VALU_DEP_2)
	v_lshl_add_u32 v182, v182, 23, 0x3b800000
	v_cndmask_b32_e32 v181, v181, v183, vcc_lo
	v_and_b32_e32 v183, 0x80000000, v41
	s_delay_alu instid0(VALU_DEP_2) | instskip(NEXT) | instid1(VALU_DEP_1)
	v_lshlrev_b32_e32 v181, 20, v181
	v_or3_b32 v181, v183, v182, v181
.LBB6_6427:                             ;   in Loop: Header=BB6_5432 Depth=2
	s_or_b32 exec_lo, exec_lo, s24
	s_delay_alu instid0(VALU_DEP_1) | instskip(SKIP_1) | instid1(VALU_DEP_1)
	v_dual_max_f32 v181, v181, v181 :: v_dual_max_f32 v180, v180, v180
	s_mov_b32 s7, 0
	v_max_f32_e32 v180, v180, v181
	s_branch .LBB6_6429
.LBB6_6428:                             ;   in Loop: Header=BB6_5432 Depth=2
	s_mov_b32 s7, -1
                                        ; implicit-def: $vgpr180
.LBB6_6429:                             ;   in Loop: Header=BB6_5432 Depth=2
	s_delay_alu instid0(SALU_CYCLE_1)
	s_and_b32 vcc_lo, exec_lo, s7
	s_cbranch_vccz .LBB6_6439
; %bb.6430:                             ;   in Loop: Header=BB6_5432 Depth=2
	v_and_b32_e32 v181, 0xff, v179
	s_mov_b32 s7, 0
	s_mov_b32 s25, exec_lo
                                        ; implicit-def: $sgpr24
	s_delay_alu instid0(VALU_DEP_1)
	v_cmpx_lt_i16_e64 0x7f, v181
	s_xor_b32 s25, exec_lo, s25
	s_cbranch_execnz .LBB6_7838
; %bb.6431:                             ;   in Loop: Header=BB6_5432 Depth=2
	s_or_saveexec_b32 s25, s25
	v_mov_b32_e32 v180, s24
	s_xor_b32 exec_lo, exec_lo, s25
	s_cbranch_execnz .LBB6_7841
.LBB6_6432:                             ;   in Loop: Header=BB6_5432 Depth=2
	s_or_b32 exec_lo, exec_lo, s25
	s_and_saveexec_b32 s24, s7
	s_cbranch_execz .LBB6_6434
.LBB6_6433:                             ;   in Loop: Header=BB6_5432 Depth=2
	v_bfe_u32 v180, v22, 16, 3
	v_bfe_u32 v183, v22, 19, 4
	s_delay_alu instid0(VALU_DEP_2) | instskip(NEXT) | instid1(VALU_DEP_2)
	v_clz_i32_u32_e32 v181, v180
	v_cmp_eq_u32_e32 vcc_lo, 0, v183
	s_delay_alu instid0(VALU_DEP_2) | instskip(NEXT) | instid1(VALU_DEP_1)
	v_min_u32_e32 v181, 32, v181
	v_subrev_nc_u32_e32 v182, 28, v181
	v_sub_nc_u32_e32 v181, 29, v181
	s_delay_alu instid0(VALU_DEP_1) | instskip(NEXT) | instid1(VALU_DEP_1)
	v_dual_cndmask_b32 v181, v183, v181 :: v_dual_lshlrev_b32 v182, v182, v179
	v_and_b32_e32 v182, 7, v182
	v_lshlrev_b32_e32 v179, 24, v179
	s_delay_alu instid0(VALU_DEP_3) | instskip(NEXT) | instid1(VALU_DEP_2)
	v_lshl_add_u32 v181, v181, 23, 0x3b800000
	v_dual_cndmask_b32 v180, v180, v182 :: v_dual_and_b32 v179, 0x80000000, v179
	s_delay_alu instid0(VALU_DEP_1) | instskip(NEXT) | instid1(VALU_DEP_1)
	v_lshlrev_b32_e32 v180, 20, v180
	v_or3_b32 v180, v179, v181, v180
.LBB6_6434:                             ;   in Loop: Header=BB6_5432 Depth=2
	s_or_b32 exec_lo, exec_lo, s24
	v_and_b32_e32 v181, 0xff, v178
	s_mov_b32 s7, 0
	s_mov_b32 s25, exec_lo
                                        ; implicit-def: $sgpr24
	s_delay_alu instid0(VALU_DEP_1)
	v_cmpx_lt_i16_e64 0x7f, v181
	s_xor_b32 s25, exec_lo, s25
	s_cbranch_execnz .LBB6_7842
; %bb.6435:                             ;   in Loop: Header=BB6_5432 Depth=2
	s_or_saveexec_b32 s25, s25
	v_mov_b32_e32 v179, s24
	s_xor_b32 exec_lo, exec_lo, s25
	s_cbranch_execnz .LBB6_7845
.LBB6_6436:                             ;   in Loop: Header=BB6_5432 Depth=2
	s_or_b32 exec_lo, exec_lo, s25
	s_and_saveexec_b32 s24, s7
	s_cbranch_execz .LBB6_6438
.LBB6_6437:                             ;   in Loop: Header=BB6_5432 Depth=2
	v_bfe_u32 v179, v18, 16, 3
	v_bfe_u32 v183, v18, 19, 4
	s_delay_alu instid0(VALU_DEP_2) | instskip(NEXT) | instid1(VALU_DEP_2)
	v_clz_i32_u32_e32 v181, v179
	v_cmp_eq_u32_e32 vcc_lo, 0, v183
	s_delay_alu instid0(VALU_DEP_2) | instskip(NEXT) | instid1(VALU_DEP_1)
	v_min_u32_e32 v181, 32, v181
	v_subrev_nc_u32_e32 v182, 28, v181
	v_sub_nc_u32_e32 v181, 29, v181
	s_delay_alu instid0(VALU_DEP_1) | instskip(SKIP_1) | instid1(VALU_DEP_2)
	v_dual_cndmask_b32 v181, v183, v181 :: v_dual_lshlrev_b32 v182, v182, v178
	v_lshlrev_b32_e32 v178, 24, v178
	v_and_b32_e32 v182, 7, v182
	s_delay_alu instid0(VALU_DEP_3) | instskip(NEXT) | instid1(VALU_DEP_3)
	v_lshl_add_u32 v181, v181, 23, 0x3b800000
	v_and_b32_e32 v178, 0x80000000, v178
	s_delay_alu instid0(VALU_DEP_3) | instskip(NEXT) | instid1(VALU_DEP_1)
	v_cndmask_b32_e32 v179, v179, v182, vcc_lo
	v_lshlrev_b32_e32 v179, 20, v179
	s_delay_alu instid0(VALU_DEP_1)
	v_or3_b32 v179, v178, v181, v179
.LBB6_6438:                             ;   in Loop: Header=BB6_5432 Depth=2
	s_or_b32 exec_lo, exec_lo, s24
	s_delay_alu instid0(VALU_DEP_1) | instskip(NEXT) | instid1(VALU_DEP_1)
	v_dual_max_f32 v178, v179, v179 :: v_dual_max_f32 v179, v180, v180
	v_min_f32_e32 v180, v179, v178
.LBB6_6439:                             ;   in Loop: Header=BB6_5432 Depth=2
	s_delay_alu instid0(VALU_DEP_1) | instskip(NEXT) | instid1(VALU_DEP_1)
	v_and_b32_e32 v178, 0x7f800000, v180
	v_cmp_ne_u32_e32 vcc_lo, 0x7f800000, v178
	v_mov_b32_e32 v178, 0x80
	s_and_saveexec_b32 s24, vcc_lo
	s_cbranch_execz .LBB6_6447
; %bb.6440:                             ;   in Loop: Header=BB6_5432 Depth=2
	v_mov_b32_e32 v178, 0
	s_mov_b32 s25, exec_lo
	v_cmpx_ne_u32_e32 0, v180
	s_cbranch_execz .LBB6_6446
; %bb.6441:                             ;   in Loop: Header=BB6_5432 Depth=2
	v_bfe_u32 v178, v180, 23, 8
	v_and_b32_e32 v179, 0x7fffff, v180
	s_delay_alu instid0(VALU_DEP_2) | instskip(SKIP_1) | instid1(VALU_DEP_3)
	v_sub_nc_u32_e32 v181, 0x78, v178
	v_cmp_gt_u32_e32 vcc_lo, 0x79, v178
	v_or_b32_e32 v182, 0x800000, v179
	s_delay_alu instid0(VALU_DEP_3) | instskip(SKIP_2) | instid1(VALU_DEP_3)
	v_cndmask_b32_e32 v181, 0, v181, vcc_lo
	v_cmp_eq_u32_e32 vcc_lo, 0, v178
	v_add_nc_u32_e32 v178, 0xffffff89, v178
	v_cndmask_b32_e64 v181, v181, 0x77, vcc_lo
	v_cndmask_b32_e32 v179, v182, v179, vcc_lo
	s_delay_alu instid0(VALU_DEP_3) | instskip(NEXT) | instid1(VALU_DEP_3)
	v_cndmask_b32_e64 v178, v178, 0xffffff8a, vcc_lo
	v_lshl_add_u32 v182, 0x100000, v181, -1
	s_delay_alu instid0(VALU_DEP_3) | instskip(SKIP_1) | instid1(VALU_DEP_4)
	v_lshrrev_b32_e32 v183, v181, v179
	v_lshlrev_b32_e64 v41, v181, 0x80000
	v_add_nc_u32_e32 v181, v181, v178
	s_delay_alu instid0(VALU_DEP_4) | instskip(NEXT) | instid1(VALU_DEP_4)
	v_and_b32_e32 v179, v182, v179
	v_bfe_u32 v40, v183, 20, 1
	s_delay_alu instid0(VALU_DEP_2) | instskip(NEXT) | instid1(VALU_DEP_2)
	v_cmp_eq_u32_e64 s7, v179, v41
	v_add_nc_u32_e32 v182, -1, v40
	s_delay_alu instid0(VALU_DEP_1) | instskip(SKIP_2) | instid1(VALU_DEP_2)
	v_cndmask_b32_e64 v179, 0, v182, s7
	v_lshrrev_b32_e32 v182, 23, v183
	s_mov_b32 s7, exec_lo
	v_add_nc_u32_e32 v179, v179, v183
	s_delay_alu instid0(VALU_DEP_2) | instskip(NEXT) | instid1(VALU_DEP_2)
	v_xor_b32_e32 v182, 1, v182
	v_and_b32_e32 v178, 0xfffff, v179
	s_delay_alu instid0(VALU_DEP_1) | instskip(NEXT) | instid1(VALU_DEP_3)
	v_add_nc_u32_e32 v179, v178, v183
                                        ; implicit-def: $vgpr178
	v_cmpx_ne_u32_e64 v181, v182
	s_xor_b32 s7, exec_lo, s7
; %bb.6442:                             ;   in Loop: Header=BB6_5432 Depth=2
	s_delay_alu instid0(VALU_DEP_2) | instskip(SKIP_2) | instid1(VALU_DEP_2)
	v_cmp_lt_u32_e32 vcc_lo, 0xffffff, v179
	v_sub_nc_u32_e32 v178, v181, v182
	v_cndmask_b32_e64 v181, 0, 1, vcc_lo
	v_add_co_ci_u32_e32 v178, vcc_lo, 0, v178, vcc_lo
	s_delay_alu instid0(VALU_DEP_2)
	v_lshrrev_b32_e32 v179, v181, v179
; %bb.6443:                             ;   in Loop: Header=BB6_5432 Depth=2
	s_and_not1_saveexec_b32 s7, s7
; %bb.6444:                             ;   in Loop: Header=BB6_5432 Depth=2
	s_delay_alu instid0(VALU_DEP_1)
	v_bfe_u32 v178, v179, 23, 1
; %bb.6445:                             ;   in Loop: Header=BB6_5432 Depth=2
	s_or_b32 exec_lo, exec_lo, s7
	v_lshrrev_b32_e32 v179, 20, v179
	s_delay_alu instid0(VALU_DEP_2) | instskip(SKIP_2) | instid1(VALU_DEP_2)
	v_cmp_gt_i32_e32 vcc_lo, 16, v178
	v_lshrrev_b32_e32 v180, 24, v180
	v_min_i32_e32 v181, 15, v178
	v_dual_cndmask_b32 v179, 7, v179 :: v_dual_and_b32 v180, 0x80, v180
	s_delay_alu instid0(VALU_DEP_1) | instskip(SKIP_1) | instid1(VALU_DEP_2)
	v_or_b32_e32 v178, v178, v179
	v_and_b32_e32 v182, 7, v179
	v_cmp_ne_u32_e32 vcc_lo, 0, v178
	v_lshlrev_b32_e32 v181, 3, v181
	s_delay_alu instid0(VALU_DEP_1) | instskip(NEXT) | instid1(VALU_DEP_1)
	v_or3_b32 v179, v181, v180, v182
	v_cndmask_b32_e32 v178, 0, v179, vcc_lo
.LBB6_6446:                             ;   in Loop: Header=BB6_5432 Depth=2
	s_or_b32 exec_lo, exec_lo, s25
.LBB6_6447:                             ;   in Loop: Header=BB6_5432 Depth=2
	s_delay_alu instid0(SALU_CYCLE_1)
	s_or_b32 exec_lo, exec_lo, s24
	v_lshrrev_b32_e32 v180, 24, v22
	v_lshrrev_b32_e32 v179, 24, v18
	s_and_not1_b32 vcc_lo, exec_lo, s23
	s_cbranch_vccnz .LBB6_6457
; %bb.6448:                             ;   in Loop: Header=BB6_5432 Depth=2
	s_mov_b32 s7, 0
	s_mov_b32 s25, exec_lo
                                        ; implicit-def: $sgpr24
	v_cmpx_lt_i16_e64 0x7f, v180
	s_xor_b32 s25, exec_lo, s25
	s_cbranch_execnz .LBB6_7846
; %bb.6449:                             ;   in Loop: Header=BB6_5432 Depth=2
	s_or_saveexec_b32 s25, s25
	v_mov_b32_e32 v181, s24
	s_xor_b32 exec_lo, exec_lo, s25
	s_cbranch_execnz .LBB6_7849
.LBB6_6450:                             ;   in Loop: Header=BB6_5432 Depth=2
	s_or_b32 exec_lo, exec_lo, s25
	s_and_saveexec_b32 s24, s7
	s_cbranch_execz .LBB6_6452
.LBB6_6451:                             ;   in Loop: Header=BB6_5432 Depth=2
	v_bfe_u32 v181, v22, 24, 3
	v_bfe_u32 v40, v22, 27, 4
	s_delay_alu instid0(VALU_DEP_2) | instskip(NEXT) | instid1(VALU_DEP_2)
	v_clz_i32_u32_e32 v182, v181
	v_cmp_eq_u32_e32 vcc_lo, 0, v40
	s_delay_alu instid0(VALU_DEP_2) | instskip(NEXT) | instid1(VALU_DEP_1)
	v_min_u32_e32 v182, 32, v182
	v_subrev_nc_u32_e32 v183, 28, v182
	v_sub_nc_u32_e32 v182, 29, v182
	s_delay_alu instid0(VALU_DEP_1) | instskip(NEXT) | instid1(VALU_DEP_1)
	v_dual_cndmask_b32 v182, v40, v182 :: v_dual_lshlrev_b32 v183, v183, v180
	v_and_b32_e32 v183, 7, v183
	s_delay_alu instid0(VALU_DEP_2) | instskip(NEXT) | instid1(VALU_DEP_2)
	v_lshl_add_u32 v182, v182, 23, 0x3b800000
	v_cndmask_b32_e32 v181, v181, v183, vcc_lo
	v_and_b32_e32 v183, 0x80000000, v22
	s_delay_alu instid0(VALU_DEP_2) | instskip(NEXT) | instid1(VALU_DEP_1)
	v_lshlrev_b32_e32 v181, 20, v181
	v_or3_b32 v181, v183, v182, v181
.LBB6_6452:                             ;   in Loop: Header=BB6_5432 Depth=2
	s_or_b32 exec_lo, exec_lo, s24
	s_mov_b32 s7, 0
	s_mov_b32 s25, exec_lo
                                        ; implicit-def: $sgpr24
	v_cmpx_lt_i16_e64 0x7f, v179
	s_xor_b32 s25, exec_lo, s25
	s_cbranch_execnz .LBB6_7850
; %bb.6453:                             ;   in Loop: Header=BB6_5432 Depth=2
	s_or_saveexec_b32 s25, s25
	v_mov_b32_e32 v182, s24
	s_xor_b32 exec_lo, exec_lo, s25
	s_cbranch_execnz .LBB6_7853
.LBB6_6454:                             ;   in Loop: Header=BB6_5432 Depth=2
	s_or_b32 exec_lo, exec_lo, s25
	s_and_saveexec_b32 s24, s7
	s_cbranch_execz .LBB6_6456
.LBB6_6455:                             ;   in Loop: Header=BB6_5432 Depth=2
	v_bfe_u32 v182, v18, 24, 3
	v_bfe_u32 v41, v18, 27, 4
	s_delay_alu instid0(VALU_DEP_2) | instskip(NEXT) | instid1(VALU_DEP_2)
	v_clz_i32_u32_e32 v183, v182
	v_cmp_eq_u32_e32 vcc_lo, 0, v41
	s_delay_alu instid0(VALU_DEP_2) | instskip(NEXT) | instid1(VALU_DEP_1)
	v_min_u32_e32 v183, 32, v183
	v_subrev_nc_u32_e32 v40, 28, v183
	v_sub_nc_u32_e32 v183, 29, v183
	s_delay_alu instid0(VALU_DEP_2) | instskip(NEXT) | instid1(VALU_DEP_1)
	v_lshlrev_b32_e32 v40, v40, v179
	v_dual_cndmask_b32 v183, v41, v183 :: v_dual_and_b32 v40, 7, v40
	s_delay_alu instid0(VALU_DEP_1) | instskip(NEXT) | instid1(VALU_DEP_2)
	v_lshl_add_u32 v183, v183, 23, 0x3b800000
	v_cndmask_b32_e32 v182, v182, v40, vcc_lo
	v_and_b32_e32 v40, 0x80000000, v18
	s_delay_alu instid0(VALU_DEP_2) | instskip(NEXT) | instid1(VALU_DEP_1)
	v_lshlrev_b32_e32 v182, 20, v182
	v_or3_b32 v182, v40, v183, v182
.LBB6_6456:                             ;   in Loop: Header=BB6_5432 Depth=2
	s_or_b32 exec_lo, exec_lo, s24
	s_delay_alu instid0(VALU_DEP_1) | instskip(SKIP_1) | instid1(VALU_DEP_1)
	v_dual_max_f32 v182, v182, v182 :: v_dual_max_f32 v181, v181, v181
	s_mov_b32 s7, 0
	v_max_f32_e32 v181, v181, v182
	s_branch .LBB6_6458
.LBB6_6457:                             ;   in Loop: Header=BB6_5432 Depth=2
	s_mov_b32 s7, -1
                                        ; implicit-def: $vgpr181
.LBB6_6458:                             ;   in Loop: Header=BB6_5432 Depth=2
	s_delay_alu instid0(SALU_CYCLE_1)
	s_and_b32 vcc_lo, exec_lo, s7
	s_cbranch_vccz .LBB6_6468
; %bb.6459:                             ;   in Loop: Header=BB6_5432 Depth=2
	s_mov_b32 s7, 0
	s_mov_b32 s25, exec_lo
                                        ; implicit-def: $sgpr24
	v_cmpx_lt_i16_e64 0x7f, v180
	s_xor_b32 s25, exec_lo, s25
	s_cbranch_execnz .LBB6_7854
; %bb.6460:                             ;   in Loop: Header=BB6_5432 Depth=2
	s_or_saveexec_b32 s25, s25
	v_mov_b32_e32 v181, s24
	s_xor_b32 exec_lo, exec_lo, s25
	s_cbranch_execnz .LBB6_7857
.LBB6_6461:                             ;   in Loop: Header=BB6_5432 Depth=2
	s_or_b32 exec_lo, exec_lo, s25
	s_and_saveexec_b32 s24, s7
	s_cbranch_execz .LBB6_6463
.LBB6_6462:                             ;   in Loop: Header=BB6_5432 Depth=2
	v_bfe_u32 v181, v22, 24, 3
	s_delay_alu instid0(VALU_DEP_1) | instskip(NEXT) | instid1(VALU_DEP_1)
	v_clz_i32_u32_e32 v182, v181
	v_min_u32_e32 v182, 32, v182
	s_delay_alu instid0(VALU_DEP_1) | instskip(SKIP_1) | instid1(VALU_DEP_2)
	v_subrev_nc_u32_e32 v183, 28, v182
	v_sub_nc_u32_e32 v182, 29, v182
	v_lshlrev_b32_e32 v180, v183, v180
	v_bfe_u32 v183, v22, 27, 4
	v_and_b32_e32 v22, 0x80000000, v22
	s_delay_alu instid0(VALU_DEP_3) | instskip(NEXT) | instid1(VALU_DEP_3)
	v_and_b32_e32 v180, 7, v180
	v_cmp_eq_u32_e32 vcc_lo, 0, v183
	v_cndmask_b32_e32 v182, v183, v182, vcc_lo
	s_delay_alu instid0(VALU_DEP_3) | instskip(NEXT) | instid1(VALU_DEP_2)
	v_cndmask_b32_e32 v180, v181, v180, vcc_lo
	v_lshl_add_u32 v181, v182, 23, 0x3b800000
	s_delay_alu instid0(VALU_DEP_2) | instskip(NEXT) | instid1(VALU_DEP_1)
	v_lshlrev_b32_e32 v180, 20, v180
	v_or3_b32 v181, v22, v181, v180
.LBB6_6463:                             ;   in Loop: Header=BB6_5432 Depth=2
	s_or_b32 exec_lo, exec_lo, s24
	s_mov_b32 s7, 0
	s_mov_b32 s25, exec_lo
                                        ; implicit-def: $sgpr24
	v_cmpx_lt_i16_e64 0x7f, v179
	s_xor_b32 s25, exec_lo, s25
	s_cbranch_execnz .LBB6_7858
; %bb.6464:                             ;   in Loop: Header=BB6_5432 Depth=2
	s_or_saveexec_b32 s25, s25
	v_mov_b32_e32 v22, s24
	s_xor_b32 exec_lo, exec_lo, s25
	s_cbranch_execnz .LBB6_7861
.LBB6_6465:                             ;   in Loop: Header=BB6_5432 Depth=2
	s_or_b32 exec_lo, exec_lo, s25
	s_and_saveexec_b32 s24, s7
	s_cbranch_execz .LBB6_6467
.LBB6_6466:                             ;   in Loop: Header=BB6_5432 Depth=2
	v_bfe_u32 v22, v18, 24, 3
	s_delay_alu instid0(VALU_DEP_1) | instskip(NEXT) | instid1(VALU_DEP_1)
	v_clz_i32_u32_e32 v180, v22
	v_min_u32_e32 v180, 32, v180
	s_delay_alu instid0(VALU_DEP_1) | instskip(SKIP_1) | instid1(VALU_DEP_2)
	v_subrev_nc_u32_e32 v182, 28, v180
	v_sub_nc_u32_e32 v180, 29, v180
	v_lshlrev_b32_e32 v179, v182, v179
	v_bfe_u32 v182, v18, 27, 4
	v_and_b32_e32 v18, 0x80000000, v18
	s_delay_alu instid0(VALU_DEP_2) | instskip(NEXT) | instid1(VALU_DEP_4)
	v_cmp_eq_u32_e32 vcc_lo, 0, v182
	v_dual_cndmask_b32 v180, v182, v180 :: v_dual_and_b32 v179, 7, v179
	s_delay_alu instid0(VALU_DEP_1) | instskip(NEXT) | instid1(VALU_DEP_2)
	v_cndmask_b32_e32 v22, v22, v179, vcc_lo
	v_lshl_add_u32 v179, v180, 23, 0x3b800000
	s_delay_alu instid0(VALU_DEP_2) | instskip(NEXT) | instid1(VALU_DEP_1)
	v_lshlrev_b32_e32 v22, 20, v22
	v_or3_b32 v22, v18, v179, v22
.LBB6_6467:                             ;   in Loop: Header=BB6_5432 Depth=2
	s_or_b32 exec_lo, exec_lo, s24
	s_delay_alu instid0(VALU_DEP_1) | instskip(SKIP_1) | instid1(VALU_DEP_1)
	v_max_f32_e32 v18, v22, v22
	v_max_f32_e32 v22, v181, v181
	v_min_f32_e32 v181, v22, v18
.LBB6_6468:                             ;   in Loop: Header=BB6_5432 Depth=2
	s_delay_alu instid0(VALU_DEP_1) | instskip(NEXT) | instid1(VALU_DEP_1)
	v_and_b32_e32 v18, 0x7f800000, v181
	v_cmp_ne_u32_e32 vcc_lo, 0x7f800000, v18
	v_mov_b32_e32 v18, 0x80
	s_and_saveexec_b32 s24, vcc_lo
	s_cbranch_execz .LBB6_6476
; %bb.6469:                             ;   in Loop: Header=BB6_5432 Depth=2
	v_mov_b32_e32 v18, 0
	s_mov_b32 s25, exec_lo
	v_cmpx_ne_u32_e32 0, v181
	s_cbranch_execz .LBB6_6475
; %bb.6470:                             ;   in Loop: Header=BB6_5432 Depth=2
	v_bfe_u32 v18, v181, 23, 8
	s_delay_alu instid0(VALU_DEP_1) | instskip(SKIP_1) | instid1(VALU_DEP_2)
	v_sub_nc_u32_e32 v179, 0x78, v18
	v_cmp_gt_u32_e32 vcc_lo, 0x79, v18
	v_dual_cndmask_b32 v179, 0, v179 :: v_dual_and_b32 v22, 0x7fffff, v181
	s_delay_alu instid0(VALU_DEP_1) | instskip(SKIP_2) | instid1(VALU_DEP_4)
	v_or_b32_e32 v180, 0x800000, v22
	v_cmp_eq_u32_e32 vcc_lo, 0, v18
	v_add_nc_u32_e32 v18, 0xffffff89, v18
	v_cndmask_b32_e64 v179, v179, 0x77, vcc_lo
	s_delay_alu instid0(VALU_DEP_4) | instskip(NEXT) | instid1(VALU_DEP_3)
	v_cndmask_b32_e32 v22, v180, v22, vcc_lo
	v_cndmask_b32_e64 v18, v18, 0xffffff8a, vcc_lo
	s_delay_alu instid0(VALU_DEP_3) | instskip(NEXT) | instid1(VALU_DEP_3)
	v_lshl_add_u32 v180, 0x100000, v179, -1
	v_lshrrev_b32_e32 v182, v179, v22
	v_lshlrev_b32_e64 v40, v179, 0x80000
	s_delay_alu instid0(VALU_DEP_4) | instskip(NEXT) | instid1(VALU_DEP_4)
	v_add_nc_u32_e32 v179, v179, v18
	v_and_b32_e32 v22, v180, v22
	s_delay_alu instid0(VALU_DEP_4) | instskip(NEXT) | instid1(VALU_DEP_2)
	v_bfe_u32 v183, v182, 20, 1
	v_cmp_eq_u32_e64 s7, v22, v40
	s_delay_alu instid0(VALU_DEP_2) | instskip(NEXT) | instid1(VALU_DEP_1)
	v_add_nc_u32_e32 v180, -1, v183
	v_cndmask_b32_e64 v22, 0, v180, s7
	v_lshrrev_b32_e32 v180, 23, v182
	s_mov_b32 s7, exec_lo
	s_delay_alu instid0(VALU_DEP_2) | instskip(NEXT) | instid1(VALU_DEP_2)
	v_add_nc_u32_e32 v22, v22, v182
	v_xor_b32_e32 v180, 1, v180
	s_delay_alu instid0(VALU_DEP_2) | instskip(NEXT) | instid1(VALU_DEP_1)
	v_and_b32_e32 v18, 0xfffff, v22
	v_add_nc_u32_e32 v22, v18, v182
                                        ; implicit-def: $vgpr18
	s_delay_alu instid0(VALU_DEP_3)
	v_cmpx_ne_u32_e64 v179, v180
	s_xor_b32 s7, exec_lo, s7
; %bb.6471:                             ;   in Loop: Header=BB6_5432 Depth=2
	s_delay_alu instid0(VALU_DEP_2) | instskip(SKIP_2) | instid1(VALU_DEP_2)
	v_cmp_lt_u32_e32 vcc_lo, 0xffffff, v22
	v_sub_nc_u32_e32 v18, v179, v180
	v_cndmask_b32_e64 v179, 0, 1, vcc_lo
	v_add_co_ci_u32_e32 v18, vcc_lo, 0, v18, vcc_lo
	s_delay_alu instid0(VALU_DEP_2)
	v_lshrrev_b32_e32 v22, v179, v22
; %bb.6472:                             ;   in Loop: Header=BB6_5432 Depth=2
	s_and_not1_saveexec_b32 s7, s7
; %bb.6473:                             ;   in Loop: Header=BB6_5432 Depth=2
	s_delay_alu instid0(VALU_DEP_1)
	v_bfe_u32 v18, v22, 23, 1
; %bb.6474:                             ;   in Loop: Header=BB6_5432 Depth=2
	s_or_b32 exec_lo, exec_lo, s7
	v_lshrrev_b32_e32 v22, 20, v22
	s_delay_alu instid0(VALU_DEP_2) | instskip(SKIP_2) | instid1(VALU_DEP_2)
	v_cmp_gt_i32_e32 vcc_lo, 16, v18
	v_lshrrev_b32_e32 v179, 24, v181
	v_min_i32_e32 v180, 15, v18
	v_dual_cndmask_b32 v22, 7, v22 :: v_dual_and_b32 v179, 0x80, v179
	s_delay_alu instid0(VALU_DEP_2) | instskip(NEXT) | instid1(VALU_DEP_2)
	v_lshlrev_b32_e32 v180, 3, v180
	v_and_b32_e32 v181, 7, v22
	v_or_b32_e32 v18, v18, v22
	s_delay_alu instid0(VALU_DEP_2) | instskip(NEXT) | instid1(VALU_DEP_2)
	v_or3_b32 v22, v180, v179, v181
	v_cmp_ne_u32_e32 vcc_lo, 0, v18
	s_delay_alu instid0(VALU_DEP_2)
	v_cndmask_b32_e32 v18, 0, v22, vcc_lo
.LBB6_6475:                             ;   in Loop: Header=BB6_5432 Depth=2
	s_or_b32 exec_lo, exec_lo, s25
.LBB6_6476:                             ;   in Loop: Header=BB6_5432 Depth=2
	s_delay_alu instid0(SALU_CYCLE_1) | instskip(NEXT) | instid1(SALU_CYCLE_1)
	s_or_b32 exec_lo, exec_lo, s24
	s_and_not1_b32 vcc_lo, exec_lo, s23
	s_cbranch_vccnz .LBB6_6486
; %bb.6477:                             ;   in Loop: Header=BB6_5432 Depth=2
	v_and_b32_e32 v179, 0xff, v23
	s_mov_b32 s7, 0
	s_mov_b32 s25, exec_lo
                                        ; implicit-def: $sgpr24
	s_delay_alu instid0(VALU_DEP_1)
	v_cmpx_lt_i16_e64 0x7f, v179
	s_xor_b32 s25, exec_lo, s25
	s_cbranch_execnz .LBB6_7862
; %bb.6478:                             ;   in Loop: Header=BB6_5432 Depth=2
	s_or_saveexec_b32 s25, s25
	v_mov_b32_e32 v22, s24
	s_xor_b32 exec_lo, exec_lo, s25
	s_cbranch_execnz .LBB6_7865
.LBB6_6479:                             ;   in Loop: Header=BB6_5432 Depth=2
	s_or_b32 exec_lo, exec_lo, s25
	s_and_saveexec_b32 s24, s7
	s_cbranch_execz .LBB6_6481
.LBB6_6480:                             ;   in Loop: Header=BB6_5432 Depth=2
	v_and_b32_e32 v22, 7, v23
	v_bfe_u32 v181, v23, 3, 4
	v_lshlrev_b32_e32 v182, 24, v23
	s_delay_alu instid0(VALU_DEP_3) | instskip(NEXT) | instid1(VALU_DEP_3)
	v_clz_i32_u32_e32 v179, v22
	v_cmp_eq_u32_e32 vcc_lo, 0, v181
	s_delay_alu instid0(VALU_DEP_2) | instskip(NEXT) | instid1(VALU_DEP_1)
	v_min_u32_e32 v179, 32, v179
	v_subrev_nc_u32_e32 v180, 28, v179
	v_sub_nc_u32_e32 v179, 29, v179
	s_delay_alu instid0(VALU_DEP_2) | instskip(NEXT) | instid1(VALU_DEP_1)
	v_lshlrev_b32_e32 v180, v180, v23
	v_dual_cndmask_b32 v179, v181, v179 :: v_dual_and_b32 v180, 7, v180
	s_delay_alu instid0(VALU_DEP_1) | instskip(NEXT) | instid1(VALU_DEP_2)
	v_lshl_add_u32 v179, v179, 23, 0x3b800000
	v_cndmask_b32_e32 v22, v22, v180, vcc_lo
	v_and_b32_e32 v180, 0x80000000, v182
	s_delay_alu instid0(VALU_DEP_2) | instskip(NEXT) | instid1(VALU_DEP_1)
	v_lshlrev_b32_e32 v22, 20, v22
	v_or3_b32 v22, v180, v179, v22
.LBB6_6481:                             ;   in Loop: Header=BB6_5432 Depth=2
	s_or_b32 exec_lo, exec_lo, s24
	v_and_b32_e32 v180, 0xff, v19
	s_mov_b32 s7, 0
	s_mov_b32 s25, exec_lo
                                        ; implicit-def: $sgpr24
	s_delay_alu instid0(VALU_DEP_1)
	v_cmpx_lt_i16_e64 0x7f, v180
	s_xor_b32 s25, exec_lo, s25
	s_cbranch_execnz .LBB6_7866
; %bb.6482:                             ;   in Loop: Header=BB6_5432 Depth=2
	s_or_saveexec_b32 s25, s25
	v_mov_b32_e32 v179, s24
	s_xor_b32 exec_lo, exec_lo, s25
	s_cbranch_execnz .LBB6_7869
.LBB6_6483:                             ;   in Loop: Header=BB6_5432 Depth=2
	s_or_b32 exec_lo, exec_lo, s25
	s_and_saveexec_b32 s24, s7
	s_cbranch_execz .LBB6_6485
.LBB6_6484:                             ;   in Loop: Header=BB6_5432 Depth=2
	v_bfe_u32 v182, v19, 3, 4
	v_lshlrev_b32_e32 v183, 24, v19
	s_delay_alu instid0(VALU_DEP_2) | instskip(SKIP_1) | instid1(VALU_DEP_1)
	v_cmp_eq_u32_e32 vcc_lo, 0, v182
	v_and_b32_e32 v179, 7, v19
	v_clz_i32_u32_e32 v180, v179
	s_delay_alu instid0(VALU_DEP_1) | instskip(NEXT) | instid1(VALU_DEP_1)
	v_min_u32_e32 v180, 32, v180
	v_subrev_nc_u32_e32 v181, 28, v180
	v_sub_nc_u32_e32 v180, 29, v180
	s_delay_alu instid0(VALU_DEP_1) | instskip(NEXT) | instid1(VALU_DEP_1)
	v_dual_cndmask_b32 v180, v182, v180 :: v_dual_lshlrev_b32 v181, v181, v19
	v_and_b32_e32 v181, 7, v181
	s_delay_alu instid0(VALU_DEP_2) | instskip(NEXT) | instid1(VALU_DEP_2)
	v_lshl_add_u32 v180, v180, 23, 0x3b800000
	v_cndmask_b32_e32 v179, v179, v181, vcc_lo
	v_and_b32_e32 v181, 0x80000000, v183
	s_delay_alu instid0(VALU_DEP_2) | instskip(NEXT) | instid1(VALU_DEP_1)
	v_lshlrev_b32_e32 v179, 20, v179
	v_or3_b32 v179, v181, v180, v179
.LBB6_6485:                             ;   in Loop: Header=BB6_5432 Depth=2
	s_or_b32 exec_lo, exec_lo, s24
	s_delay_alu instid0(VALU_DEP_1) | instskip(SKIP_1) | instid1(VALU_DEP_1)
	v_dual_max_f32 v179, v179, v179 :: v_dual_max_f32 v22, v22, v22
	s_mov_b32 s7, 0
	v_max_f32_e32 v179, v22, v179
	s_branch .LBB6_6487
.LBB6_6486:                             ;   in Loop: Header=BB6_5432 Depth=2
	s_mov_b32 s7, -1
                                        ; implicit-def: $vgpr179
.LBB6_6487:                             ;   in Loop: Header=BB6_5432 Depth=2
	s_delay_alu instid0(SALU_CYCLE_1)
	s_and_b32 vcc_lo, exec_lo, s7
	s_cbranch_vccz .LBB6_6497
; %bb.6488:                             ;   in Loop: Header=BB6_5432 Depth=2
	v_and_b32_e32 v179, 0xff, v23
	s_mov_b32 s7, 0
	s_mov_b32 s25, exec_lo
                                        ; implicit-def: $sgpr24
	s_delay_alu instid0(VALU_DEP_1)
	v_cmpx_lt_i16_e64 0x7f, v179
	s_xor_b32 s25, exec_lo, s25
	s_cbranch_execnz .LBB6_7870
; %bb.6489:                             ;   in Loop: Header=BB6_5432 Depth=2
	s_or_saveexec_b32 s25, s25
	v_mov_b32_e32 v22, s24
	s_xor_b32 exec_lo, exec_lo, s25
	s_cbranch_execnz .LBB6_7873
.LBB6_6490:                             ;   in Loop: Header=BB6_5432 Depth=2
	s_or_b32 exec_lo, exec_lo, s25
	s_and_saveexec_b32 s24, s7
	s_cbranch_execz .LBB6_6492
.LBB6_6491:                             ;   in Loop: Header=BB6_5432 Depth=2
	v_and_b32_e32 v22, 7, v23
	v_bfe_u32 v181, v23, 3, 4
	v_lshlrev_b32_e32 v182, 24, v23
	s_delay_alu instid0(VALU_DEP_3) | instskip(NEXT) | instid1(VALU_DEP_3)
	v_clz_i32_u32_e32 v179, v22
	v_cmp_eq_u32_e32 vcc_lo, 0, v181
	s_delay_alu instid0(VALU_DEP_2) | instskip(NEXT) | instid1(VALU_DEP_1)
	v_min_u32_e32 v179, 32, v179
	v_subrev_nc_u32_e32 v180, 28, v179
	v_sub_nc_u32_e32 v179, 29, v179
	s_delay_alu instid0(VALU_DEP_2) | instskip(NEXT) | instid1(VALU_DEP_1)
	v_lshlrev_b32_e32 v180, v180, v23
	v_dual_cndmask_b32 v179, v181, v179 :: v_dual_and_b32 v180, 7, v180
	s_delay_alu instid0(VALU_DEP_1) | instskip(NEXT) | instid1(VALU_DEP_2)
	v_lshl_add_u32 v179, v179, 23, 0x3b800000
	v_cndmask_b32_e32 v22, v22, v180, vcc_lo
	v_and_b32_e32 v180, 0x80000000, v182
	s_delay_alu instid0(VALU_DEP_2) | instskip(NEXT) | instid1(VALU_DEP_1)
	v_lshlrev_b32_e32 v22, 20, v22
	v_or3_b32 v22, v180, v179, v22
.LBB6_6492:                             ;   in Loop: Header=BB6_5432 Depth=2
	s_or_b32 exec_lo, exec_lo, s24
	v_and_b32_e32 v180, 0xff, v19
	s_mov_b32 s7, 0
	s_mov_b32 s25, exec_lo
                                        ; implicit-def: $sgpr24
	s_delay_alu instid0(VALU_DEP_1)
	v_cmpx_lt_i16_e64 0x7f, v180
	s_xor_b32 s25, exec_lo, s25
	s_cbranch_execnz .LBB6_7874
; %bb.6493:                             ;   in Loop: Header=BB6_5432 Depth=2
	s_or_saveexec_b32 s25, s25
	v_mov_b32_e32 v179, s24
	s_xor_b32 exec_lo, exec_lo, s25
	s_cbranch_execnz .LBB6_7877
.LBB6_6494:                             ;   in Loop: Header=BB6_5432 Depth=2
	s_or_b32 exec_lo, exec_lo, s25
	s_and_saveexec_b32 s24, s7
	s_cbranch_execz .LBB6_6496
.LBB6_6495:                             ;   in Loop: Header=BB6_5432 Depth=2
	v_bfe_u32 v182, v19, 3, 4
	v_lshlrev_b32_e32 v183, 24, v19
	s_delay_alu instid0(VALU_DEP_2) | instskip(SKIP_1) | instid1(VALU_DEP_1)
	v_cmp_eq_u32_e32 vcc_lo, 0, v182
	v_and_b32_e32 v179, 7, v19
	v_clz_i32_u32_e32 v180, v179
	s_delay_alu instid0(VALU_DEP_1) | instskip(NEXT) | instid1(VALU_DEP_1)
	v_min_u32_e32 v180, 32, v180
	v_subrev_nc_u32_e32 v181, 28, v180
	v_sub_nc_u32_e32 v180, 29, v180
	s_delay_alu instid0(VALU_DEP_1) | instskip(NEXT) | instid1(VALU_DEP_1)
	v_dual_cndmask_b32 v180, v182, v180 :: v_dual_lshlrev_b32 v181, v181, v19
	v_and_b32_e32 v181, 7, v181
	s_delay_alu instid0(VALU_DEP_2) | instskip(NEXT) | instid1(VALU_DEP_2)
	v_lshl_add_u32 v180, v180, 23, 0x3b800000
	v_cndmask_b32_e32 v179, v179, v181, vcc_lo
	v_and_b32_e32 v181, 0x80000000, v183
	s_delay_alu instid0(VALU_DEP_2) | instskip(NEXT) | instid1(VALU_DEP_1)
	v_lshlrev_b32_e32 v179, 20, v179
	v_or3_b32 v179, v181, v180, v179
.LBB6_6496:                             ;   in Loop: Header=BB6_5432 Depth=2
	s_or_b32 exec_lo, exec_lo, s24
	s_delay_alu instid0(VALU_DEP_1) | instskip(NEXT) | instid1(VALU_DEP_1)
	v_dual_max_f32 v179, v179, v179 :: v_dual_max_f32 v22, v22, v22
	v_min_f32_e32 v179, v22, v179
.LBB6_6497:                             ;   in Loop: Header=BB6_5432 Depth=2
	s_delay_alu instid0(VALU_DEP_1) | instskip(NEXT) | instid1(VALU_DEP_1)
	v_and_b32_e32 v22, 0x7f800000, v179
	v_cmp_ne_u32_e32 vcc_lo, 0x7f800000, v22
	v_mov_b32_e32 v22, 0x80
	s_and_saveexec_b32 s24, vcc_lo
	s_cbranch_execz .LBB6_6505
; %bb.6498:                             ;   in Loop: Header=BB6_5432 Depth=2
	v_mov_b32_e32 v22, 0
	s_mov_b32 s25, exec_lo
	v_cmpx_ne_u32_e32 0, v179
	s_cbranch_execz .LBB6_6504
; %bb.6499:                             ;   in Loop: Header=BB6_5432 Depth=2
	v_bfe_u32 v22, v179, 23, 8
	s_delay_alu instid0(VALU_DEP_1) | instskip(SKIP_1) | instid1(VALU_DEP_2)
	v_sub_nc_u32_e32 v181, 0x78, v22
	v_cmp_gt_u32_e32 vcc_lo, 0x79, v22
	v_dual_cndmask_b32 v181, 0, v181 :: v_dual_and_b32 v180, 0x7fffff, v179
	s_delay_alu instid0(VALU_DEP_1) | instskip(SKIP_2) | instid1(VALU_DEP_4)
	v_or_b32_e32 v182, 0x800000, v180
	v_cmp_eq_u32_e32 vcc_lo, 0, v22
	v_add_nc_u32_e32 v22, 0xffffff89, v22
	v_cndmask_b32_e64 v181, v181, 0x77, vcc_lo
	s_delay_alu instid0(VALU_DEP_2) | instskip(SKIP_1) | instid1(VALU_DEP_3)
	v_cndmask_b32_e64 v22, v22, 0xffffff8a, vcc_lo
	v_cndmask_b32_e32 v180, v182, v180, vcc_lo
	v_lshl_add_u32 v182, 0x100000, v181, -1
	v_lshlrev_b32_e64 v41, v181, 0x80000
	s_delay_alu instid0(VALU_DEP_3) | instskip(SKIP_1) | instid1(VALU_DEP_4)
	v_lshrrev_b32_e32 v183, v181, v180
	v_add_nc_u32_e32 v181, v181, v22
	v_and_b32_e32 v180, v182, v180
	s_delay_alu instid0(VALU_DEP_3) | instskip(NEXT) | instid1(VALU_DEP_2)
	v_bfe_u32 v40, v183, 20, 1
	v_cmp_eq_u32_e64 s7, v180, v41
	s_delay_alu instid0(VALU_DEP_2) | instskip(NEXT) | instid1(VALU_DEP_1)
	v_add_nc_u32_e32 v182, -1, v40
	v_cndmask_b32_e64 v180, 0, v182, s7
	v_lshrrev_b32_e32 v182, 23, v183
	s_mov_b32 s7, exec_lo
	s_delay_alu instid0(VALU_DEP_2) | instskip(NEXT) | instid1(VALU_DEP_2)
	v_add_nc_u32_e32 v180, v180, v183
	v_xor_b32_e32 v182, 1, v182
	s_delay_alu instid0(VALU_DEP_2) | instskip(NEXT) | instid1(VALU_DEP_1)
	v_and_b32_e32 v22, 0xfffff, v180
	v_add_nc_u32_e32 v180, v22, v183
                                        ; implicit-def: $vgpr22
	s_delay_alu instid0(VALU_DEP_3)
	v_cmpx_ne_u32_e64 v181, v182
	s_xor_b32 s7, exec_lo, s7
; %bb.6500:                             ;   in Loop: Header=BB6_5432 Depth=2
	s_delay_alu instid0(VALU_DEP_2) | instskip(SKIP_2) | instid1(VALU_DEP_2)
	v_cmp_lt_u32_e32 vcc_lo, 0xffffff, v180
	v_sub_nc_u32_e32 v22, v181, v182
	v_cndmask_b32_e64 v181, 0, 1, vcc_lo
	v_add_co_ci_u32_e32 v22, vcc_lo, 0, v22, vcc_lo
	s_delay_alu instid0(VALU_DEP_2)
	v_lshrrev_b32_e32 v180, v181, v180
; %bb.6501:                             ;   in Loop: Header=BB6_5432 Depth=2
	s_and_not1_saveexec_b32 s7, s7
; %bb.6502:                             ;   in Loop: Header=BB6_5432 Depth=2
	s_delay_alu instid0(VALU_DEP_1)
	v_bfe_u32 v22, v180, 23, 1
; %bb.6503:                             ;   in Loop: Header=BB6_5432 Depth=2
	s_or_b32 exec_lo, exec_lo, s7
	v_lshrrev_b32_e32 v180, 20, v180
	s_delay_alu instid0(VALU_DEP_2) | instskip(SKIP_2) | instid1(VALU_DEP_2)
	v_cmp_gt_i32_e32 vcc_lo, 16, v22
	v_lshrrev_b32_e32 v179, 24, v179
	v_min_i32_e32 v181, 15, v22
	v_dual_cndmask_b32 v180, 7, v180 :: v_dual_and_b32 v179, 0x80, v179
	s_delay_alu instid0(VALU_DEP_1) | instskip(SKIP_1) | instid1(VALU_DEP_2)
	v_or_b32_e32 v22, v22, v180
	v_and_b32_e32 v182, 7, v180
	v_cmp_ne_u32_e32 vcc_lo, 0, v22
	v_lshlrev_b32_e32 v181, 3, v181
	s_delay_alu instid0(VALU_DEP_1) | instskip(NEXT) | instid1(VALU_DEP_1)
	v_or3_b32 v179, v181, v179, v182
	v_cndmask_b32_e32 v22, 0, v179, vcc_lo
.LBB6_6504:                             ;   in Loop: Header=BB6_5432 Depth=2
	s_or_b32 exec_lo, exec_lo, s25
.LBB6_6505:                             ;   in Loop: Header=BB6_5432 Depth=2
	s_delay_alu instid0(SALU_CYCLE_1)
	s_or_b32 exec_lo, exec_lo, s24
	v_lshrrev_b16 v180, 8, v23
	v_lshrrev_b16 v179, 8, v19
	s_and_not1_b32 vcc_lo, exec_lo, s23
	s_cbranch_vccnz .LBB6_6515
; %bb.6506:                             ;   in Loop: Header=BB6_5432 Depth=2
	s_mov_b32 s7, 0
	s_mov_b32 s25, exec_lo
                                        ; implicit-def: $sgpr24
	v_cmpx_lt_i16_e64 0x7f, v180
	s_xor_b32 s25, exec_lo, s25
	s_cbranch_execnz .LBB6_7878
; %bb.6507:                             ;   in Loop: Header=BB6_5432 Depth=2
	s_or_saveexec_b32 s25, s25
	v_mov_b32_e32 v181, s24
	s_xor_b32 exec_lo, exec_lo, s25
	s_cbranch_execnz .LBB6_7881
.LBB6_6508:                             ;   in Loop: Header=BB6_5432 Depth=2
	s_or_b32 exec_lo, exec_lo, s25
	s_and_saveexec_b32 s24, s7
	s_cbranch_execz .LBB6_6510
.LBB6_6509:                             ;   in Loop: Header=BB6_5432 Depth=2
	v_and_b32_e32 v181, 0xffff, v180
	s_delay_alu instid0(VALU_DEP_1) | instskip(NEXT) | instid1(VALU_DEP_1)
	v_and_b32_e32 v182, 7, v181
	v_clz_i32_u32_e32 v183, v182
	s_delay_alu instid0(VALU_DEP_1) | instskip(NEXT) | instid1(VALU_DEP_1)
	v_min_u32_e32 v183, 32, v183
	v_subrev_nc_u32_e32 v40, 28, v183
	v_sub_nc_u32_e32 v183, 29, v183
	s_delay_alu instid0(VALU_DEP_2) | instskip(SKIP_1) | instid1(VALU_DEP_2)
	v_lshlrev_b32_e32 v40, v40, v181
	v_bfe_u32 v181, v181, 3, 4
	v_and_b32_e32 v40, 7, v40
	s_delay_alu instid0(VALU_DEP_2) | instskip(SKIP_1) | instid1(VALU_DEP_3)
	v_cmp_eq_u32_e32 vcc_lo, 0, v181
	v_cndmask_b32_e32 v181, v181, v183, vcc_lo
	v_dual_cndmask_b32 v182, v182, v40 :: v_dual_lshlrev_b32 v41, 16, v23
	s_delay_alu instid0(VALU_DEP_2) | instskip(NEXT) | instid1(VALU_DEP_2)
	v_lshl_add_u32 v181, v181, 23, 0x3b800000
	v_and_b32_e32 v183, 0x80000000, v41
	s_delay_alu instid0(VALU_DEP_3) | instskip(NEXT) | instid1(VALU_DEP_1)
	v_lshlrev_b32_e32 v182, 20, v182
	v_or3_b32 v181, v183, v181, v182
.LBB6_6510:                             ;   in Loop: Header=BB6_5432 Depth=2
	s_or_b32 exec_lo, exec_lo, s24
	s_mov_b32 s7, 0
	s_mov_b32 s25, exec_lo
                                        ; implicit-def: $sgpr24
	v_cmpx_lt_i16_e64 0x7f, v179
	s_xor_b32 s25, exec_lo, s25
	s_cbranch_execnz .LBB6_7882
; %bb.6511:                             ;   in Loop: Header=BB6_5432 Depth=2
	s_or_saveexec_b32 s25, s25
	v_mov_b32_e32 v182, s24
	s_xor_b32 exec_lo, exec_lo, s25
	s_cbranch_execnz .LBB6_7885
.LBB6_6512:                             ;   in Loop: Header=BB6_5432 Depth=2
	s_or_b32 exec_lo, exec_lo, s25
	s_and_saveexec_b32 s24, s7
	s_cbranch_execz .LBB6_6514
.LBB6_6513:                             ;   in Loop: Header=BB6_5432 Depth=2
	v_and_b32_e32 v182, 0xffff, v179
	v_lshlrev_b32_e32 v42, 16, v19
	s_delay_alu instid0(VALU_DEP_2) | instskip(NEXT) | instid1(VALU_DEP_1)
	v_and_b32_e32 v183, 7, v182
	v_clz_i32_u32_e32 v40, v183
	s_delay_alu instid0(VALU_DEP_1) | instskip(NEXT) | instid1(VALU_DEP_1)
	v_min_u32_e32 v40, 32, v40
	v_subrev_nc_u32_e32 v41, 28, v40
	v_sub_nc_u32_e32 v40, 29, v40
	s_delay_alu instid0(VALU_DEP_2) | instskip(SKIP_1) | instid1(VALU_DEP_2)
	v_lshlrev_b32_e32 v41, v41, v182
	v_bfe_u32 v182, v182, 3, 4
	v_and_b32_e32 v41, 7, v41
	s_delay_alu instid0(VALU_DEP_2) | instskip(NEXT) | instid1(VALU_DEP_2)
	v_cmp_eq_u32_e32 vcc_lo, 0, v182
	v_dual_cndmask_b32 v182, v182, v40 :: v_dual_cndmask_b32 v183, v183, v41
	v_and_b32_e32 v40, 0x80000000, v42
	s_delay_alu instid0(VALU_DEP_2) | instskip(NEXT) | instid1(VALU_DEP_3)
	v_lshl_add_u32 v182, v182, 23, 0x3b800000
	v_lshlrev_b32_e32 v183, 20, v183
	s_delay_alu instid0(VALU_DEP_1)
	v_or3_b32 v182, v40, v182, v183
.LBB6_6514:                             ;   in Loop: Header=BB6_5432 Depth=2
	s_or_b32 exec_lo, exec_lo, s24
	s_delay_alu instid0(VALU_DEP_1) | instskip(SKIP_1) | instid1(VALU_DEP_1)
	v_dual_max_f32 v182, v182, v182 :: v_dual_max_f32 v181, v181, v181
	s_mov_b32 s7, 0
	v_max_f32_e32 v181, v181, v182
	s_branch .LBB6_6516
.LBB6_6515:                             ;   in Loop: Header=BB6_5432 Depth=2
	s_mov_b32 s7, -1
                                        ; implicit-def: $vgpr181
.LBB6_6516:                             ;   in Loop: Header=BB6_5432 Depth=2
	s_delay_alu instid0(SALU_CYCLE_1)
	s_and_b32 vcc_lo, exec_lo, s7
	s_cbranch_vccz .LBB6_6526
; %bb.6517:                             ;   in Loop: Header=BB6_5432 Depth=2
	s_mov_b32 s7, 0
	s_mov_b32 s25, exec_lo
                                        ; implicit-def: $sgpr24
	v_cmpx_lt_i16_e64 0x7f, v180
	s_xor_b32 s25, exec_lo, s25
	s_cbranch_execnz .LBB6_7886
; %bb.6518:                             ;   in Loop: Header=BB6_5432 Depth=2
	s_or_saveexec_b32 s25, s25
	v_mov_b32_e32 v181, s24
	s_xor_b32 exec_lo, exec_lo, s25
	s_cbranch_execnz .LBB6_7889
.LBB6_6519:                             ;   in Loop: Header=BB6_5432 Depth=2
	s_or_b32 exec_lo, exec_lo, s25
	s_and_saveexec_b32 s24, s7
	s_cbranch_execz .LBB6_6521
.LBB6_6520:                             ;   in Loop: Header=BB6_5432 Depth=2
	v_and_b32_e32 v180, 0xffff, v180
	v_lshlrev_b32_e32 v40, 16, v23
	s_delay_alu instid0(VALU_DEP_2) | instskip(NEXT) | instid1(VALU_DEP_1)
	v_and_b32_e32 v181, 7, v180
	v_clz_i32_u32_e32 v182, v181
	s_delay_alu instid0(VALU_DEP_1) | instskip(NEXT) | instid1(VALU_DEP_1)
	v_min_u32_e32 v182, 32, v182
	v_subrev_nc_u32_e32 v183, 28, v182
	v_sub_nc_u32_e32 v182, 29, v182
	s_delay_alu instid0(VALU_DEP_2) | instskip(SKIP_1) | instid1(VALU_DEP_2)
	v_lshlrev_b32_e32 v183, v183, v180
	v_bfe_u32 v180, v180, 3, 4
	v_and_b32_e32 v183, 7, v183
	s_delay_alu instid0(VALU_DEP_2) | instskip(NEXT) | instid1(VALU_DEP_2)
	v_cmp_eq_u32_e32 vcc_lo, 0, v180
	v_dual_cndmask_b32 v180, v180, v182 :: v_dual_cndmask_b32 v181, v181, v183
	v_and_b32_e32 v182, 0x80000000, v40
	s_delay_alu instid0(VALU_DEP_2) | instskip(NEXT) | instid1(VALU_DEP_3)
	v_lshl_add_u32 v180, v180, 23, 0x3b800000
	v_lshlrev_b32_e32 v181, 20, v181
	s_delay_alu instid0(VALU_DEP_1)
	v_or3_b32 v181, v182, v180, v181
.LBB6_6521:                             ;   in Loop: Header=BB6_5432 Depth=2
	s_or_b32 exec_lo, exec_lo, s24
	s_mov_b32 s7, 0
	s_mov_b32 s25, exec_lo
                                        ; implicit-def: $sgpr24
	v_cmpx_lt_i16_e64 0x7f, v179
	s_xor_b32 s25, exec_lo, s25
	s_cbranch_execnz .LBB6_7890
; %bb.6522:                             ;   in Loop: Header=BB6_5432 Depth=2
	s_or_saveexec_b32 s25, s25
	v_mov_b32_e32 v180, s24
	s_xor_b32 exec_lo, exec_lo, s25
	s_cbranch_execnz .LBB6_7893
.LBB6_6523:                             ;   in Loop: Header=BB6_5432 Depth=2
	s_or_b32 exec_lo, exec_lo, s25
	s_and_saveexec_b32 s24, s7
	s_cbranch_execz .LBB6_6525
.LBB6_6524:                             ;   in Loop: Header=BB6_5432 Depth=2
	v_and_b32_e32 v179, 0xffff, v179
	v_lshlrev_b32_e32 v40, 16, v19
	s_delay_alu instid0(VALU_DEP_2) | instskip(NEXT) | instid1(VALU_DEP_1)
	v_and_b32_e32 v180, 7, v179
	v_clz_i32_u32_e32 v182, v180
	s_delay_alu instid0(VALU_DEP_1) | instskip(NEXT) | instid1(VALU_DEP_1)
	v_min_u32_e32 v182, 32, v182
	v_subrev_nc_u32_e32 v183, 28, v182
	v_sub_nc_u32_e32 v182, 29, v182
	s_delay_alu instid0(VALU_DEP_2) | instskip(SKIP_1) | instid1(VALU_DEP_2)
	v_lshlrev_b32_e32 v183, v183, v179
	v_bfe_u32 v179, v179, 3, 4
	v_and_b32_e32 v183, 7, v183
	s_delay_alu instid0(VALU_DEP_2) | instskip(NEXT) | instid1(VALU_DEP_2)
	v_cmp_eq_u32_e32 vcc_lo, 0, v179
	v_dual_cndmask_b32 v179, v179, v182 :: v_dual_cndmask_b32 v180, v180, v183
	v_and_b32_e32 v182, 0x80000000, v40
	s_delay_alu instid0(VALU_DEP_2) | instskip(NEXT) | instid1(VALU_DEP_3)
	v_lshl_add_u32 v179, v179, 23, 0x3b800000
	v_lshlrev_b32_e32 v180, 20, v180
	s_delay_alu instid0(VALU_DEP_1)
	v_or3_b32 v180, v182, v179, v180
.LBB6_6525:                             ;   in Loop: Header=BB6_5432 Depth=2
	s_or_b32 exec_lo, exec_lo, s24
	s_delay_alu instid0(VALU_DEP_1) | instskip(NEXT) | instid1(VALU_DEP_1)
	v_dual_max_f32 v179, v180, v180 :: v_dual_max_f32 v180, v181, v181
	v_min_f32_e32 v181, v180, v179
.LBB6_6526:                             ;   in Loop: Header=BB6_5432 Depth=2
	s_delay_alu instid0(VALU_DEP_1) | instskip(NEXT) | instid1(VALU_DEP_1)
	v_and_b32_e32 v179, 0x7f800000, v181
	v_cmp_ne_u32_e32 vcc_lo, 0x7f800000, v179
	v_mov_b32_e32 v179, 0x80
	s_and_saveexec_b32 s24, vcc_lo
	s_cbranch_execz .LBB6_6534
; %bb.6527:                             ;   in Loop: Header=BB6_5432 Depth=2
	v_mov_b32_e32 v179, 0
	s_mov_b32 s25, exec_lo
	v_cmpx_ne_u32_e32 0, v181
	s_cbranch_execz .LBB6_6533
; %bb.6528:                             ;   in Loop: Header=BB6_5432 Depth=2
	v_bfe_u32 v179, v181, 23, 8
	v_and_b32_e32 v180, 0x7fffff, v181
	s_delay_alu instid0(VALU_DEP_2) | instskip(SKIP_1) | instid1(VALU_DEP_3)
	v_sub_nc_u32_e32 v182, 0x78, v179
	v_cmp_gt_u32_e32 vcc_lo, 0x79, v179
	v_or_b32_e32 v183, 0x800000, v180
	s_delay_alu instid0(VALU_DEP_3) | instskip(SKIP_2) | instid1(VALU_DEP_3)
	v_cndmask_b32_e32 v182, 0, v182, vcc_lo
	v_cmp_eq_u32_e32 vcc_lo, 0, v179
	v_add_nc_u32_e32 v179, 0xffffff89, v179
	v_cndmask_b32_e64 v182, v182, 0x77, vcc_lo
	v_cndmask_b32_e32 v180, v183, v180, vcc_lo
	s_delay_alu instid0(VALU_DEP_3) | instskip(NEXT) | instid1(VALU_DEP_3)
	v_cndmask_b32_e64 v179, v179, 0xffffff8a, vcc_lo
	v_lshl_add_u32 v183, 0x100000, v182, -1
	s_delay_alu instid0(VALU_DEP_3) | instskip(SKIP_1) | instid1(VALU_DEP_4)
	v_lshrrev_b32_e32 v40, v182, v180
	v_lshlrev_b32_e64 v42, v182, 0x80000
	v_add_nc_u32_e32 v182, v182, v179
	s_delay_alu instid0(VALU_DEP_4) | instskip(NEXT) | instid1(VALU_DEP_4)
	v_and_b32_e32 v180, v183, v180
	v_bfe_u32 v41, v40, 20, 1
	s_delay_alu instid0(VALU_DEP_2) | instskip(NEXT) | instid1(VALU_DEP_2)
	v_cmp_eq_u32_e64 s7, v180, v42
	v_add_nc_u32_e32 v183, -1, v41
	s_delay_alu instid0(VALU_DEP_1) | instskip(SKIP_2) | instid1(VALU_DEP_2)
	v_cndmask_b32_e64 v180, 0, v183, s7
	v_lshrrev_b32_e32 v183, 23, v40
	s_mov_b32 s7, exec_lo
	v_add_nc_u32_e32 v180, v180, v40
	s_delay_alu instid0(VALU_DEP_2) | instskip(NEXT) | instid1(VALU_DEP_2)
	v_xor_b32_e32 v183, 1, v183
	v_and_b32_e32 v179, 0xfffff, v180
	s_delay_alu instid0(VALU_DEP_1) | instskip(NEXT) | instid1(VALU_DEP_3)
	v_add_nc_u32_e32 v180, v179, v40
                                        ; implicit-def: $vgpr179
	v_cmpx_ne_u32_e64 v182, v183
	s_xor_b32 s7, exec_lo, s7
; %bb.6529:                             ;   in Loop: Header=BB6_5432 Depth=2
	s_delay_alu instid0(VALU_DEP_2) | instskip(SKIP_2) | instid1(VALU_DEP_2)
	v_cmp_lt_u32_e32 vcc_lo, 0xffffff, v180
	v_sub_nc_u32_e32 v179, v182, v183
	v_cndmask_b32_e64 v182, 0, 1, vcc_lo
	v_add_co_ci_u32_e32 v179, vcc_lo, 0, v179, vcc_lo
	s_delay_alu instid0(VALU_DEP_2)
	v_lshrrev_b32_e32 v180, v182, v180
; %bb.6530:                             ;   in Loop: Header=BB6_5432 Depth=2
	s_and_not1_saveexec_b32 s7, s7
; %bb.6531:                             ;   in Loop: Header=BB6_5432 Depth=2
	s_delay_alu instid0(VALU_DEP_1)
	v_bfe_u32 v179, v180, 23, 1
; %bb.6532:                             ;   in Loop: Header=BB6_5432 Depth=2
	s_or_b32 exec_lo, exec_lo, s7
	v_lshrrev_b32_e32 v180, 20, v180
	s_delay_alu instid0(VALU_DEP_2) | instskip(SKIP_2) | instid1(VALU_DEP_2)
	v_cmp_gt_i32_e32 vcc_lo, 16, v179
	v_lshrrev_b32_e32 v181, 24, v181
	v_min_i32_e32 v182, 15, v179
	v_dual_cndmask_b32 v180, 7, v180 :: v_dual_and_b32 v181, 0x80, v181
	s_delay_alu instid0(VALU_DEP_1) | instskip(SKIP_1) | instid1(VALU_DEP_2)
	v_or_b32_e32 v179, v179, v180
	v_and_b32_e32 v183, 7, v180
	v_cmp_ne_u32_e32 vcc_lo, 0, v179
	v_lshlrev_b32_e32 v182, 3, v182
	s_delay_alu instid0(VALU_DEP_1) | instskip(NEXT) | instid1(VALU_DEP_1)
	v_or3_b32 v180, v182, v181, v183
	v_cndmask_b32_e32 v179, 0, v180, vcc_lo
.LBB6_6533:                             ;   in Loop: Header=BB6_5432 Depth=2
	s_or_b32 exec_lo, exec_lo, s25
.LBB6_6534:                             ;   in Loop: Header=BB6_5432 Depth=2
	s_delay_alu instid0(SALU_CYCLE_1)
	s_or_b32 exec_lo, exec_lo, s24
	v_lshrrev_b32_e32 v181, 16, v23
	v_lshrrev_b32_e32 v180, 16, v19
	s_and_not1_b32 vcc_lo, exec_lo, s23
	s_cbranch_vccnz .LBB6_6544
; %bb.6535:                             ;   in Loop: Header=BB6_5432 Depth=2
	s_delay_alu instid0(VALU_DEP_2) | instskip(SKIP_2) | instid1(VALU_DEP_1)
	v_and_b32_e32 v183, 0xff, v181
	s_mov_b32 s7, 0
	s_mov_b32 s25, exec_lo
                                        ; implicit-def: $sgpr24
	v_cmpx_lt_i16_e64 0x7f, v183
	s_xor_b32 s25, exec_lo, s25
	s_cbranch_execnz .LBB6_7894
; %bb.6536:                             ;   in Loop: Header=BB6_5432 Depth=2
	s_or_saveexec_b32 s25, s25
	v_mov_b32_e32 v182, s24
	s_xor_b32 exec_lo, exec_lo, s25
	s_cbranch_execnz .LBB6_7897
.LBB6_6537:                             ;   in Loop: Header=BB6_5432 Depth=2
	s_or_b32 exec_lo, exec_lo, s25
	s_and_saveexec_b32 s24, s7
	s_cbranch_execz .LBB6_6539
.LBB6_6538:                             ;   in Loop: Header=BB6_5432 Depth=2
	v_bfe_u32 v182, v23, 16, 3
	v_bfe_u32 v41, v23, 19, 4
	v_lshlrev_b32_e32 v42, 24, v181
	s_delay_alu instid0(VALU_DEP_3) | instskip(NEXT) | instid1(VALU_DEP_3)
	v_clz_i32_u32_e32 v183, v182
	v_cmp_eq_u32_e32 vcc_lo, 0, v41
	s_delay_alu instid0(VALU_DEP_2) | instskip(NEXT) | instid1(VALU_DEP_1)
	v_min_u32_e32 v183, 32, v183
	v_subrev_nc_u32_e32 v40, 28, v183
	v_sub_nc_u32_e32 v183, 29, v183
	s_delay_alu instid0(VALU_DEP_1) | instskip(NEXT) | instid1(VALU_DEP_1)
	v_dual_cndmask_b32 v183, v41, v183 :: v_dual_lshlrev_b32 v40, v40, v181
	v_and_b32_e32 v40, 7, v40
	s_delay_alu instid0(VALU_DEP_2) | instskip(NEXT) | instid1(VALU_DEP_2)
	v_lshl_add_u32 v183, v183, 23, 0x3b800000
	v_cndmask_b32_e32 v182, v182, v40, vcc_lo
	v_and_b32_e32 v40, 0x80000000, v42
	s_delay_alu instid0(VALU_DEP_2) | instskip(NEXT) | instid1(VALU_DEP_1)
	v_lshlrev_b32_e32 v182, 20, v182
	v_or3_b32 v182, v40, v183, v182
.LBB6_6539:                             ;   in Loop: Header=BB6_5432 Depth=2
	s_or_b32 exec_lo, exec_lo, s24
	v_and_b32_e32 v40, 0xff, v180
	s_mov_b32 s7, 0
	s_mov_b32 s25, exec_lo
                                        ; implicit-def: $sgpr24
	s_delay_alu instid0(VALU_DEP_1)
	v_cmpx_lt_i16_e32 0x7f, v40
	s_xor_b32 s25, exec_lo, s25
	s_cbranch_execnz .LBB6_7898
; %bb.6540:                             ;   in Loop: Header=BB6_5432 Depth=2
	s_or_saveexec_b32 s25, s25
	v_mov_b32_e32 v183, s24
	s_xor_b32 exec_lo, exec_lo, s25
	s_cbranch_execnz .LBB6_7901
.LBB6_6541:                             ;   in Loop: Header=BB6_5432 Depth=2
	s_or_b32 exec_lo, exec_lo, s25
	s_and_saveexec_b32 s24, s7
	s_cbranch_execz .LBB6_6543
.LBB6_6542:                             ;   in Loop: Header=BB6_5432 Depth=2
	v_bfe_u32 v183, v19, 16, 3
	v_bfe_u32 v42, v19, 19, 4
	v_lshlrev_b32_e32 v43, 24, v180
	s_delay_alu instid0(VALU_DEP_3) | instskip(NEXT) | instid1(VALU_DEP_3)
	v_clz_i32_u32_e32 v40, v183
	v_cmp_eq_u32_e32 vcc_lo, 0, v42
	s_delay_alu instid0(VALU_DEP_2) | instskip(NEXT) | instid1(VALU_DEP_1)
	v_min_u32_e32 v40, 32, v40
	v_subrev_nc_u32_e32 v41, 28, v40
	v_sub_nc_u32_e32 v40, 29, v40
	s_delay_alu instid0(VALU_DEP_2) | instskip(NEXT) | instid1(VALU_DEP_1)
	v_lshlrev_b32_e32 v41, v41, v180
	v_dual_cndmask_b32 v40, v42, v40 :: v_dual_and_b32 v41, 7, v41
	s_delay_alu instid0(VALU_DEP_1) | instskip(NEXT) | instid1(VALU_DEP_2)
	v_lshl_add_u32 v40, v40, 23, 0x3b800000
	v_cndmask_b32_e32 v183, v183, v41, vcc_lo
	v_and_b32_e32 v41, 0x80000000, v43
	s_delay_alu instid0(VALU_DEP_2) | instskip(NEXT) | instid1(VALU_DEP_1)
	v_lshlrev_b32_e32 v183, 20, v183
	v_or3_b32 v183, v41, v40, v183
.LBB6_6543:                             ;   in Loop: Header=BB6_5432 Depth=2
	s_or_b32 exec_lo, exec_lo, s24
	s_delay_alu instid0(VALU_DEP_1) | instskip(SKIP_1) | instid1(VALU_DEP_1)
	v_dual_max_f32 v183, v183, v183 :: v_dual_max_f32 v182, v182, v182
	s_mov_b32 s7, 0
	v_max_f32_e32 v182, v182, v183
	s_branch .LBB6_6545
.LBB6_6544:                             ;   in Loop: Header=BB6_5432 Depth=2
	s_mov_b32 s7, -1
                                        ; implicit-def: $vgpr182
.LBB6_6545:                             ;   in Loop: Header=BB6_5432 Depth=2
	s_delay_alu instid0(SALU_CYCLE_1)
	s_and_b32 vcc_lo, exec_lo, s7
	s_cbranch_vccz .LBB6_6555
; %bb.6546:                             ;   in Loop: Header=BB6_5432 Depth=2
	v_and_b32_e32 v183, 0xff, v181
	s_mov_b32 s7, 0
	s_mov_b32 s25, exec_lo
                                        ; implicit-def: $sgpr24
	s_delay_alu instid0(VALU_DEP_1)
	v_cmpx_lt_i16_e64 0x7f, v183
	s_xor_b32 s25, exec_lo, s25
	s_cbranch_execnz .LBB6_7902
; %bb.6547:                             ;   in Loop: Header=BB6_5432 Depth=2
	s_or_saveexec_b32 s25, s25
	v_mov_b32_e32 v182, s24
	s_xor_b32 exec_lo, exec_lo, s25
	s_cbranch_execnz .LBB6_7905
.LBB6_6548:                             ;   in Loop: Header=BB6_5432 Depth=2
	s_or_b32 exec_lo, exec_lo, s25
	s_and_saveexec_b32 s24, s7
	s_cbranch_execz .LBB6_6550
.LBB6_6549:                             ;   in Loop: Header=BB6_5432 Depth=2
	v_bfe_u32 v182, v23, 16, 3
	v_bfe_u32 v41, v23, 19, 4
	s_delay_alu instid0(VALU_DEP_2) | instskip(NEXT) | instid1(VALU_DEP_2)
	v_clz_i32_u32_e32 v183, v182
	v_cmp_eq_u32_e32 vcc_lo, 0, v41
	s_delay_alu instid0(VALU_DEP_2) | instskip(NEXT) | instid1(VALU_DEP_1)
	v_min_u32_e32 v183, 32, v183
	v_subrev_nc_u32_e32 v40, 28, v183
	v_sub_nc_u32_e32 v183, 29, v183
	s_delay_alu instid0(VALU_DEP_1) | instskip(NEXT) | instid1(VALU_DEP_1)
	v_dual_cndmask_b32 v183, v41, v183 :: v_dual_lshlrev_b32 v40, v40, v181
	v_and_b32_e32 v40, 7, v40
	v_lshlrev_b32_e32 v181, 24, v181
	s_delay_alu instid0(VALU_DEP_3) | instskip(NEXT) | instid1(VALU_DEP_2)
	v_lshl_add_u32 v183, v183, 23, 0x3b800000
	v_dual_cndmask_b32 v182, v182, v40 :: v_dual_and_b32 v181, 0x80000000, v181
	s_delay_alu instid0(VALU_DEP_1) | instskip(NEXT) | instid1(VALU_DEP_1)
	v_lshlrev_b32_e32 v182, 20, v182
	v_or3_b32 v182, v181, v183, v182
.LBB6_6550:                             ;   in Loop: Header=BB6_5432 Depth=2
	s_or_b32 exec_lo, exec_lo, s24
	v_and_b32_e32 v183, 0xff, v180
	s_mov_b32 s7, 0
	s_mov_b32 s25, exec_lo
                                        ; implicit-def: $sgpr24
	s_delay_alu instid0(VALU_DEP_1)
	v_cmpx_lt_i16_e64 0x7f, v183
	s_xor_b32 s25, exec_lo, s25
	s_cbranch_execnz .LBB6_7906
; %bb.6551:                             ;   in Loop: Header=BB6_5432 Depth=2
	s_or_saveexec_b32 s25, s25
	v_mov_b32_e32 v181, s24
	s_xor_b32 exec_lo, exec_lo, s25
	s_cbranch_execnz .LBB6_7909
.LBB6_6552:                             ;   in Loop: Header=BB6_5432 Depth=2
	s_or_b32 exec_lo, exec_lo, s25
	s_and_saveexec_b32 s24, s7
	s_cbranch_execz .LBB6_6554
.LBB6_6553:                             ;   in Loop: Header=BB6_5432 Depth=2
	v_bfe_u32 v181, v19, 16, 3
	v_bfe_u32 v41, v19, 19, 4
	s_delay_alu instid0(VALU_DEP_2) | instskip(NEXT) | instid1(VALU_DEP_2)
	v_clz_i32_u32_e32 v183, v181
	v_cmp_eq_u32_e32 vcc_lo, 0, v41
	s_delay_alu instid0(VALU_DEP_2) | instskip(NEXT) | instid1(VALU_DEP_1)
	v_min_u32_e32 v183, 32, v183
	v_subrev_nc_u32_e32 v40, 28, v183
	v_sub_nc_u32_e32 v183, 29, v183
	s_delay_alu instid0(VALU_DEP_1) | instskip(SKIP_1) | instid1(VALU_DEP_2)
	v_dual_cndmask_b32 v183, v41, v183 :: v_dual_lshlrev_b32 v40, v40, v180
	v_lshlrev_b32_e32 v180, 24, v180
	v_and_b32_e32 v40, 7, v40
	s_delay_alu instid0(VALU_DEP_3) | instskip(NEXT) | instid1(VALU_DEP_3)
	v_lshl_add_u32 v183, v183, 23, 0x3b800000
	v_and_b32_e32 v180, 0x80000000, v180
	s_delay_alu instid0(VALU_DEP_3) | instskip(NEXT) | instid1(VALU_DEP_1)
	v_cndmask_b32_e32 v181, v181, v40, vcc_lo
	v_lshlrev_b32_e32 v181, 20, v181
	s_delay_alu instid0(VALU_DEP_1)
	v_or3_b32 v181, v180, v183, v181
.LBB6_6554:                             ;   in Loop: Header=BB6_5432 Depth=2
	s_or_b32 exec_lo, exec_lo, s24
	s_delay_alu instid0(VALU_DEP_1) | instskip(NEXT) | instid1(VALU_DEP_1)
	v_dual_max_f32 v180, v181, v181 :: v_dual_max_f32 v181, v182, v182
	v_min_f32_e32 v182, v181, v180
.LBB6_6555:                             ;   in Loop: Header=BB6_5432 Depth=2
	s_delay_alu instid0(VALU_DEP_1) | instskip(NEXT) | instid1(VALU_DEP_1)
	v_and_b32_e32 v180, 0x7f800000, v182
	v_cmp_ne_u32_e32 vcc_lo, 0x7f800000, v180
	v_mov_b32_e32 v180, 0x80
	s_and_saveexec_b32 s24, vcc_lo
	s_cbranch_execz .LBB6_6563
; %bb.6556:                             ;   in Loop: Header=BB6_5432 Depth=2
	v_mov_b32_e32 v180, 0
	s_mov_b32 s25, exec_lo
	v_cmpx_ne_u32_e32 0, v182
	s_cbranch_execz .LBB6_6562
; %bb.6557:                             ;   in Loop: Header=BB6_5432 Depth=2
	v_bfe_u32 v180, v182, 23, 8
	v_and_b32_e32 v181, 0x7fffff, v182
	s_delay_alu instid0(VALU_DEP_2) | instskip(SKIP_1) | instid1(VALU_DEP_3)
	v_sub_nc_u32_e32 v183, 0x78, v180
	v_cmp_gt_u32_e32 vcc_lo, 0x79, v180
	v_or_b32_e32 v40, 0x800000, v181
	s_delay_alu instid0(VALU_DEP_3) | instskip(SKIP_2) | instid1(VALU_DEP_3)
	v_cndmask_b32_e32 v183, 0, v183, vcc_lo
	v_cmp_eq_u32_e32 vcc_lo, 0, v180
	v_add_nc_u32_e32 v180, 0xffffff89, v180
	v_cndmask_b32_e64 v183, v183, 0x77, vcc_lo
	v_cndmask_b32_e32 v181, v40, v181, vcc_lo
	s_delay_alu instid0(VALU_DEP_3) | instskip(NEXT) | instid1(VALU_DEP_3)
	v_cndmask_b32_e64 v180, v180, 0xffffff8a, vcc_lo
	v_lshl_add_u32 v40, 0x100000, v183, -1
	s_delay_alu instid0(VALU_DEP_3) | instskip(SKIP_1) | instid1(VALU_DEP_4)
	v_lshrrev_b32_e32 v41, v183, v181
	v_lshlrev_b32_e64 v43, v183, 0x80000
	v_add_nc_u32_e32 v183, v183, v180
	s_delay_alu instid0(VALU_DEP_4) | instskip(NEXT) | instid1(VALU_DEP_4)
	v_and_b32_e32 v181, v40, v181
	v_bfe_u32 v42, v41, 20, 1
	s_delay_alu instid0(VALU_DEP_2) | instskip(NEXT) | instid1(VALU_DEP_2)
	v_cmp_eq_u32_e64 s7, v181, v43
	v_add_nc_u32_e32 v40, -1, v42
	s_delay_alu instid0(VALU_DEP_1) | instskip(SKIP_2) | instid1(VALU_DEP_2)
	v_cndmask_b32_e64 v181, 0, v40, s7
	v_lshrrev_b32_e32 v40, 23, v41
	s_mov_b32 s7, exec_lo
	v_add_nc_u32_e32 v181, v181, v41
	s_delay_alu instid0(VALU_DEP_2) | instskip(NEXT) | instid1(VALU_DEP_2)
	v_xor_b32_e32 v40, 1, v40
	v_and_b32_e32 v180, 0xfffff, v181
	s_delay_alu instid0(VALU_DEP_1) | instskip(NEXT) | instid1(VALU_DEP_3)
	v_add_nc_u32_e32 v181, v180, v41
                                        ; implicit-def: $vgpr180
	v_cmpx_ne_u32_e64 v183, v40
	s_xor_b32 s7, exec_lo, s7
; %bb.6558:                             ;   in Loop: Header=BB6_5432 Depth=2
	s_delay_alu instid0(VALU_DEP_2) | instskip(SKIP_2) | instid1(VALU_DEP_2)
	v_cmp_lt_u32_e32 vcc_lo, 0xffffff, v181
	v_sub_nc_u32_e32 v180, v183, v40
	v_cndmask_b32_e64 v183, 0, 1, vcc_lo
	v_add_co_ci_u32_e32 v180, vcc_lo, 0, v180, vcc_lo
	s_delay_alu instid0(VALU_DEP_2)
	v_lshrrev_b32_e32 v181, v183, v181
; %bb.6559:                             ;   in Loop: Header=BB6_5432 Depth=2
	s_and_not1_saveexec_b32 s7, s7
; %bb.6560:                             ;   in Loop: Header=BB6_5432 Depth=2
	s_delay_alu instid0(VALU_DEP_1)
	v_bfe_u32 v180, v181, 23, 1
; %bb.6561:                             ;   in Loop: Header=BB6_5432 Depth=2
	s_or_b32 exec_lo, exec_lo, s7
	v_lshrrev_b32_e32 v181, 20, v181
	s_delay_alu instid0(VALU_DEP_2) | instskip(SKIP_2) | instid1(VALU_DEP_2)
	v_cmp_gt_i32_e32 vcc_lo, 16, v180
	v_lshrrev_b32_e32 v182, 24, v182
	v_min_i32_e32 v183, 15, v180
	v_dual_cndmask_b32 v181, 7, v181 :: v_dual_and_b32 v182, 0x80, v182
	s_delay_alu instid0(VALU_DEP_1) | instskip(SKIP_1) | instid1(VALU_DEP_2)
	v_or_b32_e32 v180, v180, v181
	v_and_b32_e32 v40, 7, v181
	v_cmp_ne_u32_e32 vcc_lo, 0, v180
	v_lshlrev_b32_e32 v183, 3, v183
	s_delay_alu instid0(VALU_DEP_1) | instskip(NEXT) | instid1(VALU_DEP_1)
	v_and_b32_e32 v183, 0xf8, v183
	v_or3_b32 v181, v183, v182, v40
	s_delay_alu instid0(VALU_DEP_1)
	v_cndmask_b32_e32 v180, 0, v181, vcc_lo
.LBB6_6562:                             ;   in Loop: Header=BB6_5432 Depth=2
	s_or_b32 exec_lo, exec_lo, s25
.LBB6_6563:                             ;   in Loop: Header=BB6_5432 Depth=2
	s_delay_alu instid0(SALU_CYCLE_1)
	s_or_b32 exec_lo, exec_lo, s24
	v_lshrrev_b32_e32 v182, 24, v23
	v_lshrrev_b32_e32 v181, 24, v19
	s_and_not1_b32 vcc_lo, exec_lo, s23
	s_cbranch_vccnz .LBB6_6573
; %bb.6564:                             ;   in Loop: Header=BB6_5432 Depth=2
	s_mov_b32 s7, 0
	s_mov_b32 s25, exec_lo
                                        ; implicit-def: $sgpr24
	v_cmpx_lt_i16_e64 0x7f, v182
	s_xor_b32 s25, exec_lo, s25
	s_cbranch_execnz .LBB6_7910
; %bb.6565:                             ;   in Loop: Header=BB6_5432 Depth=2
	s_or_saveexec_b32 s25, s25
	v_mov_b32_e32 v183, s24
	s_xor_b32 exec_lo, exec_lo, s25
	s_cbranch_execnz .LBB6_7913
.LBB6_6566:                             ;   in Loop: Header=BB6_5432 Depth=2
	s_or_b32 exec_lo, exec_lo, s25
	s_and_saveexec_b32 s24, s7
	s_cbranch_execz .LBB6_6568
.LBB6_6567:                             ;   in Loop: Header=BB6_5432 Depth=2
	v_bfe_u32 v183, v23, 24, 3
	v_bfe_u32 v42, v23, 27, 4
	s_delay_alu instid0(VALU_DEP_2) | instskip(NEXT) | instid1(VALU_DEP_2)
	v_clz_i32_u32_e32 v40, v183
	v_cmp_eq_u32_e32 vcc_lo, 0, v42
	s_delay_alu instid0(VALU_DEP_2) | instskip(NEXT) | instid1(VALU_DEP_1)
	v_min_u32_e32 v40, 32, v40
	v_subrev_nc_u32_e32 v41, 28, v40
	v_sub_nc_u32_e32 v40, 29, v40
	s_delay_alu instid0(VALU_DEP_1) | instskip(NEXT) | instid1(VALU_DEP_1)
	v_dual_cndmask_b32 v40, v42, v40 :: v_dual_lshlrev_b32 v41, v41, v182
	v_and_b32_e32 v41, 7, v41
	s_delay_alu instid0(VALU_DEP_2) | instskip(NEXT) | instid1(VALU_DEP_2)
	v_lshl_add_u32 v40, v40, 23, 0x3b800000
	v_cndmask_b32_e32 v183, v183, v41, vcc_lo
	v_and_b32_e32 v41, 0x80000000, v23
	s_delay_alu instid0(VALU_DEP_2) | instskip(NEXT) | instid1(VALU_DEP_1)
	v_lshlrev_b32_e32 v183, 20, v183
	v_or3_b32 v183, v41, v40, v183
.LBB6_6568:                             ;   in Loop: Header=BB6_5432 Depth=2
	s_or_b32 exec_lo, exec_lo, s24
	s_mov_b32 s7, 0
	s_mov_b32 s25, exec_lo
                                        ; implicit-def: $sgpr24
	v_cmpx_lt_i16_e64 0x7f, v181
	s_xor_b32 s25, exec_lo, s25
	s_cbranch_execnz .LBB6_7914
; %bb.6569:                             ;   in Loop: Header=BB6_5432 Depth=2
	s_or_saveexec_b32 s25, s25
	v_mov_b32_e32 v40, s24
	s_xor_b32 exec_lo, exec_lo, s25
	s_cbranch_execnz .LBB6_7917
.LBB6_6570:                             ;   in Loop: Header=BB6_5432 Depth=2
	s_or_b32 exec_lo, exec_lo, s25
	s_and_saveexec_b32 s24, s7
	s_cbranch_execz .LBB6_6572
.LBB6_6571:                             ;   in Loop: Header=BB6_5432 Depth=2
	v_bfe_u32 v40, v19, 24, 3
	v_bfe_u32 v43, v19, 27, 4
	s_delay_alu instid0(VALU_DEP_2) | instskip(NEXT) | instid1(VALU_DEP_2)
	v_clz_i32_u32_e32 v41, v40
	v_cmp_eq_u32_e32 vcc_lo, 0, v43
	s_delay_alu instid0(VALU_DEP_2) | instskip(NEXT) | instid1(VALU_DEP_1)
	v_min_u32_e32 v41, 32, v41
	v_subrev_nc_u32_e32 v42, 28, v41
	v_sub_nc_u32_e32 v41, 29, v41
	s_delay_alu instid0(VALU_DEP_2) | instskip(NEXT) | instid1(VALU_DEP_1)
	v_lshlrev_b32_e32 v42, v42, v181
	v_dual_cndmask_b32 v41, v43, v41 :: v_dual_and_b32 v42, 7, v42
	s_delay_alu instid0(VALU_DEP_1) | instskip(NEXT) | instid1(VALU_DEP_2)
	v_lshl_add_u32 v41, v41, 23, 0x3b800000
	v_cndmask_b32_e32 v40, v40, v42, vcc_lo
	v_and_b32_e32 v42, 0x80000000, v19
	s_delay_alu instid0(VALU_DEP_2) | instskip(NEXT) | instid1(VALU_DEP_1)
	v_lshlrev_b32_e32 v40, 20, v40
	v_or3_b32 v40, v42, v41, v40
.LBB6_6572:                             ;   in Loop: Header=BB6_5432 Depth=2
	s_or_b32 exec_lo, exec_lo, s24
	s_delay_alu instid0(VALU_DEP_1) | instskip(SKIP_1) | instid1(VALU_DEP_1)
	v_dual_max_f32 v40, v40, v40 :: v_dual_max_f32 v183, v183, v183
	s_mov_b32 s7, 0
	v_max_f32_e32 v183, v183, v40
	s_branch .LBB6_6574
.LBB6_6573:                             ;   in Loop: Header=BB6_5432 Depth=2
	s_mov_b32 s7, -1
                                        ; implicit-def: $vgpr183
.LBB6_6574:                             ;   in Loop: Header=BB6_5432 Depth=2
	s_delay_alu instid0(SALU_CYCLE_1)
	s_and_b32 vcc_lo, exec_lo, s7
	s_cbranch_vccz .LBB6_6584
; %bb.6575:                             ;   in Loop: Header=BB6_5432 Depth=2
	s_mov_b32 s7, 0
	s_mov_b32 s25, exec_lo
                                        ; implicit-def: $sgpr24
	v_cmpx_lt_i16_e64 0x7f, v182
	s_xor_b32 s25, exec_lo, s25
	s_cbranch_execnz .LBB6_7918
; %bb.6576:                             ;   in Loop: Header=BB6_5432 Depth=2
	s_or_saveexec_b32 s25, s25
	v_mov_b32_e32 v183, s24
	s_xor_b32 exec_lo, exec_lo, s25
	s_cbranch_execnz .LBB6_7921
.LBB6_6577:                             ;   in Loop: Header=BB6_5432 Depth=2
	s_or_b32 exec_lo, exec_lo, s25
	s_and_saveexec_b32 s24, s7
	s_cbranch_execz .LBB6_6579
.LBB6_6578:                             ;   in Loop: Header=BB6_5432 Depth=2
	v_bfe_u32 v183, v23, 24, 3
	s_delay_alu instid0(VALU_DEP_1) | instskip(NEXT) | instid1(VALU_DEP_1)
	v_clz_i32_u32_e32 v40, v183
	v_min_u32_e32 v40, 32, v40
	s_delay_alu instid0(VALU_DEP_1) | instskip(SKIP_1) | instid1(VALU_DEP_2)
	v_subrev_nc_u32_e32 v41, 28, v40
	v_sub_nc_u32_e32 v40, 29, v40
	v_lshlrev_b32_e32 v182, v41, v182
	v_bfe_u32 v41, v23, 27, 4
	v_and_b32_e32 v23, 0x80000000, v23
	s_delay_alu instid0(VALU_DEP_3) | instskip(NEXT) | instid1(VALU_DEP_3)
	v_and_b32_e32 v182, 7, v182
	v_cmp_eq_u32_e32 vcc_lo, 0, v41
	v_cndmask_b32_e32 v40, v41, v40, vcc_lo
	s_delay_alu instid0(VALU_DEP_3) | instskip(NEXT) | instid1(VALU_DEP_2)
	v_cndmask_b32_e32 v182, v183, v182, vcc_lo
	v_lshl_add_u32 v183, v40, 23, 0x3b800000
	s_delay_alu instid0(VALU_DEP_2) | instskip(NEXT) | instid1(VALU_DEP_1)
	v_lshlrev_b32_e32 v182, 20, v182
	v_or3_b32 v183, v23, v183, v182
.LBB6_6579:                             ;   in Loop: Header=BB6_5432 Depth=2
	s_or_b32 exec_lo, exec_lo, s24
	s_mov_b32 s7, 0
	s_mov_b32 s25, exec_lo
                                        ; implicit-def: $sgpr24
	v_cmpx_lt_i16_e64 0x7f, v181
	s_xor_b32 s25, exec_lo, s25
	s_cbranch_execnz .LBB6_7922
; %bb.6580:                             ;   in Loop: Header=BB6_5432 Depth=2
	s_or_saveexec_b32 s25, s25
	v_mov_b32_e32 v23, s24
	s_xor_b32 exec_lo, exec_lo, s25
	s_cbranch_execnz .LBB6_7925
.LBB6_6581:                             ;   in Loop: Header=BB6_5432 Depth=2
	s_or_b32 exec_lo, exec_lo, s25
	s_and_saveexec_b32 s24, s7
	s_cbranch_execz .LBB6_6583
.LBB6_6582:                             ;   in Loop: Header=BB6_5432 Depth=2
	v_bfe_u32 v23, v19, 24, 3
	s_delay_alu instid0(VALU_DEP_1) | instskip(NEXT) | instid1(VALU_DEP_1)
	v_clz_i32_u32_e32 v182, v23
	v_min_u32_e32 v182, 32, v182
	s_delay_alu instid0(VALU_DEP_1) | instskip(SKIP_1) | instid1(VALU_DEP_2)
	v_subrev_nc_u32_e32 v40, 28, v182
	v_sub_nc_u32_e32 v182, 29, v182
	v_lshlrev_b32_e32 v181, v40, v181
	v_bfe_u32 v40, v19, 27, 4
	v_and_b32_e32 v19, 0x80000000, v19
	s_delay_alu instid0(VALU_DEP_2) | instskip(NEXT) | instid1(VALU_DEP_4)
	v_cmp_eq_u32_e32 vcc_lo, 0, v40
	v_dual_cndmask_b32 v182, v40, v182 :: v_dual_and_b32 v181, 7, v181
	s_delay_alu instid0(VALU_DEP_1) | instskip(NEXT) | instid1(VALU_DEP_2)
	v_cndmask_b32_e32 v23, v23, v181, vcc_lo
	v_lshl_add_u32 v181, v182, 23, 0x3b800000
	s_delay_alu instid0(VALU_DEP_2) | instskip(NEXT) | instid1(VALU_DEP_1)
	v_lshlrev_b32_e32 v23, 20, v23
	v_or3_b32 v23, v19, v181, v23
.LBB6_6583:                             ;   in Loop: Header=BB6_5432 Depth=2
	s_or_b32 exec_lo, exec_lo, s24
	s_delay_alu instid0(VALU_DEP_1) | instskip(SKIP_1) | instid1(VALU_DEP_1)
	v_max_f32_e32 v19, v23, v23
	v_max_f32_e32 v23, v183, v183
	v_min_f32_e32 v183, v23, v19
.LBB6_6584:                             ;   in Loop: Header=BB6_5432 Depth=2
	s_delay_alu instid0(VALU_DEP_1) | instskip(NEXT) | instid1(VALU_DEP_1)
	v_and_b32_e32 v19, 0x7f800000, v183
	v_cmp_ne_u32_e32 vcc_lo, 0x7f800000, v19
	v_mov_b32_e32 v19, 0x8000
	s_and_saveexec_b32 s24, vcc_lo
	s_cbranch_execz .LBB6_6592
; %bb.6585:                             ;   in Loop: Header=BB6_5432 Depth=2
	v_mov_b32_e32 v19, 0
	s_mov_b32 s25, exec_lo
	v_cmpx_ne_u32_e32 0, v183
	s_cbranch_execz .LBB6_6591
; %bb.6586:                             ;   in Loop: Header=BB6_5432 Depth=2
	v_bfe_u32 v19, v183, 23, 8
	v_and_b32_e32 v23, 0x7fffff, v183
	s_delay_alu instid0(VALU_DEP_2) | instskip(SKIP_1) | instid1(VALU_DEP_3)
	v_sub_nc_u32_e32 v181, 0x78, v19
	v_cmp_gt_u32_e32 vcc_lo, 0x79, v19
	v_or_b32_e32 v182, 0x800000, v23
	s_delay_alu instid0(VALU_DEP_3) | instskip(SKIP_2) | instid1(VALU_DEP_3)
	v_cndmask_b32_e32 v181, 0, v181, vcc_lo
	v_cmp_eq_u32_e32 vcc_lo, 0, v19
	v_add_nc_u32_e32 v19, 0xffffff89, v19
	v_cndmask_b32_e64 v181, v181, 0x77, vcc_lo
	v_cndmask_b32_e32 v23, v182, v23, vcc_lo
	s_delay_alu instid0(VALU_DEP_3) | instskip(NEXT) | instid1(VALU_DEP_3)
	v_cndmask_b32_e64 v19, v19, 0xffffff8a, vcc_lo
	v_lshl_add_u32 v182, 0x100000, v181, -1
	s_delay_alu instid0(VALU_DEP_3) | instskip(SKIP_1) | instid1(VALU_DEP_4)
	v_lshrrev_b32_e32 v40, v181, v23
	v_lshlrev_b32_e64 v42, v181, 0x80000
	v_add_nc_u32_e32 v181, v181, v19
	s_delay_alu instid0(VALU_DEP_4) | instskip(NEXT) | instid1(VALU_DEP_4)
	v_and_b32_e32 v23, v182, v23
	v_bfe_u32 v41, v40, 20, 1
	s_delay_alu instid0(VALU_DEP_2) | instskip(NEXT) | instid1(VALU_DEP_2)
	v_cmp_eq_u32_e64 s7, v23, v42
	v_add_nc_u32_e32 v182, -1, v41
	s_delay_alu instid0(VALU_DEP_1) | instskip(SKIP_2) | instid1(VALU_DEP_2)
	v_cndmask_b32_e64 v23, 0, v182, s7
	v_lshrrev_b32_e32 v182, 23, v40
	s_mov_b32 s7, exec_lo
	v_add_nc_u32_e32 v23, v23, v40
	s_delay_alu instid0(VALU_DEP_2) | instskip(NEXT) | instid1(VALU_DEP_2)
	v_xor_b32_e32 v182, 1, v182
	v_and_b32_e32 v19, 0xfffff, v23
	s_delay_alu instid0(VALU_DEP_1) | instskip(NEXT) | instid1(VALU_DEP_3)
	v_add_nc_u32_e32 v23, v19, v40
                                        ; implicit-def: $vgpr19
	v_cmpx_ne_u32_e64 v181, v182
	s_xor_b32 s7, exec_lo, s7
; %bb.6587:                             ;   in Loop: Header=BB6_5432 Depth=2
	s_delay_alu instid0(VALU_DEP_2) | instskip(SKIP_2) | instid1(VALU_DEP_2)
	v_cmp_lt_u32_e32 vcc_lo, 0xffffff, v23
	v_sub_nc_u32_e32 v19, v181, v182
	v_cndmask_b32_e64 v181, 0, 1, vcc_lo
	v_add_co_ci_u32_e32 v19, vcc_lo, 0, v19, vcc_lo
	s_delay_alu instid0(VALU_DEP_2)
	v_lshrrev_b32_e32 v23, v181, v23
; %bb.6588:                             ;   in Loop: Header=BB6_5432 Depth=2
	s_and_not1_saveexec_b32 s7, s7
; %bb.6589:                             ;   in Loop: Header=BB6_5432 Depth=2
	s_delay_alu instid0(VALU_DEP_1)
	v_bfe_u32 v19, v23, 23, 1
; %bb.6590:                             ;   in Loop: Header=BB6_5432 Depth=2
	s_or_b32 exec_lo, exec_lo, s7
	v_lshrrev_b32_e32 v23, 20, v23
	s_delay_alu instid0(VALU_DEP_2) | instskip(SKIP_2) | instid1(VALU_DEP_3)
	v_min_i32_e32 v181, 15, v19
	v_cmp_gt_i32_e32 vcc_lo, 16, v19
	v_lshrrev_b32_e32 v182, 24, v183
	v_lshlrev_b32_e32 v181, 3, v181
	s_delay_alu instid0(VALU_DEP_2) | instskip(NEXT) | instid1(VALU_DEP_2)
	v_dual_cndmask_b32 v23, 7, v23 :: v_dual_and_b32 v182, 0x80, v182
	v_and_b32_e32 v181, 0xf8, v181
	s_delay_alu instid0(VALU_DEP_2) | instskip(SKIP_1) | instid1(VALU_DEP_2)
	v_and_b32_e32 v183, 7, v23
	v_or_b32_e32 v19, v19, v23
	v_or3_b32 v181, v182, v181, v183
	s_delay_alu instid0(VALU_DEP_2) | instskip(NEXT) | instid1(VALU_DEP_2)
	v_cmp_ne_u32_e32 vcc_lo, 0, v19
	v_lshlrev_b32_e32 v23, 8, v181
	s_delay_alu instid0(VALU_DEP_1)
	v_cndmask_b32_e32 v19, 0, v23, vcc_lo
.LBB6_6591:                             ;   in Loop: Header=BB6_5432 Depth=2
	s_or_b32 exec_lo, exec_lo, s25
.LBB6_6592:                             ;   in Loop: Header=BB6_5432 Depth=2
	s_delay_alu instid0(SALU_CYCLE_1) | instskip(NEXT) | instid1(SALU_CYCLE_1)
	s_or_b32 exec_lo, exec_lo, s24
	s_and_not1_b32 vcc_lo, exec_lo, s23
	s_cbranch_vccnz .LBB6_6602
; %bb.6593:                             ;   in Loop: Header=BB6_5432 Depth=2
	v_and_b32_e32 v181, 0xff, v24
	s_mov_b32 s7, 0
	s_mov_b32 s25, exec_lo
                                        ; implicit-def: $sgpr24
	s_delay_alu instid0(VALU_DEP_1)
	v_cmpx_lt_i16_e64 0x7f, v181
	s_xor_b32 s25, exec_lo, s25
	s_cbranch_execnz .LBB6_7926
; %bb.6594:                             ;   in Loop: Header=BB6_5432 Depth=2
	s_or_saveexec_b32 s25, s25
	v_mov_b32_e32 v23, s24
	s_xor_b32 exec_lo, exec_lo, s25
	s_cbranch_execnz .LBB6_7929
.LBB6_6595:                             ;   in Loop: Header=BB6_5432 Depth=2
	s_or_b32 exec_lo, exec_lo, s25
	s_and_saveexec_b32 s24, s7
	s_cbranch_execz .LBB6_6597
.LBB6_6596:                             ;   in Loop: Header=BB6_5432 Depth=2
	v_and_b32_e32 v23, 7, v24
	v_bfe_u32 v183, v24, 3, 4
	s_delay_alu instid0(VALU_DEP_2) | instskip(NEXT) | instid1(VALU_DEP_2)
	v_clz_i32_u32_e32 v181, v23
	v_cmp_eq_u32_e32 vcc_lo, 0, v183
	s_delay_alu instid0(VALU_DEP_2) | instskip(NEXT) | instid1(VALU_DEP_1)
	v_min_u32_e32 v181, 32, v181
	v_subrev_nc_u32_e32 v182, 28, v181
	v_sub_nc_u32_e32 v181, 29, v181
	s_delay_alu instid0(VALU_DEP_1) | instskip(NEXT) | instid1(VALU_DEP_1)
	v_dual_cndmask_b32 v181, v183, v181 :: v_dual_lshlrev_b32 v182, v182, v24
	v_and_b32_e32 v182, 7, v182
	v_lshlrev_b32_e32 v40, 24, v24
	s_delay_alu instid0(VALU_DEP_3) | instskip(NEXT) | instid1(VALU_DEP_2)
	v_lshl_add_u32 v181, v181, 23, 0x3b800000
	v_dual_cndmask_b32 v23, v23, v182 :: v_dual_and_b32 v182, 0x80000000, v40
	s_delay_alu instid0(VALU_DEP_1) | instskip(NEXT) | instid1(VALU_DEP_1)
	v_lshlrev_b32_e32 v23, 20, v23
	v_or3_b32 v23, v182, v181, v23
.LBB6_6597:                             ;   in Loop: Header=BB6_5432 Depth=2
	s_or_b32 exec_lo, exec_lo, s24
	v_and_b32_e32 v182, 0xff, v20
	s_mov_b32 s7, 0
	s_mov_b32 s25, exec_lo
                                        ; implicit-def: $sgpr24
	s_delay_alu instid0(VALU_DEP_1)
	v_cmpx_lt_i16_e64 0x7f, v182
	s_xor_b32 s25, exec_lo, s25
	s_cbranch_execnz .LBB6_7930
; %bb.6598:                             ;   in Loop: Header=BB6_5432 Depth=2
	s_or_saveexec_b32 s25, s25
	v_mov_b32_e32 v181, s24
	s_xor_b32 exec_lo, exec_lo, s25
	s_cbranch_execnz .LBB6_7933
.LBB6_6599:                             ;   in Loop: Header=BB6_5432 Depth=2
	s_or_b32 exec_lo, exec_lo, s25
	s_and_saveexec_b32 s24, s7
	s_cbranch_execz .LBB6_6601
.LBB6_6600:                             ;   in Loop: Header=BB6_5432 Depth=2
	v_bfe_u32 v40, v20, 3, 4
	v_lshlrev_b32_e32 v41, 24, v20
	s_delay_alu instid0(VALU_DEP_2) | instskip(SKIP_1) | instid1(VALU_DEP_1)
	v_cmp_eq_u32_e32 vcc_lo, 0, v40
	v_and_b32_e32 v181, 7, v20
	v_clz_i32_u32_e32 v182, v181
	s_delay_alu instid0(VALU_DEP_1) | instskip(NEXT) | instid1(VALU_DEP_1)
	v_min_u32_e32 v182, 32, v182
	v_subrev_nc_u32_e32 v183, 28, v182
	v_sub_nc_u32_e32 v182, 29, v182
	s_delay_alu instid0(VALU_DEP_1) | instskip(NEXT) | instid1(VALU_DEP_1)
	v_dual_cndmask_b32 v182, v40, v182 :: v_dual_lshlrev_b32 v183, v183, v20
	v_and_b32_e32 v183, 7, v183
	s_delay_alu instid0(VALU_DEP_2) | instskip(NEXT) | instid1(VALU_DEP_2)
	v_lshl_add_u32 v182, v182, 23, 0x3b800000
	v_cndmask_b32_e32 v181, v181, v183, vcc_lo
	v_and_b32_e32 v183, 0x80000000, v41
	s_delay_alu instid0(VALU_DEP_2) | instskip(NEXT) | instid1(VALU_DEP_1)
	v_lshlrev_b32_e32 v181, 20, v181
	v_or3_b32 v181, v183, v182, v181
.LBB6_6601:                             ;   in Loop: Header=BB6_5432 Depth=2
	s_or_b32 exec_lo, exec_lo, s24
	s_delay_alu instid0(VALU_DEP_1) | instskip(SKIP_2) | instid1(VALU_DEP_1)
	v_max_f32_e32 v181, v181, v181
	v_max_f32_e32 v23, v23, v23
	s_mov_b32 s7, 0
	v_max_f32_e32 v181, v23, v181
	s_branch .LBB6_6603
.LBB6_6602:                             ;   in Loop: Header=BB6_5432 Depth=2
	s_mov_b32 s7, -1
                                        ; implicit-def: $vgpr181
.LBB6_6603:                             ;   in Loop: Header=BB6_5432 Depth=2
	s_delay_alu instid0(SALU_CYCLE_1)
	s_and_b32 vcc_lo, exec_lo, s7
	s_cbranch_vccz .LBB6_6613
; %bb.6604:                             ;   in Loop: Header=BB6_5432 Depth=2
	v_and_b32_e32 v181, 0xff, v24
	s_mov_b32 s7, 0
	s_mov_b32 s25, exec_lo
                                        ; implicit-def: $sgpr24
	s_delay_alu instid0(VALU_DEP_1)
	v_cmpx_lt_i16_e64 0x7f, v181
	s_xor_b32 s25, exec_lo, s25
	s_cbranch_execnz .LBB6_7934
; %bb.6605:                             ;   in Loop: Header=BB6_5432 Depth=2
	s_or_saveexec_b32 s25, s25
	v_mov_b32_e32 v23, s24
	s_xor_b32 exec_lo, exec_lo, s25
	s_cbranch_execnz .LBB6_7937
.LBB6_6606:                             ;   in Loop: Header=BB6_5432 Depth=2
	s_or_b32 exec_lo, exec_lo, s25
	s_and_saveexec_b32 s24, s7
	s_cbranch_execz .LBB6_6608
.LBB6_6607:                             ;   in Loop: Header=BB6_5432 Depth=2
	v_and_b32_e32 v23, 7, v24
	v_bfe_u32 v183, v24, 3, 4
	s_delay_alu instid0(VALU_DEP_2) | instskip(NEXT) | instid1(VALU_DEP_2)
	v_clz_i32_u32_e32 v181, v23
	v_cmp_eq_u32_e32 vcc_lo, 0, v183
	s_delay_alu instid0(VALU_DEP_2) | instskip(NEXT) | instid1(VALU_DEP_1)
	v_min_u32_e32 v181, 32, v181
	v_subrev_nc_u32_e32 v182, 28, v181
	v_sub_nc_u32_e32 v181, 29, v181
	s_delay_alu instid0(VALU_DEP_1) | instskip(NEXT) | instid1(VALU_DEP_1)
	v_dual_cndmask_b32 v181, v183, v181 :: v_dual_lshlrev_b32 v182, v182, v24
	v_and_b32_e32 v182, 7, v182
	v_lshlrev_b32_e32 v40, 24, v24
	s_delay_alu instid0(VALU_DEP_3) | instskip(NEXT) | instid1(VALU_DEP_2)
	v_lshl_add_u32 v181, v181, 23, 0x3b800000
	v_dual_cndmask_b32 v23, v23, v182 :: v_dual_and_b32 v182, 0x80000000, v40
	s_delay_alu instid0(VALU_DEP_1) | instskip(NEXT) | instid1(VALU_DEP_1)
	v_lshlrev_b32_e32 v23, 20, v23
	v_or3_b32 v23, v182, v181, v23
.LBB6_6608:                             ;   in Loop: Header=BB6_5432 Depth=2
	s_or_b32 exec_lo, exec_lo, s24
	v_and_b32_e32 v182, 0xff, v20
	s_mov_b32 s7, 0
	s_mov_b32 s25, exec_lo
                                        ; implicit-def: $sgpr24
	s_delay_alu instid0(VALU_DEP_1)
	v_cmpx_lt_i16_e64 0x7f, v182
	s_xor_b32 s25, exec_lo, s25
	s_cbranch_execnz .LBB6_7938
; %bb.6609:                             ;   in Loop: Header=BB6_5432 Depth=2
	s_or_saveexec_b32 s25, s25
	v_mov_b32_e32 v181, s24
	s_xor_b32 exec_lo, exec_lo, s25
	s_cbranch_execnz .LBB6_7941
.LBB6_6610:                             ;   in Loop: Header=BB6_5432 Depth=2
	s_or_b32 exec_lo, exec_lo, s25
	s_and_saveexec_b32 s24, s7
	s_cbranch_execz .LBB6_6612
.LBB6_6611:                             ;   in Loop: Header=BB6_5432 Depth=2
	v_bfe_u32 v40, v20, 3, 4
	v_lshlrev_b32_e32 v41, 24, v20
	s_delay_alu instid0(VALU_DEP_2) | instskip(SKIP_1) | instid1(VALU_DEP_1)
	v_cmp_eq_u32_e32 vcc_lo, 0, v40
	v_and_b32_e32 v181, 7, v20
	v_clz_i32_u32_e32 v182, v181
	s_delay_alu instid0(VALU_DEP_1) | instskip(NEXT) | instid1(VALU_DEP_1)
	v_min_u32_e32 v182, 32, v182
	v_subrev_nc_u32_e32 v183, 28, v182
	v_sub_nc_u32_e32 v182, 29, v182
	s_delay_alu instid0(VALU_DEP_1) | instskip(NEXT) | instid1(VALU_DEP_1)
	v_dual_cndmask_b32 v182, v40, v182 :: v_dual_lshlrev_b32 v183, v183, v20
	v_and_b32_e32 v183, 7, v183
	s_delay_alu instid0(VALU_DEP_2) | instskip(NEXT) | instid1(VALU_DEP_2)
	v_lshl_add_u32 v182, v182, 23, 0x3b800000
	v_cndmask_b32_e32 v181, v181, v183, vcc_lo
	v_and_b32_e32 v183, 0x80000000, v41
	s_delay_alu instid0(VALU_DEP_2) | instskip(NEXT) | instid1(VALU_DEP_1)
	v_lshlrev_b32_e32 v181, 20, v181
	v_or3_b32 v181, v183, v182, v181
.LBB6_6612:                             ;   in Loop: Header=BB6_5432 Depth=2
	s_or_b32 exec_lo, exec_lo, s24
	s_delay_alu instid0(VALU_DEP_1) | instskip(SKIP_1) | instid1(VALU_DEP_1)
	v_max_f32_e32 v181, v181, v181
	v_max_f32_e32 v23, v23, v23
	v_min_f32_e32 v181, v23, v181
.LBB6_6613:                             ;   in Loop: Header=BB6_5432 Depth=2
	s_delay_alu instid0(VALU_DEP_1) | instskip(NEXT) | instid1(VALU_DEP_1)
	v_and_b32_e32 v23, 0x7f800000, v181
	v_cmp_ne_u32_e32 vcc_lo, 0x7f800000, v23
	v_mov_b32_e32 v23, 0x80
	s_and_saveexec_b32 s24, vcc_lo
	s_cbranch_execz .LBB6_6621
; %bb.6614:                             ;   in Loop: Header=BB6_5432 Depth=2
	v_mov_b32_e32 v23, 0
	s_mov_b32 s25, exec_lo
	v_cmpx_ne_u32_e32 0, v181
	s_cbranch_execz .LBB6_6620
; %bb.6615:                             ;   in Loop: Header=BB6_5432 Depth=2
	v_bfe_u32 v23, v181, 23, 8
	s_delay_alu instid0(VALU_DEP_1) | instskip(SKIP_1) | instid1(VALU_DEP_2)
	v_sub_nc_u32_e32 v183, 0x78, v23
	v_cmp_gt_u32_e32 vcc_lo, 0x79, v23
	v_dual_cndmask_b32 v183, 0, v183 :: v_dual_and_b32 v182, 0x7fffff, v181
	s_delay_alu instid0(VALU_DEP_1) | instskip(SKIP_2) | instid1(VALU_DEP_4)
	v_or_b32_e32 v40, 0x800000, v182
	v_cmp_eq_u32_e32 vcc_lo, 0, v23
	v_add_nc_u32_e32 v23, 0xffffff89, v23
	v_cndmask_b32_e64 v183, v183, 0x77, vcc_lo
	s_delay_alu instid0(VALU_DEP_4) | instskip(NEXT) | instid1(VALU_DEP_3)
	v_cndmask_b32_e32 v182, v40, v182, vcc_lo
	v_cndmask_b32_e64 v23, v23, 0xffffff8a, vcc_lo
	s_delay_alu instid0(VALU_DEP_3) | instskip(NEXT) | instid1(VALU_DEP_3)
	v_lshl_add_u32 v40, 0x100000, v183, -1
	v_lshrrev_b32_e32 v41, v183, v182
	v_lshlrev_b32_e64 v43, v183, 0x80000
	s_delay_alu instid0(VALU_DEP_4) | instskip(NEXT) | instid1(VALU_DEP_4)
	v_add_nc_u32_e32 v183, v183, v23
	v_and_b32_e32 v182, v40, v182
	s_delay_alu instid0(VALU_DEP_4) | instskip(NEXT) | instid1(VALU_DEP_2)
	v_bfe_u32 v42, v41, 20, 1
	v_cmp_eq_u32_e64 s7, v182, v43
	s_delay_alu instid0(VALU_DEP_2) | instskip(NEXT) | instid1(VALU_DEP_1)
	v_add_nc_u32_e32 v40, -1, v42
	v_cndmask_b32_e64 v182, 0, v40, s7
	v_lshrrev_b32_e32 v40, 23, v41
	s_mov_b32 s7, exec_lo
	s_delay_alu instid0(VALU_DEP_2) | instskip(NEXT) | instid1(VALU_DEP_2)
	v_add_nc_u32_e32 v182, v182, v41
	v_xor_b32_e32 v40, 1, v40
	s_delay_alu instid0(VALU_DEP_2) | instskip(NEXT) | instid1(VALU_DEP_1)
	v_and_b32_e32 v23, 0xfffff, v182
	v_add_nc_u32_e32 v182, v23, v41
                                        ; implicit-def: $vgpr23
	s_delay_alu instid0(VALU_DEP_3)
	v_cmpx_ne_u32_e64 v183, v40
	s_xor_b32 s7, exec_lo, s7
; %bb.6616:                             ;   in Loop: Header=BB6_5432 Depth=2
	s_delay_alu instid0(VALU_DEP_2) | instskip(SKIP_2) | instid1(VALU_DEP_2)
	v_cmp_lt_u32_e32 vcc_lo, 0xffffff, v182
	v_sub_nc_u32_e32 v23, v183, v40
	v_cndmask_b32_e64 v183, 0, 1, vcc_lo
	v_add_co_ci_u32_e32 v23, vcc_lo, 0, v23, vcc_lo
	s_delay_alu instid0(VALU_DEP_2)
	v_lshrrev_b32_e32 v182, v183, v182
; %bb.6617:                             ;   in Loop: Header=BB6_5432 Depth=2
	s_and_not1_saveexec_b32 s7, s7
; %bb.6618:                             ;   in Loop: Header=BB6_5432 Depth=2
	s_delay_alu instid0(VALU_DEP_1)
	v_bfe_u32 v23, v182, 23, 1
; %bb.6619:                             ;   in Loop: Header=BB6_5432 Depth=2
	s_or_b32 exec_lo, exec_lo, s7
	v_lshrrev_b32_e32 v182, 20, v182
	s_delay_alu instid0(VALU_DEP_2) | instskip(SKIP_2) | instid1(VALU_DEP_2)
	v_cmp_gt_i32_e32 vcc_lo, 16, v23
	v_lshrrev_b32_e32 v181, 24, v181
	v_min_i32_e32 v183, 15, v23
	v_dual_cndmask_b32 v182, 7, v182 :: v_dual_and_b32 v181, 0x80, v181
	s_delay_alu instid0(VALU_DEP_2) | instskip(NEXT) | instid1(VALU_DEP_2)
	v_lshlrev_b32_e32 v183, 3, v183
	v_or_b32_e32 v23, v23, v182
	s_delay_alu instid0(VALU_DEP_1) | instskip(SKIP_1) | instid1(VALU_DEP_1)
	v_cmp_ne_u32_e32 vcc_lo, 0, v23
	v_and_b32_e32 v40, 7, v182
	v_or3_b32 v181, v183, v181, v40
	s_delay_alu instid0(VALU_DEP_1)
	v_cndmask_b32_e32 v23, 0, v181, vcc_lo
.LBB6_6620:                             ;   in Loop: Header=BB6_5432 Depth=2
	s_or_b32 exec_lo, exec_lo, s25
.LBB6_6621:                             ;   in Loop: Header=BB6_5432 Depth=2
	s_delay_alu instid0(SALU_CYCLE_1)
	s_or_b32 exec_lo, exec_lo, s24
	v_lshrrev_b16 v182, 8, v24
	v_lshrrev_b16 v181, 8, v20
	s_and_not1_b32 vcc_lo, exec_lo, s23
	s_cbranch_vccnz .LBB6_6631
; %bb.6622:                             ;   in Loop: Header=BB6_5432 Depth=2
	s_mov_b32 s7, 0
	s_mov_b32 s25, exec_lo
                                        ; implicit-def: $sgpr24
	v_cmpx_lt_i16_e64 0x7f, v182
	s_xor_b32 s25, exec_lo, s25
	s_cbranch_execnz .LBB6_7942
; %bb.6623:                             ;   in Loop: Header=BB6_5432 Depth=2
	s_or_saveexec_b32 s25, s25
	v_mov_b32_e32 v183, s24
	s_xor_b32 exec_lo, exec_lo, s25
	s_cbranch_execnz .LBB6_7945
.LBB6_6624:                             ;   in Loop: Header=BB6_5432 Depth=2
	s_or_b32 exec_lo, exec_lo, s25
	s_and_saveexec_b32 s24, s7
	s_cbranch_execz .LBB6_6626
.LBB6_6625:                             ;   in Loop: Header=BB6_5432 Depth=2
	v_and_b32_e32 v183, 0xffff, v182
	s_delay_alu instid0(VALU_DEP_1) | instskip(NEXT) | instid1(VALU_DEP_1)
	v_and_b32_e32 v40, 7, v183
	v_clz_i32_u32_e32 v41, v40
	s_delay_alu instid0(VALU_DEP_1) | instskip(NEXT) | instid1(VALU_DEP_1)
	v_min_u32_e32 v41, 32, v41
	v_subrev_nc_u32_e32 v42, 28, v41
	v_sub_nc_u32_e32 v41, 29, v41
	s_delay_alu instid0(VALU_DEP_2) | instskip(SKIP_1) | instid1(VALU_DEP_2)
	v_lshlrev_b32_e32 v42, v42, v183
	v_bfe_u32 v183, v183, 3, 4
	v_and_b32_e32 v42, 7, v42
	s_delay_alu instid0(VALU_DEP_2) | instskip(SKIP_1) | instid1(VALU_DEP_3)
	v_cmp_eq_u32_e32 vcc_lo, 0, v183
	v_cndmask_b32_e32 v183, v183, v41, vcc_lo
	v_dual_cndmask_b32 v40, v40, v42 :: v_dual_lshlrev_b32 v43, 16, v24
	s_delay_alu instid0(VALU_DEP_2) | instskip(NEXT) | instid1(VALU_DEP_2)
	v_lshl_add_u32 v183, v183, 23, 0x3b800000
	v_and_b32_e32 v41, 0x80000000, v43
	s_delay_alu instid0(VALU_DEP_3) | instskip(NEXT) | instid1(VALU_DEP_1)
	v_lshlrev_b32_e32 v40, 20, v40
	v_or3_b32 v183, v41, v183, v40
.LBB6_6626:                             ;   in Loop: Header=BB6_5432 Depth=2
	s_or_b32 exec_lo, exec_lo, s24
	s_mov_b32 s7, 0
	s_mov_b32 s25, exec_lo
                                        ; implicit-def: $sgpr24
	v_cmpx_lt_i16_e64 0x7f, v181
	s_xor_b32 s25, exec_lo, s25
	s_cbranch_execnz .LBB6_7946
; %bb.6627:                             ;   in Loop: Header=BB6_5432 Depth=2
	s_or_saveexec_b32 s25, s25
	v_mov_b32_e32 v40, s24
	s_xor_b32 exec_lo, exec_lo, s25
	s_cbranch_execnz .LBB6_7949
.LBB6_6628:                             ;   in Loop: Header=BB6_5432 Depth=2
	s_or_b32 exec_lo, exec_lo, s25
	s_and_saveexec_b32 s24, s7
	s_cbranch_execz .LBB6_6630
.LBB6_6629:                             ;   in Loop: Header=BB6_5432 Depth=2
	v_and_b32_e32 v40, 0xffff, v181
	v_lshlrev_b32_e32 v44, 16, v20
	s_delay_alu instid0(VALU_DEP_2) | instskip(NEXT) | instid1(VALU_DEP_1)
	v_and_b32_e32 v41, 7, v40
	v_clz_i32_u32_e32 v42, v41
	s_delay_alu instid0(VALU_DEP_1) | instskip(NEXT) | instid1(VALU_DEP_1)
	v_min_u32_e32 v42, 32, v42
	v_subrev_nc_u32_e32 v43, 28, v42
	v_sub_nc_u32_e32 v42, 29, v42
	s_delay_alu instid0(VALU_DEP_2) | instskip(SKIP_1) | instid1(VALU_DEP_2)
	v_lshlrev_b32_e32 v43, v43, v40
	v_bfe_u32 v40, v40, 3, 4
	v_and_b32_e32 v43, 7, v43
	s_delay_alu instid0(VALU_DEP_2) | instskip(NEXT) | instid1(VALU_DEP_2)
	v_cmp_eq_u32_e32 vcc_lo, 0, v40
	v_dual_cndmask_b32 v40, v40, v42 :: v_dual_cndmask_b32 v41, v41, v43
	v_and_b32_e32 v42, 0x80000000, v44
	s_delay_alu instid0(VALU_DEP_2) | instskip(NEXT) | instid1(VALU_DEP_3)
	v_lshl_add_u32 v40, v40, 23, 0x3b800000
	v_lshlrev_b32_e32 v41, 20, v41
	s_delay_alu instid0(VALU_DEP_1)
	v_or3_b32 v40, v42, v40, v41
.LBB6_6630:                             ;   in Loop: Header=BB6_5432 Depth=2
	s_or_b32 exec_lo, exec_lo, s24
	s_delay_alu instid0(VALU_DEP_1) | instskip(SKIP_1) | instid1(VALU_DEP_1)
	v_dual_max_f32 v40, v40, v40 :: v_dual_max_f32 v183, v183, v183
	s_mov_b32 s7, 0
	v_max_f32_e32 v183, v183, v40
	s_branch .LBB6_6632
.LBB6_6631:                             ;   in Loop: Header=BB6_5432 Depth=2
	s_mov_b32 s7, -1
                                        ; implicit-def: $vgpr183
.LBB6_6632:                             ;   in Loop: Header=BB6_5432 Depth=2
	s_delay_alu instid0(SALU_CYCLE_1)
	s_and_b32 vcc_lo, exec_lo, s7
	s_cbranch_vccz .LBB6_6642
; %bb.6633:                             ;   in Loop: Header=BB6_5432 Depth=2
	s_mov_b32 s7, 0
	s_mov_b32 s25, exec_lo
                                        ; implicit-def: $sgpr24
	v_cmpx_lt_i16_e64 0x7f, v182
	s_xor_b32 s25, exec_lo, s25
	s_cbranch_execnz .LBB6_7950
; %bb.6634:                             ;   in Loop: Header=BB6_5432 Depth=2
	s_or_saveexec_b32 s25, s25
	v_mov_b32_e32 v183, s24
	s_xor_b32 exec_lo, exec_lo, s25
	s_cbranch_execnz .LBB6_7953
.LBB6_6635:                             ;   in Loop: Header=BB6_5432 Depth=2
	s_or_b32 exec_lo, exec_lo, s25
	s_and_saveexec_b32 s24, s7
	s_cbranch_execz .LBB6_6637
.LBB6_6636:                             ;   in Loop: Header=BB6_5432 Depth=2
	v_and_b32_e32 v182, 0xffff, v182
	v_lshlrev_b32_e32 v42, 16, v24
	s_delay_alu instid0(VALU_DEP_2) | instskip(NEXT) | instid1(VALU_DEP_1)
	v_and_b32_e32 v183, 7, v182
	v_clz_i32_u32_e32 v40, v183
	s_delay_alu instid0(VALU_DEP_1) | instskip(NEXT) | instid1(VALU_DEP_1)
	v_min_u32_e32 v40, 32, v40
	v_subrev_nc_u32_e32 v41, 28, v40
	v_sub_nc_u32_e32 v40, 29, v40
	s_delay_alu instid0(VALU_DEP_2) | instskip(SKIP_1) | instid1(VALU_DEP_2)
	v_lshlrev_b32_e32 v41, v41, v182
	v_bfe_u32 v182, v182, 3, 4
	v_and_b32_e32 v41, 7, v41
	s_delay_alu instid0(VALU_DEP_2) | instskip(NEXT) | instid1(VALU_DEP_2)
	v_cmp_eq_u32_e32 vcc_lo, 0, v182
	v_dual_cndmask_b32 v182, v182, v40 :: v_dual_cndmask_b32 v183, v183, v41
	v_and_b32_e32 v40, 0x80000000, v42
	s_delay_alu instid0(VALU_DEP_2) | instskip(NEXT) | instid1(VALU_DEP_3)
	v_lshl_add_u32 v182, v182, 23, 0x3b800000
	v_lshlrev_b32_e32 v183, 20, v183
	s_delay_alu instid0(VALU_DEP_1)
	v_or3_b32 v183, v40, v182, v183
.LBB6_6637:                             ;   in Loop: Header=BB6_5432 Depth=2
	s_or_b32 exec_lo, exec_lo, s24
	s_mov_b32 s7, 0
	s_mov_b32 s25, exec_lo
                                        ; implicit-def: $sgpr24
	v_cmpx_lt_i16_e64 0x7f, v181
	s_xor_b32 s25, exec_lo, s25
	s_cbranch_execnz .LBB6_7954
; %bb.6638:                             ;   in Loop: Header=BB6_5432 Depth=2
	s_or_saveexec_b32 s25, s25
	v_mov_b32_e32 v182, s24
	s_xor_b32 exec_lo, exec_lo, s25
	s_cbranch_execnz .LBB6_7957
.LBB6_6639:                             ;   in Loop: Header=BB6_5432 Depth=2
	s_or_b32 exec_lo, exec_lo, s25
	s_and_saveexec_b32 s24, s7
	s_cbranch_execz .LBB6_6641
.LBB6_6640:                             ;   in Loop: Header=BB6_5432 Depth=2
	v_and_b32_e32 v181, 0xffff, v181
	v_lshlrev_b32_e32 v42, 16, v20
	s_delay_alu instid0(VALU_DEP_2) | instskip(NEXT) | instid1(VALU_DEP_1)
	v_and_b32_e32 v182, 7, v181
	v_clz_i32_u32_e32 v40, v182
	s_delay_alu instid0(VALU_DEP_1) | instskip(NEXT) | instid1(VALU_DEP_1)
	v_min_u32_e32 v40, 32, v40
	v_subrev_nc_u32_e32 v41, 28, v40
	v_sub_nc_u32_e32 v40, 29, v40
	s_delay_alu instid0(VALU_DEP_2) | instskip(SKIP_1) | instid1(VALU_DEP_2)
	v_lshlrev_b32_e32 v41, v41, v181
	v_bfe_u32 v181, v181, 3, 4
	v_and_b32_e32 v41, 7, v41
	s_delay_alu instid0(VALU_DEP_2) | instskip(NEXT) | instid1(VALU_DEP_2)
	v_cmp_eq_u32_e32 vcc_lo, 0, v181
	v_dual_cndmask_b32 v181, v181, v40 :: v_dual_cndmask_b32 v182, v182, v41
	v_and_b32_e32 v40, 0x80000000, v42
	s_delay_alu instid0(VALU_DEP_2) | instskip(NEXT) | instid1(VALU_DEP_3)
	v_lshl_add_u32 v181, v181, 23, 0x3b800000
	v_lshlrev_b32_e32 v182, 20, v182
	s_delay_alu instid0(VALU_DEP_1)
	v_or3_b32 v182, v40, v181, v182
.LBB6_6641:                             ;   in Loop: Header=BB6_5432 Depth=2
	s_or_b32 exec_lo, exec_lo, s24
	s_delay_alu instid0(VALU_DEP_1) | instskip(NEXT) | instid1(VALU_DEP_1)
	v_dual_max_f32 v181, v182, v182 :: v_dual_max_f32 v182, v183, v183
	v_min_f32_e32 v183, v182, v181
.LBB6_6642:                             ;   in Loop: Header=BB6_5432 Depth=2
	s_delay_alu instid0(VALU_DEP_1) | instskip(NEXT) | instid1(VALU_DEP_1)
	v_and_b32_e32 v181, 0x7f800000, v183
	v_cmp_ne_u32_e32 vcc_lo, 0x7f800000, v181
	v_mov_b32_e32 v181, 0x80
	s_and_saveexec_b32 s24, vcc_lo
	s_cbranch_execz .LBB6_6650
; %bb.6643:                             ;   in Loop: Header=BB6_5432 Depth=2
	v_mov_b32_e32 v181, 0
	s_mov_b32 s25, exec_lo
	v_cmpx_ne_u32_e32 0, v183
	s_cbranch_execz .LBB6_6649
; %bb.6644:                             ;   in Loop: Header=BB6_5432 Depth=2
	v_bfe_u32 v181, v183, 23, 8
	v_and_b32_e32 v182, 0x7fffff, v183
	s_delay_alu instid0(VALU_DEP_2) | instskip(SKIP_1) | instid1(VALU_DEP_3)
	v_sub_nc_u32_e32 v40, 0x78, v181
	v_cmp_gt_u32_e32 vcc_lo, 0x79, v181
	v_or_b32_e32 v41, 0x800000, v182
	s_delay_alu instid0(VALU_DEP_3) | instskip(SKIP_2) | instid1(VALU_DEP_3)
	v_cndmask_b32_e32 v40, 0, v40, vcc_lo
	v_cmp_eq_u32_e32 vcc_lo, 0, v181
	v_add_nc_u32_e32 v181, 0xffffff89, v181
	v_cndmask_b32_e64 v40, v40, 0x77, vcc_lo
	v_cndmask_b32_e32 v182, v41, v182, vcc_lo
	s_delay_alu instid0(VALU_DEP_3) | instskip(NEXT) | instid1(VALU_DEP_3)
	v_cndmask_b32_e64 v181, v181, 0xffffff8a, vcc_lo
	v_lshl_add_u32 v41, 0x100000, v40, -1
	s_delay_alu instid0(VALU_DEP_3) | instskip(SKIP_1) | instid1(VALU_DEP_4)
	v_lshrrev_b32_e32 v42, v40, v182
	v_lshlrev_b32_e64 v44, v40, 0x80000
	v_add_nc_u32_e32 v40, v40, v181
	s_delay_alu instid0(VALU_DEP_4) | instskip(NEXT) | instid1(VALU_DEP_4)
	v_and_b32_e32 v182, v41, v182
	v_bfe_u32 v43, v42, 20, 1
	s_delay_alu instid0(VALU_DEP_2) | instskip(NEXT) | instid1(VALU_DEP_2)
	v_cmp_eq_u32_e64 s7, v182, v44
	v_add_nc_u32_e32 v41, -1, v43
	s_delay_alu instid0(VALU_DEP_1) | instskip(SKIP_2) | instid1(VALU_DEP_2)
	v_cndmask_b32_e64 v182, 0, v41, s7
	v_lshrrev_b32_e32 v41, 23, v42
	s_mov_b32 s7, exec_lo
	v_add_nc_u32_e32 v182, v182, v42
	s_delay_alu instid0(VALU_DEP_2) | instskip(NEXT) | instid1(VALU_DEP_2)
	v_xor_b32_e32 v41, 1, v41
	v_and_b32_e32 v181, 0xfffff, v182
	s_delay_alu instid0(VALU_DEP_1) | instskip(NEXT) | instid1(VALU_DEP_3)
	v_add_nc_u32_e32 v182, v181, v42
                                        ; implicit-def: $vgpr181
	v_cmpx_ne_u32_e64 v40, v41
	s_xor_b32 s7, exec_lo, s7
; %bb.6645:                             ;   in Loop: Header=BB6_5432 Depth=2
	s_delay_alu instid0(VALU_DEP_2) | instskip(SKIP_2) | instid1(VALU_DEP_2)
	v_cmp_lt_u32_e32 vcc_lo, 0xffffff, v182
	v_sub_nc_u32_e32 v181, v40, v41
	v_cndmask_b32_e64 v40, 0, 1, vcc_lo
	v_add_co_ci_u32_e32 v181, vcc_lo, 0, v181, vcc_lo
	s_delay_alu instid0(VALU_DEP_2)
	v_lshrrev_b32_e32 v182, v40, v182
; %bb.6646:                             ;   in Loop: Header=BB6_5432 Depth=2
	s_and_not1_saveexec_b32 s7, s7
; %bb.6647:                             ;   in Loop: Header=BB6_5432 Depth=2
	s_delay_alu instid0(VALU_DEP_1)
	v_bfe_u32 v181, v182, 23, 1
; %bb.6648:                             ;   in Loop: Header=BB6_5432 Depth=2
	s_or_b32 exec_lo, exec_lo, s7
	v_lshrrev_b32_e32 v182, 20, v182
	s_delay_alu instid0(VALU_DEP_2) | instskip(SKIP_2) | instid1(VALU_DEP_2)
	v_cmp_gt_i32_e32 vcc_lo, 16, v181
	v_lshrrev_b32_e32 v183, 24, v183
	v_min_i32_e32 v40, 15, v181
	v_dual_cndmask_b32 v182, 7, v182 :: v_dual_and_b32 v183, 0x80, v183
	s_delay_alu instid0(VALU_DEP_1) | instskip(SKIP_1) | instid1(VALU_DEP_2)
	v_or_b32_e32 v181, v181, v182
	v_and_b32_e32 v41, 7, v182
	v_cmp_ne_u32_e32 vcc_lo, 0, v181
	v_lshlrev_b32_e32 v40, 3, v40
	s_delay_alu instid0(VALU_DEP_1) | instskip(NEXT) | instid1(VALU_DEP_1)
	v_or3_b32 v182, v40, v183, v41
	v_cndmask_b32_e32 v181, 0, v182, vcc_lo
.LBB6_6649:                             ;   in Loop: Header=BB6_5432 Depth=2
	s_or_b32 exec_lo, exec_lo, s25
.LBB6_6650:                             ;   in Loop: Header=BB6_5432 Depth=2
	s_delay_alu instid0(SALU_CYCLE_1)
	s_or_b32 exec_lo, exec_lo, s24
	v_lshrrev_b32_e32 v183, 16, v24
	v_lshrrev_b32_e32 v182, 16, v20
	s_and_not1_b32 vcc_lo, exec_lo, s23
	s_cbranch_vccnz .LBB6_6660
; %bb.6651:                             ;   in Loop: Header=BB6_5432 Depth=2
	s_delay_alu instid0(VALU_DEP_2) | instskip(SKIP_2) | instid1(VALU_DEP_1)
	v_and_b32_e32 v41, 0xff, v183
	s_mov_b32 s7, 0
	s_mov_b32 s25, exec_lo
                                        ; implicit-def: $sgpr24
	v_cmpx_lt_i16_e32 0x7f, v41
	s_xor_b32 s25, exec_lo, s25
	s_cbranch_execnz .LBB6_7958
; %bb.6652:                             ;   in Loop: Header=BB6_5432 Depth=2
	s_or_saveexec_b32 s25, s25
	v_mov_b32_e32 v40, s24
	s_xor_b32 exec_lo, exec_lo, s25
	s_cbranch_execnz .LBB6_7961
.LBB6_6653:                             ;   in Loop: Header=BB6_5432 Depth=2
	s_or_b32 exec_lo, exec_lo, s25
	s_and_saveexec_b32 s24, s7
	s_cbranch_execz .LBB6_6655
.LBB6_6654:                             ;   in Loop: Header=BB6_5432 Depth=2
	v_bfe_u32 v40, v24, 16, 3
	v_bfe_u32 v43, v24, 19, 4
	v_lshlrev_b32_e32 v44, 24, v183
	s_delay_alu instid0(VALU_DEP_3) | instskip(NEXT) | instid1(VALU_DEP_3)
	v_clz_i32_u32_e32 v41, v40
	v_cmp_eq_u32_e32 vcc_lo, 0, v43
	s_delay_alu instid0(VALU_DEP_2) | instskip(NEXT) | instid1(VALU_DEP_1)
	v_min_u32_e32 v41, 32, v41
	v_subrev_nc_u32_e32 v42, 28, v41
	v_sub_nc_u32_e32 v41, 29, v41
	s_delay_alu instid0(VALU_DEP_1) | instskip(NEXT) | instid1(VALU_DEP_1)
	v_dual_cndmask_b32 v41, v43, v41 :: v_dual_lshlrev_b32 v42, v42, v183
	v_and_b32_e32 v42, 7, v42
	s_delay_alu instid0(VALU_DEP_2) | instskip(NEXT) | instid1(VALU_DEP_2)
	v_lshl_add_u32 v41, v41, 23, 0x3b800000
	v_cndmask_b32_e32 v40, v40, v42, vcc_lo
	v_and_b32_e32 v42, 0x80000000, v44
	s_delay_alu instid0(VALU_DEP_2) | instskip(NEXT) | instid1(VALU_DEP_1)
	v_lshlrev_b32_e32 v40, 20, v40
	v_or3_b32 v40, v42, v41, v40
.LBB6_6655:                             ;   in Loop: Header=BB6_5432 Depth=2
	s_or_b32 exec_lo, exec_lo, s24
	v_and_b32_e32 v42, 0xff, v182
	s_mov_b32 s7, 0
	s_mov_b32 s25, exec_lo
                                        ; implicit-def: $sgpr24
	s_delay_alu instid0(VALU_DEP_1)
	v_cmpx_lt_i16_e32 0x7f, v42
	s_xor_b32 s25, exec_lo, s25
	s_cbranch_execnz .LBB6_7962
; %bb.6656:                             ;   in Loop: Header=BB6_5432 Depth=2
	s_or_saveexec_b32 s25, s25
	v_mov_b32_e32 v41, s24
	s_xor_b32 exec_lo, exec_lo, s25
	s_cbranch_execnz .LBB6_7965
.LBB6_6657:                             ;   in Loop: Header=BB6_5432 Depth=2
	s_or_b32 exec_lo, exec_lo, s25
	s_and_saveexec_b32 s24, s7
	s_cbranch_execz .LBB6_6659
.LBB6_6658:                             ;   in Loop: Header=BB6_5432 Depth=2
	v_bfe_u32 v41, v20, 16, 3
	v_bfe_u32 v44, v20, 19, 4
	v_lshlrev_b32_e32 v45, 24, v182
	s_delay_alu instid0(VALU_DEP_3) | instskip(NEXT) | instid1(VALU_DEP_3)
	v_clz_i32_u32_e32 v42, v41
	v_cmp_eq_u32_e32 vcc_lo, 0, v44
	s_delay_alu instid0(VALU_DEP_2) | instskip(NEXT) | instid1(VALU_DEP_1)
	v_min_u32_e32 v42, 32, v42
	v_subrev_nc_u32_e32 v43, 28, v42
	v_sub_nc_u32_e32 v42, 29, v42
	s_delay_alu instid0(VALU_DEP_2) | instskip(NEXT) | instid1(VALU_DEP_1)
	v_lshlrev_b32_e32 v43, v43, v182
	v_dual_cndmask_b32 v42, v44, v42 :: v_dual_and_b32 v43, 7, v43
	s_delay_alu instid0(VALU_DEP_1) | instskip(NEXT) | instid1(VALU_DEP_2)
	v_lshl_add_u32 v42, v42, 23, 0x3b800000
	v_cndmask_b32_e32 v41, v41, v43, vcc_lo
	v_and_b32_e32 v43, 0x80000000, v45
	s_delay_alu instid0(VALU_DEP_2) | instskip(NEXT) | instid1(VALU_DEP_1)
	v_lshlrev_b32_e32 v41, 20, v41
	v_or3_b32 v41, v43, v42, v41
.LBB6_6659:                             ;   in Loop: Header=BB6_5432 Depth=2
	s_or_b32 exec_lo, exec_lo, s24
	s_delay_alu instid0(VALU_DEP_1) | instskip(SKIP_1) | instid1(VALU_DEP_1)
	v_dual_max_f32 v41, v41, v41 :: v_dual_max_f32 v40, v40, v40
	s_mov_b32 s7, 0
	v_max_f32_e32 v40, v40, v41
	s_branch .LBB6_6661
.LBB6_6660:                             ;   in Loop: Header=BB6_5432 Depth=2
	s_mov_b32 s7, -1
                                        ; implicit-def: $vgpr40
.LBB6_6661:                             ;   in Loop: Header=BB6_5432 Depth=2
	s_delay_alu instid0(SALU_CYCLE_1)
	s_and_b32 vcc_lo, exec_lo, s7
	s_cbranch_vccz .LBB6_6671
; %bb.6662:                             ;   in Loop: Header=BB6_5432 Depth=2
	v_and_b32_e32 v41, 0xff, v183
	s_mov_b32 s7, 0
	s_mov_b32 s25, exec_lo
                                        ; implicit-def: $sgpr24
	s_delay_alu instid0(VALU_DEP_1)
	v_cmpx_lt_i16_e32 0x7f, v41
	s_xor_b32 s25, exec_lo, s25
	s_cbranch_execnz .LBB6_7966
; %bb.6663:                             ;   in Loop: Header=BB6_5432 Depth=2
	s_or_saveexec_b32 s25, s25
	v_mov_b32_e32 v40, s24
	s_xor_b32 exec_lo, exec_lo, s25
	s_cbranch_execnz .LBB6_7969
.LBB6_6664:                             ;   in Loop: Header=BB6_5432 Depth=2
	s_or_b32 exec_lo, exec_lo, s25
	s_and_saveexec_b32 s24, s7
	s_cbranch_execz .LBB6_6666
.LBB6_6665:                             ;   in Loop: Header=BB6_5432 Depth=2
	v_bfe_u32 v40, v24, 16, 3
	v_bfe_u32 v43, v24, 19, 4
	s_delay_alu instid0(VALU_DEP_2) | instskip(NEXT) | instid1(VALU_DEP_2)
	v_clz_i32_u32_e32 v41, v40
	v_cmp_eq_u32_e32 vcc_lo, 0, v43
	s_delay_alu instid0(VALU_DEP_2) | instskip(NEXT) | instid1(VALU_DEP_1)
	v_min_u32_e32 v41, 32, v41
	v_subrev_nc_u32_e32 v42, 28, v41
	v_sub_nc_u32_e32 v41, 29, v41
	s_delay_alu instid0(VALU_DEP_1) | instskip(NEXT) | instid1(VALU_DEP_1)
	v_dual_cndmask_b32 v41, v43, v41 :: v_dual_lshlrev_b32 v42, v42, v183
	v_and_b32_e32 v42, 7, v42
	v_lshlrev_b32_e32 v183, 24, v183
	s_delay_alu instid0(VALU_DEP_3) | instskip(NEXT) | instid1(VALU_DEP_2)
	v_lshl_add_u32 v41, v41, 23, 0x3b800000
	v_dual_cndmask_b32 v40, v40, v42 :: v_dual_and_b32 v183, 0x80000000, v183
	s_delay_alu instid0(VALU_DEP_1) | instskip(NEXT) | instid1(VALU_DEP_1)
	v_lshlrev_b32_e32 v40, 20, v40
	v_or3_b32 v40, v183, v41, v40
.LBB6_6666:                             ;   in Loop: Header=BB6_5432 Depth=2
	s_or_b32 exec_lo, exec_lo, s24
	v_and_b32_e32 v41, 0xff, v182
	s_mov_b32 s7, 0
	s_mov_b32 s25, exec_lo
                                        ; implicit-def: $sgpr24
	s_delay_alu instid0(VALU_DEP_1)
	v_cmpx_lt_i16_e32 0x7f, v41
	s_xor_b32 s25, exec_lo, s25
	s_cbranch_execnz .LBB6_7970
; %bb.6667:                             ;   in Loop: Header=BB6_5432 Depth=2
	s_or_saveexec_b32 s25, s25
	v_mov_b32_e32 v183, s24
	s_xor_b32 exec_lo, exec_lo, s25
	s_cbranch_execnz .LBB6_7973
.LBB6_6668:                             ;   in Loop: Header=BB6_5432 Depth=2
	s_or_b32 exec_lo, exec_lo, s25
	s_and_saveexec_b32 s24, s7
	s_cbranch_execz .LBB6_6670
.LBB6_6669:                             ;   in Loop: Header=BB6_5432 Depth=2
	v_bfe_u32 v183, v20, 16, 3
	v_bfe_u32 v43, v20, 19, 4
	s_delay_alu instid0(VALU_DEP_2) | instskip(NEXT) | instid1(VALU_DEP_2)
	v_clz_i32_u32_e32 v41, v183
	v_cmp_eq_u32_e32 vcc_lo, 0, v43
	s_delay_alu instid0(VALU_DEP_2) | instskip(NEXT) | instid1(VALU_DEP_1)
	v_min_u32_e32 v41, 32, v41
	v_subrev_nc_u32_e32 v42, 28, v41
	v_sub_nc_u32_e32 v41, 29, v41
	s_delay_alu instid0(VALU_DEP_1) | instskip(SKIP_1) | instid1(VALU_DEP_2)
	v_dual_cndmask_b32 v41, v43, v41 :: v_dual_lshlrev_b32 v42, v42, v182
	v_lshlrev_b32_e32 v182, 24, v182
	v_and_b32_e32 v42, 7, v42
	s_delay_alu instid0(VALU_DEP_3) | instskip(NEXT) | instid1(VALU_DEP_3)
	v_lshl_add_u32 v41, v41, 23, 0x3b800000
	v_and_b32_e32 v182, 0x80000000, v182
	s_delay_alu instid0(VALU_DEP_3) | instskip(NEXT) | instid1(VALU_DEP_1)
	v_cndmask_b32_e32 v183, v183, v42, vcc_lo
	v_lshlrev_b32_e32 v183, 20, v183
	s_delay_alu instid0(VALU_DEP_1)
	v_or3_b32 v183, v182, v41, v183
.LBB6_6670:                             ;   in Loop: Header=BB6_5432 Depth=2
	s_or_b32 exec_lo, exec_lo, s24
	s_delay_alu instid0(VALU_DEP_1) | instskip(NEXT) | instid1(VALU_DEP_1)
	v_dual_max_f32 v182, v183, v183 :: v_dual_max_f32 v183, v40, v40
	v_min_f32_e32 v40, v183, v182
.LBB6_6671:                             ;   in Loop: Header=BB6_5432 Depth=2
	s_delay_alu instid0(VALU_DEP_1) | instskip(NEXT) | instid1(VALU_DEP_1)
	v_and_b32_e32 v182, 0x7f800000, v40
	v_cmp_ne_u32_e32 vcc_lo, 0x7f800000, v182
	v_mov_b32_e32 v182, 0x80
	s_and_saveexec_b32 s24, vcc_lo
	s_cbranch_execz .LBB6_6679
; %bb.6672:                             ;   in Loop: Header=BB6_5432 Depth=2
	v_mov_b32_e32 v182, 0
	s_mov_b32 s25, exec_lo
	v_cmpx_ne_u32_e32 0, v40
	s_cbranch_execz .LBB6_6678
; %bb.6673:                             ;   in Loop: Header=BB6_5432 Depth=2
	v_bfe_u32 v182, v40, 23, 8
	v_and_b32_e32 v183, 0x7fffff, v40
	s_delay_alu instid0(VALU_DEP_2) | instskip(SKIP_1) | instid1(VALU_DEP_3)
	v_sub_nc_u32_e32 v41, 0x78, v182
	v_cmp_gt_u32_e32 vcc_lo, 0x79, v182
	v_or_b32_e32 v42, 0x800000, v183
	s_delay_alu instid0(VALU_DEP_3) | instskip(SKIP_2) | instid1(VALU_DEP_3)
	v_cndmask_b32_e32 v41, 0, v41, vcc_lo
	v_cmp_eq_u32_e32 vcc_lo, 0, v182
	v_add_nc_u32_e32 v182, 0xffffff89, v182
	v_cndmask_b32_e64 v41, v41, 0x77, vcc_lo
	v_cndmask_b32_e32 v183, v42, v183, vcc_lo
	s_delay_alu instid0(VALU_DEP_3) | instskip(NEXT) | instid1(VALU_DEP_3)
	v_cndmask_b32_e64 v182, v182, 0xffffff8a, vcc_lo
	v_lshl_add_u32 v42, 0x100000, v41, -1
	s_delay_alu instid0(VALU_DEP_3) | instskip(SKIP_1) | instid1(VALU_DEP_4)
	v_lshrrev_b32_e32 v43, v41, v183
	v_lshlrev_b32_e64 v45, v41, 0x80000
	v_add_nc_u32_e32 v41, v41, v182
	s_delay_alu instid0(VALU_DEP_4) | instskip(NEXT) | instid1(VALU_DEP_4)
	v_and_b32_e32 v183, v42, v183
	v_bfe_u32 v44, v43, 20, 1
	s_delay_alu instid0(VALU_DEP_2) | instskip(NEXT) | instid1(VALU_DEP_2)
	v_cmp_eq_u32_e64 s7, v183, v45
	v_add_nc_u32_e32 v42, -1, v44
	s_delay_alu instid0(VALU_DEP_1) | instskip(SKIP_2) | instid1(VALU_DEP_2)
	v_cndmask_b32_e64 v183, 0, v42, s7
	v_lshrrev_b32_e32 v42, 23, v43
	s_mov_b32 s7, exec_lo
	v_add_nc_u32_e32 v183, v183, v43
	s_delay_alu instid0(VALU_DEP_2) | instskip(NEXT) | instid1(VALU_DEP_2)
	v_xor_b32_e32 v42, 1, v42
	v_and_b32_e32 v182, 0xfffff, v183
	s_delay_alu instid0(VALU_DEP_1) | instskip(NEXT) | instid1(VALU_DEP_3)
	v_add_nc_u32_e32 v183, v182, v43
                                        ; implicit-def: $vgpr182
	v_cmpx_ne_u32_e64 v41, v42
	s_xor_b32 s7, exec_lo, s7
; %bb.6674:                             ;   in Loop: Header=BB6_5432 Depth=2
	s_delay_alu instid0(VALU_DEP_2) | instskip(SKIP_2) | instid1(VALU_DEP_2)
	v_cmp_lt_u32_e32 vcc_lo, 0xffffff, v183
	v_sub_nc_u32_e32 v182, v41, v42
	v_cndmask_b32_e64 v41, 0, 1, vcc_lo
	v_add_co_ci_u32_e32 v182, vcc_lo, 0, v182, vcc_lo
	s_delay_alu instid0(VALU_DEP_2)
	v_lshrrev_b32_e32 v183, v41, v183
; %bb.6675:                             ;   in Loop: Header=BB6_5432 Depth=2
	s_and_not1_saveexec_b32 s7, s7
; %bb.6676:                             ;   in Loop: Header=BB6_5432 Depth=2
	s_delay_alu instid0(VALU_DEP_1)
	v_bfe_u32 v182, v183, 23, 1
; %bb.6677:                             ;   in Loop: Header=BB6_5432 Depth=2
	s_or_b32 exec_lo, exec_lo, s7
	v_lshrrev_b32_e32 v183, 20, v183
	s_delay_alu instid0(VALU_DEP_2) | instskip(SKIP_2) | instid1(VALU_DEP_2)
	v_cmp_gt_i32_e32 vcc_lo, 16, v182
	v_lshrrev_b32_e32 v40, 24, v40
	v_min_i32_e32 v41, 15, v182
	v_dual_cndmask_b32 v183, 7, v183 :: v_dual_and_b32 v40, 0x80, v40
	s_delay_alu instid0(VALU_DEP_1) | instskip(SKIP_1) | instid1(VALU_DEP_2)
	v_or_b32_e32 v182, v182, v183
	v_and_b32_e32 v42, 7, v183
	v_cmp_ne_u32_e32 vcc_lo, 0, v182
	v_lshlrev_b32_e32 v41, 3, v41
	s_delay_alu instid0(VALU_DEP_1) | instskip(NEXT) | instid1(VALU_DEP_1)
	v_or3_b32 v183, v41, v40, v42
	v_cndmask_b32_e32 v182, 0, v183, vcc_lo
.LBB6_6678:                             ;   in Loop: Header=BB6_5432 Depth=2
	s_or_b32 exec_lo, exec_lo, s25
.LBB6_6679:                             ;   in Loop: Header=BB6_5432 Depth=2
	s_delay_alu instid0(SALU_CYCLE_1)
	s_or_b32 exec_lo, exec_lo, s24
	v_lshrrev_b32_e32 v40, 24, v24
	v_lshrrev_b32_e32 v183, 24, v20
	s_and_not1_b32 vcc_lo, exec_lo, s23
	s_cbranch_vccnz .LBB6_6689
; %bb.6680:                             ;   in Loop: Header=BB6_5432 Depth=2
	s_mov_b32 s7, 0
	s_mov_b32 s25, exec_lo
                                        ; implicit-def: $sgpr24
	v_cmpx_lt_i16_e32 0x7f, v40
	s_xor_b32 s25, exec_lo, s25
	s_cbranch_execnz .LBB6_7974
; %bb.6681:                             ;   in Loop: Header=BB6_5432 Depth=2
	s_or_saveexec_b32 s25, s25
	v_mov_b32_e32 v41, s24
	s_xor_b32 exec_lo, exec_lo, s25
	s_cbranch_execnz .LBB6_7977
.LBB6_6682:                             ;   in Loop: Header=BB6_5432 Depth=2
	s_or_b32 exec_lo, exec_lo, s25
	s_and_saveexec_b32 s24, s7
	s_cbranch_execz .LBB6_6684
.LBB6_6683:                             ;   in Loop: Header=BB6_5432 Depth=2
	v_bfe_u32 v41, v24, 24, 3
	v_bfe_u32 v44, v24, 27, 4
	s_delay_alu instid0(VALU_DEP_2) | instskip(NEXT) | instid1(VALU_DEP_2)
	v_clz_i32_u32_e32 v42, v41
	v_cmp_eq_u32_e32 vcc_lo, 0, v44
	s_delay_alu instid0(VALU_DEP_2) | instskip(NEXT) | instid1(VALU_DEP_1)
	v_min_u32_e32 v42, 32, v42
	v_subrev_nc_u32_e32 v43, 28, v42
	v_sub_nc_u32_e32 v42, 29, v42
	s_delay_alu instid0(VALU_DEP_1) | instskip(NEXT) | instid1(VALU_DEP_1)
	v_dual_cndmask_b32 v42, v44, v42 :: v_dual_lshlrev_b32 v43, v43, v40
	v_and_b32_e32 v43, 7, v43
	s_delay_alu instid0(VALU_DEP_2) | instskip(NEXT) | instid1(VALU_DEP_2)
	v_lshl_add_u32 v42, v42, 23, 0x3b800000
	v_cndmask_b32_e32 v41, v41, v43, vcc_lo
	v_and_b32_e32 v43, 0x80000000, v24
	s_delay_alu instid0(VALU_DEP_2) | instskip(NEXT) | instid1(VALU_DEP_1)
	v_lshlrev_b32_e32 v41, 20, v41
	v_or3_b32 v41, v43, v42, v41
.LBB6_6684:                             ;   in Loop: Header=BB6_5432 Depth=2
	s_or_b32 exec_lo, exec_lo, s24
	s_mov_b32 s7, 0
	s_mov_b32 s25, exec_lo
                                        ; implicit-def: $sgpr24
	v_cmpx_lt_i16_e64 0x7f, v183
	s_xor_b32 s25, exec_lo, s25
	s_cbranch_execnz .LBB6_7978
; %bb.6685:                             ;   in Loop: Header=BB6_5432 Depth=2
	s_or_saveexec_b32 s25, s25
	v_mov_b32_e32 v42, s24
	s_xor_b32 exec_lo, exec_lo, s25
	s_cbranch_execnz .LBB6_7981
.LBB6_6686:                             ;   in Loop: Header=BB6_5432 Depth=2
	s_or_b32 exec_lo, exec_lo, s25
	s_and_saveexec_b32 s24, s7
	s_cbranch_execz .LBB6_6688
.LBB6_6687:                             ;   in Loop: Header=BB6_5432 Depth=2
	v_bfe_u32 v42, v20, 24, 3
	v_bfe_u32 v45, v20, 27, 4
	s_delay_alu instid0(VALU_DEP_2) | instskip(NEXT) | instid1(VALU_DEP_2)
	v_clz_i32_u32_e32 v43, v42
	v_cmp_eq_u32_e32 vcc_lo, 0, v45
	s_delay_alu instid0(VALU_DEP_2) | instskip(NEXT) | instid1(VALU_DEP_1)
	v_min_u32_e32 v43, 32, v43
	v_subrev_nc_u32_e32 v44, 28, v43
	v_sub_nc_u32_e32 v43, 29, v43
	s_delay_alu instid0(VALU_DEP_2) | instskip(NEXT) | instid1(VALU_DEP_1)
	v_lshlrev_b32_e32 v44, v44, v183
	v_dual_cndmask_b32 v43, v45, v43 :: v_dual_and_b32 v44, 7, v44
	s_delay_alu instid0(VALU_DEP_1) | instskip(NEXT) | instid1(VALU_DEP_2)
	v_lshl_add_u32 v43, v43, 23, 0x3b800000
	v_cndmask_b32_e32 v42, v42, v44, vcc_lo
	v_and_b32_e32 v44, 0x80000000, v20
	s_delay_alu instid0(VALU_DEP_2) | instskip(NEXT) | instid1(VALU_DEP_1)
	v_lshlrev_b32_e32 v42, 20, v42
	v_or3_b32 v42, v44, v43, v42
.LBB6_6688:                             ;   in Loop: Header=BB6_5432 Depth=2
	s_or_b32 exec_lo, exec_lo, s24
	s_delay_alu instid0(VALU_DEP_1) | instskip(SKIP_1) | instid1(VALU_DEP_1)
	v_dual_max_f32 v42, v42, v42 :: v_dual_max_f32 v41, v41, v41
	s_mov_b32 s7, 0
	v_max_f32_e32 v41, v41, v42
	s_branch .LBB6_6690
.LBB6_6689:                             ;   in Loop: Header=BB6_5432 Depth=2
	s_mov_b32 s7, -1
                                        ; implicit-def: $vgpr41
.LBB6_6690:                             ;   in Loop: Header=BB6_5432 Depth=2
	s_delay_alu instid0(SALU_CYCLE_1)
	s_and_b32 vcc_lo, exec_lo, s7
	s_cbranch_vccz .LBB6_6700
; %bb.6691:                             ;   in Loop: Header=BB6_5432 Depth=2
	s_mov_b32 s7, 0
	s_mov_b32 s25, exec_lo
                                        ; implicit-def: $sgpr24
	v_cmpx_lt_i16_e32 0x7f, v40
	s_xor_b32 s25, exec_lo, s25
	s_cbranch_execnz .LBB6_7982
; %bb.6692:                             ;   in Loop: Header=BB6_5432 Depth=2
	s_or_saveexec_b32 s25, s25
	v_mov_b32_e32 v41, s24
	s_xor_b32 exec_lo, exec_lo, s25
	s_cbranch_execnz .LBB6_7985
.LBB6_6693:                             ;   in Loop: Header=BB6_5432 Depth=2
	s_or_b32 exec_lo, exec_lo, s25
	s_and_saveexec_b32 s24, s7
	s_cbranch_execz .LBB6_6695
.LBB6_6694:                             ;   in Loop: Header=BB6_5432 Depth=2
	v_bfe_u32 v41, v24, 24, 3
	s_delay_alu instid0(VALU_DEP_1) | instskip(NEXT) | instid1(VALU_DEP_1)
	v_clz_i32_u32_e32 v42, v41
	v_min_u32_e32 v42, 32, v42
	s_delay_alu instid0(VALU_DEP_1) | instskip(SKIP_1) | instid1(VALU_DEP_2)
	v_subrev_nc_u32_e32 v43, 28, v42
	v_sub_nc_u32_e32 v42, 29, v42
	v_lshlrev_b32_e32 v40, v43, v40
	v_bfe_u32 v43, v24, 27, 4
	v_and_b32_e32 v24, 0x80000000, v24
	s_delay_alu instid0(VALU_DEP_3) | instskip(NEXT) | instid1(VALU_DEP_3)
	v_and_b32_e32 v40, 7, v40
	v_cmp_eq_u32_e32 vcc_lo, 0, v43
	v_cndmask_b32_e32 v42, v43, v42, vcc_lo
	s_delay_alu instid0(VALU_DEP_3) | instskip(NEXT) | instid1(VALU_DEP_2)
	v_cndmask_b32_e32 v40, v41, v40, vcc_lo
	v_lshl_add_u32 v41, v42, 23, 0x3b800000
	s_delay_alu instid0(VALU_DEP_2) | instskip(NEXT) | instid1(VALU_DEP_1)
	v_lshlrev_b32_e32 v40, 20, v40
	v_or3_b32 v41, v24, v41, v40
.LBB6_6695:                             ;   in Loop: Header=BB6_5432 Depth=2
	s_or_b32 exec_lo, exec_lo, s24
	s_mov_b32 s7, 0
	s_mov_b32 s25, exec_lo
                                        ; implicit-def: $sgpr24
	v_cmpx_lt_i16_e64 0x7f, v183
	s_xor_b32 s25, exec_lo, s25
	s_cbranch_execnz .LBB6_7986
; %bb.6696:                             ;   in Loop: Header=BB6_5432 Depth=2
	s_or_saveexec_b32 s25, s25
	v_mov_b32_e32 v24, s24
	s_xor_b32 exec_lo, exec_lo, s25
	s_cbranch_execnz .LBB6_7989
.LBB6_6697:                             ;   in Loop: Header=BB6_5432 Depth=2
	s_or_b32 exec_lo, exec_lo, s25
	s_and_saveexec_b32 s24, s7
	s_cbranch_execz .LBB6_6699
.LBB6_6698:                             ;   in Loop: Header=BB6_5432 Depth=2
	v_bfe_u32 v24, v20, 24, 3
	s_delay_alu instid0(VALU_DEP_1) | instskip(NEXT) | instid1(VALU_DEP_1)
	v_clz_i32_u32_e32 v40, v24
	v_min_u32_e32 v40, 32, v40
	s_delay_alu instid0(VALU_DEP_1) | instskip(SKIP_1) | instid1(VALU_DEP_2)
	v_subrev_nc_u32_e32 v42, 28, v40
	v_sub_nc_u32_e32 v40, 29, v40
	v_lshlrev_b32_e32 v183, v42, v183
	v_bfe_u32 v42, v20, 27, 4
	v_and_b32_e32 v20, 0x80000000, v20
	s_delay_alu instid0(VALU_DEP_2) | instskip(NEXT) | instid1(VALU_DEP_4)
	v_cmp_eq_u32_e32 vcc_lo, 0, v42
	v_dual_cndmask_b32 v40, v42, v40 :: v_dual_and_b32 v183, 7, v183
	s_delay_alu instid0(VALU_DEP_1) | instskip(NEXT) | instid1(VALU_DEP_2)
	v_cndmask_b32_e32 v24, v24, v183, vcc_lo
	v_lshl_add_u32 v183, v40, 23, 0x3b800000
	s_delay_alu instid0(VALU_DEP_2) | instskip(NEXT) | instid1(VALU_DEP_1)
	v_lshlrev_b32_e32 v24, 20, v24
	v_or3_b32 v24, v20, v183, v24
.LBB6_6699:                             ;   in Loop: Header=BB6_5432 Depth=2
	s_or_b32 exec_lo, exec_lo, s24
	s_delay_alu instid0(VALU_DEP_1) | instskip(SKIP_1) | instid1(VALU_DEP_1)
	v_max_f32_e32 v20, v24, v24
	v_max_f32_e32 v24, v41, v41
	v_min_f32_e32 v41, v24, v20
.LBB6_6700:                             ;   in Loop: Header=BB6_5432 Depth=2
	s_delay_alu instid0(VALU_DEP_1) | instskip(NEXT) | instid1(VALU_DEP_1)
	v_and_b32_e32 v20, 0x7f800000, v41
	v_cmp_ne_u32_e32 vcc_lo, 0x7f800000, v20
	v_mov_b32_e32 v20, 0x80
	s_and_saveexec_b32 s24, vcc_lo
	s_cbranch_execz .LBB6_6708
; %bb.6701:                             ;   in Loop: Header=BB6_5432 Depth=2
	v_mov_b32_e32 v20, 0
	s_mov_b32 s25, exec_lo
	v_cmpx_ne_u32_e32 0, v41
	s_cbranch_execz .LBB6_6707
; %bb.6702:                             ;   in Loop: Header=BB6_5432 Depth=2
	v_bfe_u32 v20, v41, 23, 8
	s_delay_alu instid0(VALU_DEP_1) | instskip(SKIP_1) | instid1(VALU_DEP_2)
	v_sub_nc_u32_e32 v183, 0x78, v20
	v_cmp_gt_u32_e32 vcc_lo, 0x79, v20
	v_dual_cndmask_b32 v183, 0, v183 :: v_dual_and_b32 v24, 0x7fffff, v41
	s_delay_alu instid0(VALU_DEP_1) | instskip(SKIP_2) | instid1(VALU_DEP_4)
	v_or_b32_e32 v40, 0x800000, v24
	v_cmp_eq_u32_e32 vcc_lo, 0, v20
	v_add_nc_u32_e32 v20, 0xffffff89, v20
	v_cndmask_b32_e64 v183, v183, 0x77, vcc_lo
	s_delay_alu instid0(VALU_DEP_4) | instskip(NEXT) | instid1(VALU_DEP_3)
	v_cndmask_b32_e32 v24, v40, v24, vcc_lo
	v_cndmask_b32_e64 v20, v20, 0xffffff8a, vcc_lo
	s_delay_alu instid0(VALU_DEP_3) | instskip(NEXT) | instid1(VALU_DEP_3)
	v_lshl_add_u32 v40, 0x100000, v183, -1
	v_lshrrev_b32_e32 v42, v183, v24
	v_lshlrev_b32_e64 v44, v183, 0x80000
	s_delay_alu instid0(VALU_DEP_4) | instskip(NEXT) | instid1(VALU_DEP_4)
	v_add_nc_u32_e32 v183, v183, v20
	v_and_b32_e32 v24, v40, v24
	s_delay_alu instid0(VALU_DEP_4) | instskip(NEXT) | instid1(VALU_DEP_2)
	v_bfe_u32 v43, v42, 20, 1
	v_cmp_eq_u32_e64 s7, v24, v44
	s_delay_alu instid0(VALU_DEP_2) | instskip(NEXT) | instid1(VALU_DEP_1)
	v_add_nc_u32_e32 v40, -1, v43
	v_cndmask_b32_e64 v24, 0, v40, s7
	v_lshrrev_b32_e32 v40, 23, v42
	s_mov_b32 s7, exec_lo
	s_delay_alu instid0(VALU_DEP_2) | instskip(NEXT) | instid1(VALU_DEP_2)
	v_add_nc_u32_e32 v24, v24, v42
	v_xor_b32_e32 v40, 1, v40
	s_delay_alu instid0(VALU_DEP_2) | instskip(NEXT) | instid1(VALU_DEP_1)
	v_and_b32_e32 v20, 0xfffff, v24
	v_add_nc_u32_e32 v24, v20, v42
                                        ; implicit-def: $vgpr20
	s_delay_alu instid0(VALU_DEP_3)
	v_cmpx_ne_u32_e64 v183, v40
	s_xor_b32 s7, exec_lo, s7
; %bb.6703:                             ;   in Loop: Header=BB6_5432 Depth=2
	s_delay_alu instid0(VALU_DEP_2) | instskip(SKIP_2) | instid1(VALU_DEP_2)
	v_cmp_lt_u32_e32 vcc_lo, 0xffffff, v24
	v_sub_nc_u32_e32 v20, v183, v40
	v_cndmask_b32_e64 v183, 0, 1, vcc_lo
	v_add_co_ci_u32_e32 v20, vcc_lo, 0, v20, vcc_lo
	s_delay_alu instid0(VALU_DEP_2)
	v_lshrrev_b32_e32 v24, v183, v24
; %bb.6704:                             ;   in Loop: Header=BB6_5432 Depth=2
	s_and_not1_saveexec_b32 s7, s7
; %bb.6705:                             ;   in Loop: Header=BB6_5432 Depth=2
	s_delay_alu instid0(VALU_DEP_1)
	v_bfe_u32 v20, v24, 23, 1
; %bb.6706:                             ;   in Loop: Header=BB6_5432 Depth=2
	s_or_b32 exec_lo, exec_lo, s7
	v_lshrrev_b32_e32 v24, 20, v24
	s_delay_alu instid0(VALU_DEP_2) | instskip(SKIP_2) | instid1(VALU_DEP_2)
	v_cmp_gt_i32_e32 vcc_lo, 16, v20
	v_lshrrev_b32_e32 v183, 24, v41
	v_min_i32_e32 v40, 15, v20
	v_dual_cndmask_b32 v24, 7, v24 :: v_dual_and_b32 v183, 0x80, v183
	s_delay_alu instid0(VALU_DEP_2) | instskip(NEXT) | instid1(VALU_DEP_2)
	v_lshlrev_b32_e32 v40, 3, v40
	v_and_b32_e32 v41, 7, v24
	v_or_b32_e32 v20, v20, v24
	s_delay_alu instid0(VALU_DEP_2) | instskip(NEXT) | instid1(VALU_DEP_2)
	v_or3_b32 v24, v40, v183, v41
	v_cmp_ne_u32_e32 vcc_lo, 0, v20
	s_delay_alu instid0(VALU_DEP_2)
	v_cndmask_b32_e32 v20, 0, v24, vcc_lo
.LBB6_6707:                             ;   in Loop: Header=BB6_5432 Depth=2
	s_or_b32 exec_lo, exec_lo, s25
.LBB6_6708:                             ;   in Loop: Header=BB6_5432 Depth=2
	s_delay_alu instid0(SALU_CYCLE_1) | instskip(NEXT) | instid1(SALU_CYCLE_1)
	s_or_b32 exec_lo, exec_lo, s24
	s_and_not1_b32 vcc_lo, exec_lo, s23
	s_cbranch_vccnz .LBB6_6718
; %bb.6709:                             ;   in Loop: Header=BB6_5432 Depth=2
	v_and_b32_e32 v183, 0xff, v25
	s_mov_b32 s7, 0
	s_mov_b32 s25, exec_lo
                                        ; implicit-def: $sgpr24
	s_delay_alu instid0(VALU_DEP_1)
	v_cmpx_lt_i16_e64 0x7f, v183
	s_xor_b32 s25, exec_lo, s25
	s_cbranch_execnz .LBB6_7990
; %bb.6710:                             ;   in Loop: Header=BB6_5432 Depth=2
	s_or_saveexec_b32 s25, s25
	v_mov_b32_e32 v24, s24
	s_xor_b32 exec_lo, exec_lo, s25
	s_cbranch_execnz .LBB6_7993
.LBB6_6711:                             ;   in Loop: Header=BB6_5432 Depth=2
	s_or_b32 exec_lo, exec_lo, s25
	s_and_saveexec_b32 s24, s7
	s_cbranch_execz .LBB6_6713
.LBB6_6712:                             ;   in Loop: Header=BB6_5432 Depth=2
	v_bfe_u32 v41, v25, 3, 4
	v_lshlrev_b32_e32 v42, 24, v25
	s_delay_alu instid0(VALU_DEP_2) | instskip(SKIP_1) | instid1(VALU_DEP_1)
	v_cmp_eq_u32_e32 vcc_lo, 0, v41
	v_and_b32_e32 v24, 7, v25
	v_clz_i32_u32_e32 v183, v24
	s_delay_alu instid0(VALU_DEP_1) | instskip(NEXT) | instid1(VALU_DEP_1)
	v_min_u32_e32 v183, 32, v183
	v_subrev_nc_u32_e32 v40, 28, v183
	v_sub_nc_u32_e32 v183, 29, v183
	s_delay_alu instid0(VALU_DEP_1) | instskip(NEXT) | instid1(VALU_DEP_1)
	v_dual_cndmask_b32 v183, v41, v183 :: v_dual_lshlrev_b32 v40, v40, v25
	v_and_b32_e32 v40, 7, v40
	s_delay_alu instid0(VALU_DEP_2) | instskip(NEXT) | instid1(VALU_DEP_2)
	v_lshl_add_u32 v183, v183, 23, 0x3b800000
	v_cndmask_b32_e32 v24, v24, v40, vcc_lo
	v_and_b32_e32 v40, 0x80000000, v42
	s_delay_alu instid0(VALU_DEP_2) | instskip(NEXT) | instid1(VALU_DEP_1)
	v_lshlrev_b32_e32 v24, 20, v24
	v_or3_b32 v24, v40, v183, v24
.LBB6_6713:                             ;   in Loop: Header=BB6_5432 Depth=2
	s_or_b32 exec_lo, exec_lo, s24
	v_and_b32_e32 v40, 0xff, v21
	s_mov_b32 s7, 0
	s_mov_b32 s25, exec_lo
                                        ; implicit-def: $sgpr24
	s_delay_alu instid0(VALU_DEP_1)
	v_cmpx_lt_i16_e32 0x7f, v40
	s_xor_b32 s25, exec_lo, s25
	s_cbranch_execnz .LBB6_7994
; %bb.6714:                             ;   in Loop: Header=BB6_5432 Depth=2
	s_or_saveexec_b32 s25, s25
	v_mov_b32_e32 v183, s24
	s_xor_b32 exec_lo, exec_lo, s25
	s_cbranch_execnz .LBB6_7997
.LBB6_6715:                             ;   in Loop: Header=BB6_5432 Depth=2
	s_or_b32 exec_lo, exec_lo, s25
	s_and_saveexec_b32 s24, s7
	s_cbranch_execz .LBB6_6717
.LBB6_6716:                             ;   in Loop: Header=BB6_5432 Depth=2
	v_bfe_u32 v42, v21, 3, 4
	v_lshlrev_b32_e32 v43, 24, v21
	s_delay_alu instid0(VALU_DEP_2) | instskip(SKIP_1) | instid1(VALU_DEP_1)
	v_cmp_eq_u32_e32 vcc_lo, 0, v42
	v_and_b32_e32 v183, 7, v21
	v_clz_i32_u32_e32 v40, v183
	s_delay_alu instid0(VALU_DEP_1) | instskip(NEXT) | instid1(VALU_DEP_1)
	v_min_u32_e32 v40, 32, v40
	v_subrev_nc_u32_e32 v41, 28, v40
	v_sub_nc_u32_e32 v40, 29, v40
	s_delay_alu instid0(VALU_DEP_1) | instskip(NEXT) | instid1(VALU_DEP_1)
	v_dual_cndmask_b32 v40, v42, v40 :: v_dual_lshlrev_b32 v41, v41, v21
	v_and_b32_e32 v41, 7, v41
	s_delay_alu instid0(VALU_DEP_2) | instskip(NEXT) | instid1(VALU_DEP_2)
	v_lshl_add_u32 v40, v40, 23, 0x3b800000
	v_cndmask_b32_e32 v183, v183, v41, vcc_lo
	v_and_b32_e32 v41, 0x80000000, v43
	s_delay_alu instid0(VALU_DEP_2) | instskip(NEXT) | instid1(VALU_DEP_1)
	v_lshlrev_b32_e32 v183, 20, v183
	v_or3_b32 v183, v41, v40, v183
.LBB6_6717:                             ;   in Loop: Header=BB6_5432 Depth=2
	s_or_b32 exec_lo, exec_lo, s24
	s_delay_alu instid0(VALU_DEP_1) | instskip(SKIP_1) | instid1(VALU_DEP_1)
	v_dual_max_f32 v183, v183, v183 :: v_dual_max_f32 v24, v24, v24
	s_mov_b32 s7, 0
	v_max_f32_e32 v183, v24, v183
	s_branch .LBB6_6719
.LBB6_6718:                             ;   in Loop: Header=BB6_5432 Depth=2
	s_mov_b32 s7, -1
                                        ; implicit-def: $vgpr183
.LBB6_6719:                             ;   in Loop: Header=BB6_5432 Depth=2
	s_delay_alu instid0(SALU_CYCLE_1)
	s_and_b32 vcc_lo, exec_lo, s7
	s_cbranch_vccz .LBB6_6729
; %bb.6720:                             ;   in Loop: Header=BB6_5432 Depth=2
	v_and_b32_e32 v183, 0xff, v25
	s_mov_b32 s7, 0
	s_mov_b32 s25, exec_lo
                                        ; implicit-def: $sgpr24
	s_delay_alu instid0(VALU_DEP_1)
	v_cmpx_lt_i16_e64 0x7f, v183
	s_xor_b32 s25, exec_lo, s25
	s_cbranch_execnz .LBB6_7998
; %bb.6721:                             ;   in Loop: Header=BB6_5432 Depth=2
	s_or_saveexec_b32 s25, s25
	v_mov_b32_e32 v24, s24
	s_xor_b32 exec_lo, exec_lo, s25
	s_cbranch_execnz .LBB6_8001
.LBB6_6722:                             ;   in Loop: Header=BB6_5432 Depth=2
	s_or_b32 exec_lo, exec_lo, s25
	s_and_saveexec_b32 s24, s7
	s_cbranch_execz .LBB6_6724
.LBB6_6723:                             ;   in Loop: Header=BB6_5432 Depth=2
	v_bfe_u32 v41, v25, 3, 4
	v_lshlrev_b32_e32 v42, 24, v25
	s_delay_alu instid0(VALU_DEP_2) | instskip(SKIP_1) | instid1(VALU_DEP_1)
	v_cmp_eq_u32_e32 vcc_lo, 0, v41
	v_and_b32_e32 v24, 7, v25
	v_clz_i32_u32_e32 v183, v24
	s_delay_alu instid0(VALU_DEP_1) | instskip(NEXT) | instid1(VALU_DEP_1)
	v_min_u32_e32 v183, 32, v183
	v_subrev_nc_u32_e32 v40, 28, v183
	v_sub_nc_u32_e32 v183, 29, v183
	s_delay_alu instid0(VALU_DEP_1) | instskip(NEXT) | instid1(VALU_DEP_1)
	v_dual_cndmask_b32 v183, v41, v183 :: v_dual_lshlrev_b32 v40, v40, v25
	v_and_b32_e32 v40, 7, v40
	s_delay_alu instid0(VALU_DEP_2) | instskip(NEXT) | instid1(VALU_DEP_2)
	v_lshl_add_u32 v183, v183, 23, 0x3b800000
	v_cndmask_b32_e32 v24, v24, v40, vcc_lo
	v_and_b32_e32 v40, 0x80000000, v42
	s_delay_alu instid0(VALU_DEP_2) | instskip(NEXT) | instid1(VALU_DEP_1)
	v_lshlrev_b32_e32 v24, 20, v24
	v_or3_b32 v24, v40, v183, v24
.LBB6_6724:                             ;   in Loop: Header=BB6_5432 Depth=2
	s_or_b32 exec_lo, exec_lo, s24
	v_and_b32_e32 v40, 0xff, v21
	s_mov_b32 s7, 0
	s_mov_b32 s25, exec_lo
                                        ; implicit-def: $sgpr24
	s_delay_alu instid0(VALU_DEP_1)
	v_cmpx_lt_i16_e32 0x7f, v40
	s_xor_b32 s25, exec_lo, s25
	s_cbranch_execnz .LBB6_8002
; %bb.6725:                             ;   in Loop: Header=BB6_5432 Depth=2
	s_or_saveexec_b32 s25, s25
	v_mov_b32_e32 v183, s24
	s_xor_b32 exec_lo, exec_lo, s25
	s_cbranch_execnz .LBB6_8005
.LBB6_6726:                             ;   in Loop: Header=BB6_5432 Depth=2
	s_or_b32 exec_lo, exec_lo, s25
	s_and_saveexec_b32 s24, s7
	s_cbranch_execz .LBB6_6728
.LBB6_6727:                             ;   in Loop: Header=BB6_5432 Depth=2
	v_bfe_u32 v42, v21, 3, 4
	v_lshlrev_b32_e32 v43, 24, v21
	s_delay_alu instid0(VALU_DEP_2) | instskip(SKIP_1) | instid1(VALU_DEP_1)
	v_cmp_eq_u32_e32 vcc_lo, 0, v42
	v_and_b32_e32 v183, 7, v21
	v_clz_i32_u32_e32 v40, v183
	s_delay_alu instid0(VALU_DEP_1) | instskip(NEXT) | instid1(VALU_DEP_1)
	v_min_u32_e32 v40, 32, v40
	v_subrev_nc_u32_e32 v41, 28, v40
	v_sub_nc_u32_e32 v40, 29, v40
	s_delay_alu instid0(VALU_DEP_1) | instskip(NEXT) | instid1(VALU_DEP_1)
	v_dual_cndmask_b32 v40, v42, v40 :: v_dual_lshlrev_b32 v41, v41, v21
	v_and_b32_e32 v41, 7, v41
	s_delay_alu instid0(VALU_DEP_2) | instskip(NEXT) | instid1(VALU_DEP_2)
	v_lshl_add_u32 v40, v40, 23, 0x3b800000
	v_cndmask_b32_e32 v183, v183, v41, vcc_lo
	v_and_b32_e32 v41, 0x80000000, v43
	s_delay_alu instid0(VALU_DEP_2) | instskip(NEXT) | instid1(VALU_DEP_1)
	v_lshlrev_b32_e32 v183, 20, v183
	v_or3_b32 v183, v41, v40, v183
.LBB6_6728:                             ;   in Loop: Header=BB6_5432 Depth=2
	s_or_b32 exec_lo, exec_lo, s24
	s_delay_alu instid0(VALU_DEP_1) | instskip(NEXT) | instid1(VALU_DEP_1)
	v_dual_max_f32 v183, v183, v183 :: v_dual_max_f32 v24, v24, v24
	v_min_f32_e32 v183, v24, v183
.LBB6_6729:                             ;   in Loop: Header=BB6_5432 Depth=2
	s_delay_alu instid0(VALU_DEP_1) | instskip(NEXT) | instid1(VALU_DEP_1)
	v_and_b32_e32 v24, 0x7f800000, v183
	v_cmp_ne_u32_e32 vcc_lo, 0x7f800000, v24
	v_mov_b32_e32 v24, 0x80
	s_and_saveexec_b32 s24, vcc_lo
	s_cbranch_execz .LBB6_6737
; %bb.6730:                             ;   in Loop: Header=BB6_5432 Depth=2
	v_mov_b32_e32 v24, 0
	s_mov_b32 s25, exec_lo
	v_cmpx_ne_u32_e32 0, v183
	s_cbranch_execz .LBB6_6736
; %bb.6731:                             ;   in Loop: Header=BB6_5432 Depth=2
	v_bfe_u32 v24, v183, 23, 8
	s_delay_alu instid0(VALU_DEP_1) | instskip(SKIP_1) | instid1(VALU_DEP_2)
	v_sub_nc_u32_e32 v41, 0x78, v24
	v_cmp_gt_u32_e32 vcc_lo, 0x79, v24
	v_dual_cndmask_b32 v41, 0, v41 :: v_dual_and_b32 v40, 0x7fffff, v183
	s_delay_alu instid0(VALU_DEP_1) | instskip(SKIP_2) | instid1(VALU_DEP_4)
	v_or_b32_e32 v42, 0x800000, v40
	v_cmp_eq_u32_e32 vcc_lo, 0, v24
	v_add_nc_u32_e32 v24, 0xffffff89, v24
	v_cndmask_b32_e64 v41, v41, 0x77, vcc_lo
	s_delay_alu instid0(VALU_DEP_4) | instskip(NEXT) | instid1(VALU_DEP_3)
	v_cndmask_b32_e32 v40, v42, v40, vcc_lo
	v_cndmask_b32_e64 v24, v24, 0xffffff8a, vcc_lo
	s_delay_alu instid0(VALU_DEP_3) | instskip(NEXT) | instid1(VALU_DEP_3)
	v_lshl_add_u32 v42, 0x100000, v41, -1
	v_lshrrev_b32_e32 v43, v41, v40
	v_lshlrev_b32_e64 v45, v41, 0x80000
	s_delay_alu instid0(VALU_DEP_4) | instskip(NEXT) | instid1(VALU_DEP_4)
	v_add_nc_u32_e32 v41, v41, v24
	v_and_b32_e32 v40, v42, v40
	s_delay_alu instid0(VALU_DEP_4) | instskip(NEXT) | instid1(VALU_DEP_2)
	v_bfe_u32 v44, v43, 20, 1
	v_cmp_eq_u32_e64 s7, v40, v45
	s_delay_alu instid0(VALU_DEP_2) | instskip(NEXT) | instid1(VALU_DEP_1)
	v_add_nc_u32_e32 v42, -1, v44
	v_cndmask_b32_e64 v40, 0, v42, s7
	v_lshrrev_b32_e32 v42, 23, v43
	s_mov_b32 s7, exec_lo
	s_delay_alu instid0(VALU_DEP_2) | instskip(NEXT) | instid1(VALU_DEP_2)
	v_add_nc_u32_e32 v40, v40, v43
	v_xor_b32_e32 v42, 1, v42
	s_delay_alu instid0(VALU_DEP_2) | instskip(NEXT) | instid1(VALU_DEP_1)
	v_and_b32_e32 v24, 0xfffff, v40
	v_add_nc_u32_e32 v40, v24, v43
                                        ; implicit-def: $vgpr24
	s_delay_alu instid0(VALU_DEP_3)
	v_cmpx_ne_u32_e64 v41, v42
	s_xor_b32 s7, exec_lo, s7
; %bb.6732:                             ;   in Loop: Header=BB6_5432 Depth=2
	s_delay_alu instid0(VALU_DEP_2) | instskip(SKIP_2) | instid1(VALU_DEP_2)
	v_cmp_lt_u32_e32 vcc_lo, 0xffffff, v40
	v_sub_nc_u32_e32 v24, v41, v42
	v_cndmask_b32_e64 v41, 0, 1, vcc_lo
	v_add_co_ci_u32_e32 v24, vcc_lo, 0, v24, vcc_lo
	s_delay_alu instid0(VALU_DEP_2)
	v_lshrrev_b32_e32 v40, v41, v40
; %bb.6733:                             ;   in Loop: Header=BB6_5432 Depth=2
	s_and_not1_saveexec_b32 s7, s7
; %bb.6734:                             ;   in Loop: Header=BB6_5432 Depth=2
	s_delay_alu instid0(VALU_DEP_1)
	v_bfe_u32 v24, v40, 23, 1
; %bb.6735:                             ;   in Loop: Header=BB6_5432 Depth=2
	s_or_b32 exec_lo, exec_lo, s7
	v_lshrrev_b32_e32 v40, 20, v40
	s_delay_alu instid0(VALU_DEP_2) | instskip(SKIP_2) | instid1(VALU_DEP_2)
	v_cmp_gt_i32_e32 vcc_lo, 16, v24
	v_lshrrev_b32_e32 v183, 24, v183
	v_min_i32_e32 v41, 15, v24
	v_dual_cndmask_b32 v40, 7, v40 :: v_dual_and_b32 v183, 0x80, v183
	s_delay_alu instid0(VALU_DEP_1) | instskip(SKIP_1) | instid1(VALU_DEP_2)
	v_or_b32_e32 v24, v24, v40
	v_and_b32_e32 v42, 7, v40
	v_cmp_ne_u32_e32 vcc_lo, 0, v24
	v_lshlrev_b32_e32 v41, 3, v41
	s_delay_alu instid0(VALU_DEP_1) | instskip(NEXT) | instid1(VALU_DEP_1)
	v_or3_b32 v183, v41, v183, v42
	v_cndmask_b32_e32 v24, 0, v183, vcc_lo
.LBB6_6736:                             ;   in Loop: Header=BB6_5432 Depth=2
	s_or_b32 exec_lo, exec_lo, s25
.LBB6_6737:                             ;   in Loop: Header=BB6_5432 Depth=2
	s_delay_alu instid0(SALU_CYCLE_1)
	s_or_b32 exec_lo, exec_lo, s24
	v_lshrrev_b16 v40, 8, v25
	v_lshrrev_b16 v183, 8, v21
	s_and_not1_b32 vcc_lo, exec_lo, s23
	s_cbranch_vccnz .LBB6_6747
; %bb.6738:                             ;   in Loop: Header=BB6_5432 Depth=2
	s_mov_b32 s7, 0
	s_mov_b32 s25, exec_lo
                                        ; implicit-def: $sgpr24
	v_cmpx_lt_i16_e32 0x7f, v40
	s_xor_b32 s25, exec_lo, s25
	s_cbranch_execnz .LBB6_8006
; %bb.6739:                             ;   in Loop: Header=BB6_5432 Depth=2
	s_or_saveexec_b32 s25, s25
	v_mov_b32_e32 v41, s24
	s_xor_b32 exec_lo, exec_lo, s25
	s_cbranch_execnz .LBB6_8009
.LBB6_6740:                             ;   in Loop: Header=BB6_5432 Depth=2
	s_or_b32 exec_lo, exec_lo, s25
	s_and_saveexec_b32 s24, s7
	s_cbranch_execz .LBB6_6742
.LBB6_6741:                             ;   in Loop: Header=BB6_5432 Depth=2
	v_and_b32_e32 v41, 0xffff, v40
	s_delay_alu instid0(VALU_DEP_1) | instskip(NEXT) | instid1(VALU_DEP_1)
	v_and_b32_e32 v42, 7, v41
	v_clz_i32_u32_e32 v43, v42
	s_delay_alu instid0(VALU_DEP_1) | instskip(NEXT) | instid1(VALU_DEP_1)
	v_min_u32_e32 v43, 32, v43
	v_subrev_nc_u32_e32 v44, 28, v43
	v_sub_nc_u32_e32 v43, 29, v43
	s_delay_alu instid0(VALU_DEP_2) | instskip(SKIP_1) | instid1(VALU_DEP_2)
	v_lshlrev_b32_e32 v44, v44, v41
	v_bfe_u32 v41, v41, 3, 4
	v_and_b32_e32 v44, 7, v44
	s_delay_alu instid0(VALU_DEP_2) | instskip(SKIP_1) | instid1(VALU_DEP_3)
	v_cmp_eq_u32_e32 vcc_lo, 0, v41
	v_cndmask_b32_e32 v41, v41, v43, vcc_lo
	v_dual_cndmask_b32 v42, v42, v44 :: v_dual_lshlrev_b32 v45, 16, v25
	s_delay_alu instid0(VALU_DEP_2) | instskip(NEXT) | instid1(VALU_DEP_2)
	v_lshl_add_u32 v41, v41, 23, 0x3b800000
	v_and_b32_e32 v43, 0x80000000, v45
	s_delay_alu instid0(VALU_DEP_3) | instskip(NEXT) | instid1(VALU_DEP_1)
	v_lshlrev_b32_e32 v42, 20, v42
	v_or3_b32 v41, v43, v41, v42
.LBB6_6742:                             ;   in Loop: Header=BB6_5432 Depth=2
	s_or_b32 exec_lo, exec_lo, s24
	s_mov_b32 s7, 0
	s_mov_b32 s25, exec_lo
                                        ; implicit-def: $sgpr24
	v_cmpx_lt_i16_e64 0x7f, v183
	s_xor_b32 s25, exec_lo, s25
	s_cbranch_execnz .LBB6_8010
; %bb.6743:                             ;   in Loop: Header=BB6_5432 Depth=2
	s_or_saveexec_b32 s25, s25
	v_mov_b32_e32 v42, s24
	s_xor_b32 exec_lo, exec_lo, s25
	s_cbranch_execnz .LBB6_8013
.LBB6_6744:                             ;   in Loop: Header=BB6_5432 Depth=2
	s_or_b32 exec_lo, exec_lo, s25
	s_and_saveexec_b32 s24, s7
	s_cbranch_execz .LBB6_6746
.LBB6_6745:                             ;   in Loop: Header=BB6_5432 Depth=2
	v_and_b32_e32 v42, 0xffff, v183
	v_lshlrev_b32_e32 v46, 16, v21
	s_delay_alu instid0(VALU_DEP_2) | instskip(NEXT) | instid1(VALU_DEP_1)
	v_and_b32_e32 v43, 7, v42
	v_clz_i32_u32_e32 v44, v43
	s_delay_alu instid0(VALU_DEP_1) | instskip(NEXT) | instid1(VALU_DEP_1)
	v_min_u32_e32 v44, 32, v44
	v_subrev_nc_u32_e32 v45, 28, v44
	v_sub_nc_u32_e32 v44, 29, v44
	s_delay_alu instid0(VALU_DEP_2) | instskip(SKIP_1) | instid1(VALU_DEP_2)
	v_lshlrev_b32_e32 v45, v45, v42
	v_bfe_u32 v42, v42, 3, 4
	v_and_b32_e32 v45, 7, v45
	s_delay_alu instid0(VALU_DEP_2) | instskip(NEXT) | instid1(VALU_DEP_2)
	v_cmp_eq_u32_e32 vcc_lo, 0, v42
	v_dual_cndmask_b32 v42, v42, v44 :: v_dual_cndmask_b32 v43, v43, v45
	v_and_b32_e32 v44, 0x80000000, v46
	s_delay_alu instid0(VALU_DEP_2) | instskip(NEXT) | instid1(VALU_DEP_3)
	v_lshl_add_u32 v42, v42, 23, 0x3b800000
	v_lshlrev_b32_e32 v43, 20, v43
	s_delay_alu instid0(VALU_DEP_1)
	v_or3_b32 v42, v44, v42, v43
.LBB6_6746:                             ;   in Loop: Header=BB6_5432 Depth=2
	s_or_b32 exec_lo, exec_lo, s24
	s_delay_alu instid0(VALU_DEP_1) | instskip(SKIP_1) | instid1(VALU_DEP_1)
	v_dual_max_f32 v42, v42, v42 :: v_dual_max_f32 v41, v41, v41
	s_mov_b32 s7, 0
	v_max_f32_e32 v41, v41, v42
	s_branch .LBB6_6748
.LBB6_6747:                             ;   in Loop: Header=BB6_5432 Depth=2
	s_mov_b32 s7, -1
                                        ; implicit-def: $vgpr41
.LBB6_6748:                             ;   in Loop: Header=BB6_5432 Depth=2
	s_delay_alu instid0(SALU_CYCLE_1)
	s_and_b32 vcc_lo, exec_lo, s7
	s_cbranch_vccz .LBB6_6758
; %bb.6749:                             ;   in Loop: Header=BB6_5432 Depth=2
	s_mov_b32 s7, 0
	s_mov_b32 s25, exec_lo
                                        ; implicit-def: $sgpr24
	v_cmpx_lt_i16_e32 0x7f, v40
	s_xor_b32 s25, exec_lo, s25
	s_cbranch_execnz .LBB6_8014
; %bb.6750:                             ;   in Loop: Header=BB6_5432 Depth=2
	s_or_saveexec_b32 s25, s25
	v_mov_b32_e32 v41, s24
	s_xor_b32 exec_lo, exec_lo, s25
	s_cbranch_execnz .LBB6_8017
.LBB6_6751:                             ;   in Loop: Header=BB6_5432 Depth=2
	s_or_b32 exec_lo, exec_lo, s25
	s_and_saveexec_b32 s24, s7
	s_cbranch_execz .LBB6_6753
.LBB6_6752:                             ;   in Loop: Header=BB6_5432 Depth=2
	v_and_b32_e32 v40, 0xffff, v40
	v_lshlrev_b32_e32 v44, 16, v25
	s_delay_alu instid0(VALU_DEP_2) | instskip(NEXT) | instid1(VALU_DEP_1)
	v_and_b32_e32 v41, 7, v40
	v_clz_i32_u32_e32 v42, v41
	s_delay_alu instid0(VALU_DEP_1) | instskip(NEXT) | instid1(VALU_DEP_1)
	v_min_u32_e32 v42, 32, v42
	v_subrev_nc_u32_e32 v43, 28, v42
	v_sub_nc_u32_e32 v42, 29, v42
	s_delay_alu instid0(VALU_DEP_2) | instskip(SKIP_1) | instid1(VALU_DEP_2)
	v_lshlrev_b32_e32 v43, v43, v40
	v_bfe_u32 v40, v40, 3, 4
	v_and_b32_e32 v43, 7, v43
	s_delay_alu instid0(VALU_DEP_2) | instskip(NEXT) | instid1(VALU_DEP_2)
	v_cmp_eq_u32_e32 vcc_lo, 0, v40
	v_dual_cndmask_b32 v40, v40, v42 :: v_dual_cndmask_b32 v41, v41, v43
	v_and_b32_e32 v42, 0x80000000, v44
	s_delay_alu instid0(VALU_DEP_2) | instskip(NEXT) | instid1(VALU_DEP_3)
	v_lshl_add_u32 v40, v40, 23, 0x3b800000
	v_lshlrev_b32_e32 v41, 20, v41
	s_delay_alu instid0(VALU_DEP_1)
	v_or3_b32 v41, v42, v40, v41
.LBB6_6753:                             ;   in Loop: Header=BB6_5432 Depth=2
	s_or_b32 exec_lo, exec_lo, s24
	s_mov_b32 s7, 0
	s_mov_b32 s25, exec_lo
                                        ; implicit-def: $sgpr24
	v_cmpx_lt_i16_e64 0x7f, v183
	s_xor_b32 s25, exec_lo, s25
	s_cbranch_execnz .LBB6_8018
; %bb.6754:                             ;   in Loop: Header=BB6_5432 Depth=2
	s_or_saveexec_b32 s25, s25
	v_mov_b32_e32 v40, s24
	s_xor_b32 exec_lo, exec_lo, s25
	s_cbranch_execnz .LBB6_8021
.LBB6_6755:                             ;   in Loop: Header=BB6_5432 Depth=2
	s_or_b32 exec_lo, exec_lo, s25
	s_and_saveexec_b32 s24, s7
	s_cbranch_execz .LBB6_6757
.LBB6_6756:                             ;   in Loop: Header=BB6_5432 Depth=2
	v_and_b32_e32 v183, 0xffff, v183
	v_lshlrev_b32_e32 v44, 16, v21
	s_delay_alu instid0(VALU_DEP_2) | instskip(NEXT) | instid1(VALU_DEP_1)
	v_and_b32_e32 v40, 7, v183
	v_clz_i32_u32_e32 v42, v40
	s_delay_alu instid0(VALU_DEP_1) | instskip(NEXT) | instid1(VALU_DEP_1)
	v_min_u32_e32 v42, 32, v42
	v_subrev_nc_u32_e32 v43, 28, v42
	v_sub_nc_u32_e32 v42, 29, v42
	s_delay_alu instid0(VALU_DEP_2) | instskip(SKIP_1) | instid1(VALU_DEP_2)
	v_lshlrev_b32_e32 v43, v43, v183
	v_bfe_u32 v183, v183, 3, 4
	v_and_b32_e32 v43, 7, v43
	s_delay_alu instid0(VALU_DEP_2) | instskip(NEXT) | instid1(VALU_DEP_2)
	v_cmp_eq_u32_e32 vcc_lo, 0, v183
	v_dual_cndmask_b32 v183, v183, v42 :: v_dual_cndmask_b32 v40, v40, v43
	v_and_b32_e32 v42, 0x80000000, v44
	s_delay_alu instid0(VALU_DEP_2) | instskip(NEXT) | instid1(VALU_DEP_3)
	v_lshl_add_u32 v183, v183, 23, 0x3b800000
	v_lshlrev_b32_e32 v40, 20, v40
	s_delay_alu instid0(VALU_DEP_1)
	v_or3_b32 v40, v42, v183, v40
.LBB6_6757:                             ;   in Loop: Header=BB6_5432 Depth=2
	s_or_b32 exec_lo, exec_lo, s24
	s_delay_alu instid0(VALU_DEP_1) | instskip(NEXT) | instid1(VALU_DEP_1)
	v_dual_max_f32 v183, v40, v40 :: v_dual_max_f32 v40, v41, v41
	v_min_f32_e32 v41, v40, v183
.LBB6_6758:                             ;   in Loop: Header=BB6_5432 Depth=2
	s_delay_alu instid0(VALU_DEP_1) | instskip(NEXT) | instid1(VALU_DEP_1)
	v_and_b32_e32 v183, 0x7f800000, v41
	v_cmp_ne_u32_e32 vcc_lo, 0x7f800000, v183
	v_mov_b32_e32 v183, 0x80
	s_and_saveexec_b32 s24, vcc_lo
	s_cbranch_execz .LBB6_6766
; %bb.6759:                             ;   in Loop: Header=BB6_5432 Depth=2
	v_mov_b32_e32 v183, 0
	s_mov_b32 s25, exec_lo
	v_cmpx_ne_u32_e32 0, v41
	s_cbranch_execz .LBB6_6765
; %bb.6760:                             ;   in Loop: Header=BB6_5432 Depth=2
	v_bfe_u32 v183, v41, 23, 8
	v_and_b32_e32 v40, 0x7fffff, v41
	s_delay_alu instid0(VALU_DEP_2) | instskip(SKIP_1) | instid1(VALU_DEP_3)
	v_sub_nc_u32_e32 v42, 0x78, v183
	v_cmp_gt_u32_e32 vcc_lo, 0x79, v183
	v_or_b32_e32 v43, 0x800000, v40
	s_delay_alu instid0(VALU_DEP_3) | instskip(SKIP_2) | instid1(VALU_DEP_3)
	v_cndmask_b32_e32 v42, 0, v42, vcc_lo
	v_cmp_eq_u32_e32 vcc_lo, 0, v183
	v_add_nc_u32_e32 v183, 0xffffff89, v183
	v_cndmask_b32_e64 v42, v42, 0x77, vcc_lo
	v_cndmask_b32_e32 v40, v43, v40, vcc_lo
	s_delay_alu instid0(VALU_DEP_3) | instskip(NEXT) | instid1(VALU_DEP_3)
	v_cndmask_b32_e64 v183, v183, 0xffffff8a, vcc_lo
	v_lshl_add_u32 v43, 0x100000, v42, -1
	s_delay_alu instid0(VALU_DEP_3) | instskip(SKIP_1) | instid1(VALU_DEP_4)
	v_lshrrev_b32_e32 v44, v42, v40
	v_lshlrev_b32_e64 v46, v42, 0x80000
	v_add_nc_u32_e32 v42, v42, v183
	s_delay_alu instid0(VALU_DEP_4) | instskip(NEXT) | instid1(VALU_DEP_4)
	v_and_b32_e32 v40, v43, v40
	v_bfe_u32 v45, v44, 20, 1
	s_delay_alu instid0(VALU_DEP_2) | instskip(NEXT) | instid1(VALU_DEP_2)
	v_cmp_eq_u32_e64 s7, v40, v46
	v_add_nc_u32_e32 v43, -1, v45
	s_delay_alu instid0(VALU_DEP_1) | instskip(SKIP_2) | instid1(VALU_DEP_2)
	v_cndmask_b32_e64 v40, 0, v43, s7
	v_lshrrev_b32_e32 v43, 23, v44
	s_mov_b32 s7, exec_lo
	v_add_nc_u32_e32 v40, v40, v44
	s_delay_alu instid0(VALU_DEP_2) | instskip(NEXT) | instid1(VALU_DEP_2)
	v_xor_b32_e32 v43, 1, v43
	v_and_b32_e32 v183, 0xfffff, v40
	s_delay_alu instid0(VALU_DEP_1) | instskip(NEXT) | instid1(VALU_DEP_3)
	v_add_nc_u32_e32 v40, v183, v44
                                        ; implicit-def: $vgpr183
	v_cmpx_ne_u32_e64 v42, v43
	s_xor_b32 s7, exec_lo, s7
; %bb.6761:                             ;   in Loop: Header=BB6_5432 Depth=2
	s_delay_alu instid0(VALU_DEP_2) | instskip(SKIP_2) | instid1(VALU_DEP_2)
	v_cmp_lt_u32_e32 vcc_lo, 0xffffff, v40
	v_sub_nc_u32_e32 v183, v42, v43
	v_cndmask_b32_e64 v42, 0, 1, vcc_lo
	v_add_co_ci_u32_e32 v183, vcc_lo, 0, v183, vcc_lo
	s_delay_alu instid0(VALU_DEP_2)
	v_lshrrev_b32_e32 v40, v42, v40
; %bb.6762:                             ;   in Loop: Header=BB6_5432 Depth=2
	s_and_not1_saveexec_b32 s7, s7
; %bb.6763:                             ;   in Loop: Header=BB6_5432 Depth=2
	s_delay_alu instid0(VALU_DEP_1)
	v_bfe_u32 v183, v40, 23, 1
; %bb.6764:                             ;   in Loop: Header=BB6_5432 Depth=2
	s_or_b32 exec_lo, exec_lo, s7
	v_lshrrev_b32_e32 v40, 20, v40
	s_delay_alu instid0(VALU_DEP_2) | instskip(SKIP_2) | instid1(VALU_DEP_2)
	v_cmp_gt_i32_e32 vcc_lo, 16, v183
	v_lshrrev_b32_e32 v41, 24, v41
	v_min_i32_e32 v42, 15, v183
	v_dual_cndmask_b32 v40, 7, v40 :: v_dual_and_b32 v41, 0x80, v41
	s_delay_alu instid0(VALU_DEP_1) | instskip(SKIP_1) | instid1(VALU_DEP_2)
	v_or_b32_e32 v183, v183, v40
	v_and_b32_e32 v43, 7, v40
	v_cmp_ne_u32_e32 vcc_lo, 0, v183
	v_lshlrev_b32_e32 v42, 3, v42
	s_delay_alu instid0(VALU_DEP_1) | instskip(NEXT) | instid1(VALU_DEP_1)
	v_or3_b32 v40, v42, v41, v43
	v_cndmask_b32_e32 v183, 0, v40, vcc_lo
.LBB6_6765:                             ;   in Loop: Header=BB6_5432 Depth=2
	s_or_b32 exec_lo, exec_lo, s25
.LBB6_6766:                             ;   in Loop: Header=BB6_5432 Depth=2
	s_delay_alu instid0(SALU_CYCLE_1)
	s_or_b32 exec_lo, exec_lo, s24
	v_lshrrev_b32_e32 v41, 16, v25
	v_lshrrev_b32_e32 v40, 16, v21
	s_and_not1_b32 vcc_lo, exec_lo, s23
	s_cbranch_vccnz .LBB6_6776
; %bb.6767:                             ;   in Loop: Header=BB6_5432 Depth=2
	s_delay_alu instid0(VALU_DEP_2) | instskip(SKIP_2) | instid1(VALU_DEP_1)
	v_and_b32_e32 v43, 0xff, v41
	s_mov_b32 s7, 0
	s_mov_b32 s25, exec_lo
                                        ; implicit-def: $sgpr24
	v_cmpx_lt_i16_e32 0x7f, v43
	s_xor_b32 s25, exec_lo, s25
	s_cbranch_execnz .LBB6_8022
; %bb.6768:                             ;   in Loop: Header=BB6_5432 Depth=2
	s_or_saveexec_b32 s25, s25
	v_mov_b32_e32 v42, s24
	s_xor_b32 exec_lo, exec_lo, s25
	s_cbranch_execnz .LBB6_8025
.LBB6_6769:                             ;   in Loop: Header=BB6_5432 Depth=2
	s_or_b32 exec_lo, exec_lo, s25
	s_and_saveexec_b32 s24, s7
	s_cbranch_execz .LBB6_6771
.LBB6_6770:                             ;   in Loop: Header=BB6_5432 Depth=2
	v_bfe_u32 v42, v25, 16, 3
	v_bfe_u32 v45, v25, 19, 4
	v_lshlrev_b32_e32 v46, 24, v41
	s_delay_alu instid0(VALU_DEP_3) | instskip(NEXT) | instid1(VALU_DEP_3)
	v_clz_i32_u32_e32 v43, v42
	v_cmp_eq_u32_e32 vcc_lo, 0, v45
	s_delay_alu instid0(VALU_DEP_2) | instskip(NEXT) | instid1(VALU_DEP_1)
	v_min_u32_e32 v43, 32, v43
	v_subrev_nc_u32_e32 v44, 28, v43
	v_sub_nc_u32_e32 v43, 29, v43
	s_delay_alu instid0(VALU_DEP_1) | instskip(NEXT) | instid1(VALU_DEP_1)
	v_dual_cndmask_b32 v43, v45, v43 :: v_dual_lshlrev_b32 v44, v44, v41
	v_and_b32_e32 v44, 7, v44
	s_delay_alu instid0(VALU_DEP_2) | instskip(NEXT) | instid1(VALU_DEP_2)
	v_lshl_add_u32 v43, v43, 23, 0x3b800000
	v_cndmask_b32_e32 v42, v42, v44, vcc_lo
	v_and_b32_e32 v44, 0x80000000, v46
	s_delay_alu instid0(VALU_DEP_2) | instskip(NEXT) | instid1(VALU_DEP_1)
	v_lshlrev_b32_e32 v42, 20, v42
	v_or3_b32 v42, v44, v43, v42
.LBB6_6771:                             ;   in Loop: Header=BB6_5432 Depth=2
	s_or_b32 exec_lo, exec_lo, s24
	v_and_b32_e32 v44, 0xff, v40
	s_mov_b32 s7, 0
	s_mov_b32 s25, exec_lo
                                        ; implicit-def: $sgpr24
	s_delay_alu instid0(VALU_DEP_1)
	v_cmpx_lt_i16_e32 0x7f, v44
	s_xor_b32 s25, exec_lo, s25
	s_cbranch_execnz .LBB6_8026
; %bb.6772:                             ;   in Loop: Header=BB6_5432 Depth=2
	s_or_saveexec_b32 s25, s25
	v_mov_b32_e32 v43, s24
	s_xor_b32 exec_lo, exec_lo, s25
	s_cbranch_execnz .LBB6_8029
.LBB6_6773:                             ;   in Loop: Header=BB6_5432 Depth=2
	s_or_b32 exec_lo, exec_lo, s25
	s_and_saveexec_b32 s24, s7
	s_cbranch_execz .LBB6_6775
.LBB6_6774:                             ;   in Loop: Header=BB6_5432 Depth=2
	v_bfe_u32 v43, v21, 16, 3
	v_bfe_u32 v46, v21, 19, 4
	v_lshlrev_b32_e32 v47, 24, v40
	s_delay_alu instid0(VALU_DEP_3) | instskip(NEXT) | instid1(VALU_DEP_3)
	v_clz_i32_u32_e32 v44, v43
	v_cmp_eq_u32_e32 vcc_lo, 0, v46
	s_delay_alu instid0(VALU_DEP_2) | instskip(NEXT) | instid1(VALU_DEP_1)
	v_min_u32_e32 v44, 32, v44
	v_subrev_nc_u32_e32 v45, 28, v44
	v_sub_nc_u32_e32 v44, 29, v44
	s_delay_alu instid0(VALU_DEP_2) | instskip(NEXT) | instid1(VALU_DEP_1)
	v_lshlrev_b32_e32 v45, v45, v40
	v_dual_cndmask_b32 v44, v46, v44 :: v_dual_and_b32 v45, 7, v45
	s_delay_alu instid0(VALU_DEP_1) | instskip(NEXT) | instid1(VALU_DEP_2)
	v_lshl_add_u32 v44, v44, 23, 0x3b800000
	v_cndmask_b32_e32 v43, v43, v45, vcc_lo
	v_and_b32_e32 v45, 0x80000000, v47
	s_delay_alu instid0(VALU_DEP_2) | instskip(NEXT) | instid1(VALU_DEP_1)
	v_lshlrev_b32_e32 v43, 20, v43
	v_or3_b32 v43, v45, v44, v43
.LBB6_6775:                             ;   in Loop: Header=BB6_5432 Depth=2
	s_or_b32 exec_lo, exec_lo, s24
	s_delay_alu instid0(VALU_DEP_1) | instskip(SKIP_1) | instid1(VALU_DEP_1)
	v_dual_max_f32 v43, v43, v43 :: v_dual_max_f32 v42, v42, v42
	s_mov_b32 s7, 0
	v_max_f32_e32 v42, v42, v43
	s_branch .LBB6_6777
.LBB6_6776:                             ;   in Loop: Header=BB6_5432 Depth=2
	s_mov_b32 s7, -1
                                        ; implicit-def: $vgpr42
.LBB6_6777:                             ;   in Loop: Header=BB6_5432 Depth=2
	s_delay_alu instid0(SALU_CYCLE_1)
	s_and_b32 vcc_lo, exec_lo, s7
	s_cbranch_vccz .LBB6_6787
; %bb.6778:                             ;   in Loop: Header=BB6_5432 Depth=2
	v_and_b32_e32 v43, 0xff, v41
	s_mov_b32 s7, 0
	s_mov_b32 s25, exec_lo
                                        ; implicit-def: $sgpr24
	s_delay_alu instid0(VALU_DEP_1)
	v_cmpx_lt_i16_e32 0x7f, v43
	s_xor_b32 s25, exec_lo, s25
	s_cbranch_execnz .LBB6_8030
; %bb.6779:                             ;   in Loop: Header=BB6_5432 Depth=2
	s_or_saveexec_b32 s25, s25
	v_mov_b32_e32 v42, s24
	s_xor_b32 exec_lo, exec_lo, s25
	s_cbranch_execnz .LBB6_8033
.LBB6_6780:                             ;   in Loop: Header=BB6_5432 Depth=2
	s_or_b32 exec_lo, exec_lo, s25
	s_and_saveexec_b32 s24, s7
	s_cbranch_execz .LBB6_6782
.LBB6_6781:                             ;   in Loop: Header=BB6_5432 Depth=2
	v_bfe_u32 v42, v25, 16, 3
	v_bfe_u32 v45, v25, 19, 4
	s_delay_alu instid0(VALU_DEP_2) | instskip(NEXT) | instid1(VALU_DEP_2)
	v_clz_i32_u32_e32 v43, v42
	v_cmp_eq_u32_e32 vcc_lo, 0, v45
	s_delay_alu instid0(VALU_DEP_2) | instskip(NEXT) | instid1(VALU_DEP_1)
	v_min_u32_e32 v43, 32, v43
	v_subrev_nc_u32_e32 v44, 28, v43
	v_sub_nc_u32_e32 v43, 29, v43
	s_delay_alu instid0(VALU_DEP_1) | instskip(NEXT) | instid1(VALU_DEP_1)
	v_dual_cndmask_b32 v43, v45, v43 :: v_dual_lshlrev_b32 v44, v44, v41
	v_and_b32_e32 v44, 7, v44
	v_lshlrev_b32_e32 v41, 24, v41
	s_delay_alu instid0(VALU_DEP_3) | instskip(NEXT) | instid1(VALU_DEP_2)
	v_lshl_add_u32 v43, v43, 23, 0x3b800000
	v_dual_cndmask_b32 v42, v42, v44 :: v_dual_and_b32 v41, 0x80000000, v41
	s_delay_alu instid0(VALU_DEP_1) | instskip(NEXT) | instid1(VALU_DEP_1)
	v_lshlrev_b32_e32 v42, 20, v42
	v_or3_b32 v42, v41, v43, v42
.LBB6_6782:                             ;   in Loop: Header=BB6_5432 Depth=2
	s_or_b32 exec_lo, exec_lo, s24
	v_and_b32_e32 v43, 0xff, v40
	s_mov_b32 s7, 0
	s_mov_b32 s25, exec_lo
                                        ; implicit-def: $sgpr24
	s_delay_alu instid0(VALU_DEP_1)
	v_cmpx_lt_i16_e32 0x7f, v43
	s_xor_b32 s25, exec_lo, s25
	s_cbranch_execnz .LBB6_8034
; %bb.6783:                             ;   in Loop: Header=BB6_5432 Depth=2
	s_or_saveexec_b32 s25, s25
	v_mov_b32_e32 v41, s24
	s_xor_b32 exec_lo, exec_lo, s25
	s_cbranch_execnz .LBB6_8037
.LBB6_6784:                             ;   in Loop: Header=BB6_5432 Depth=2
	s_or_b32 exec_lo, exec_lo, s25
	s_and_saveexec_b32 s24, s7
	s_cbranch_execz .LBB6_6786
.LBB6_6785:                             ;   in Loop: Header=BB6_5432 Depth=2
	v_bfe_u32 v41, v21, 16, 3
	v_bfe_u32 v45, v21, 19, 4
	s_delay_alu instid0(VALU_DEP_2) | instskip(NEXT) | instid1(VALU_DEP_2)
	v_clz_i32_u32_e32 v43, v41
	v_cmp_eq_u32_e32 vcc_lo, 0, v45
	s_delay_alu instid0(VALU_DEP_2) | instskip(NEXT) | instid1(VALU_DEP_1)
	v_min_u32_e32 v43, 32, v43
	v_subrev_nc_u32_e32 v44, 28, v43
	v_sub_nc_u32_e32 v43, 29, v43
	s_delay_alu instid0(VALU_DEP_1) | instskip(SKIP_1) | instid1(VALU_DEP_2)
	v_dual_cndmask_b32 v43, v45, v43 :: v_dual_lshlrev_b32 v44, v44, v40
	v_lshlrev_b32_e32 v40, 24, v40
	v_and_b32_e32 v44, 7, v44
	s_delay_alu instid0(VALU_DEP_3) | instskip(NEXT) | instid1(VALU_DEP_3)
	v_lshl_add_u32 v43, v43, 23, 0x3b800000
	v_and_b32_e32 v40, 0x80000000, v40
	s_delay_alu instid0(VALU_DEP_3) | instskip(NEXT) | instid1(VALU_DEP_1)
	v_cndmask_b32_e32 v41, v41, v44, vcc_lo
	v_lshlrev_b32_e32 v41, 20, v41
	s_delay_alu instid0(VALU_DEP_1)
	v_or3_b32 v41, v40, v43, v41
.LBB6_6786:                             ;   in Loop: Header=BB6_5432 Depth=2
	s_or_b32 exec_lo, exec_lo, s24
	s_delay_alu instid0(VALU_DEP_1) | instskip(NEXT) | instid1(VALU_DEP_1)
	v_dual_max_f32 v40, v41, v41 :: v_dual_max_f32 v41, v42, v42
	v_min_f32_e32 v42, v41, v40
.LBB6_6787:                             ;   in Loop: Header=BB6_5432 Depth=2
	s_delay_alu instid0(VALU_DEP_1) | instskip(NEXT) | instid1(VALU_DEP_1)
	v_and_b32_e32 v40, 0x7f800000, v42
	v_cmp_ne_u32_e32 vcc_lo, 0x7f800000, v40
	v_mov_b32_e32 v40, 0x80
	s_and_saveexec_b32 s24, vcc_lo
	s_cbranch_execz .LBB6_6795
; %bb.6788:                             ;   in Loop: Header=BB6_5432 Depth=2
	v_mov_b32_e32 v40, 0
	s_mov_b32 s25, exec_lo
	v_cmpx_ne_u32_e32 0, v42
	s_cbranch_execz .LBB6_6794
; %bb.6789:                             ;   in Loop: Header=BB6_5432 Depth=2
	v_bfe_u32 v40, v42, 23, 8
	v_and_b32_e32 v41, 0x7fffff, v42
	s_delay_alu instid0(VALU_DEP_2) | instskip(SKIP_1) | instid1(VALU_DEP_3)
	v_sub_nc_u32_e32 v43, 0x78, v40
	v_cmp_gt_u32_e32 vcc_lo, 0x79, v40
	v_or_b32_e32 v44, 0x800000, v41
	s_delay_alu instid0(VALU_DEP_3) | instskip(SKIP_2) | instid1(VALU_DEP_3)
	v_cndmask_b32_e32 v43, 0, v43, vcc_lo
	v_cmp_eq_u32_e32 vcc_lo, 0, v40
	v_add_nc_u32_e32 v40, 0xffffff89, v40
	v_cndmask_b32_e64 v43, v43, 0x77, vcc_lo
	v_cndmask_b32_e32 v41, v44, v41, vcc_lo
	s_delay_alu instid0(VALU_DEP_3) | instskip(NEXT) | instid1(VALU_DEP_3)
	v_cndmask_b32_e64 v40, v40, 0xffffff8a, vcc_lo
	v_lshl_add_u32 v44, 0x100000, v43, -1
	s_delay_alu instid0(VALU_DEP_3) | instskip(SKIP_1) | instid1(VALU_DEP_4)
	v_lshrrev_b32_e32 v45, v43, v41
	v_lshlrev_b32_e64 v47, v43, 0x80000
	v_add_nc_u32_e32 v43, v43, v40
	s_delay_alu instid0(VALU_DEP_4) | instskip(NEXT) | instid1(VALU_DEP_4)
	v_and_b32_e32 v41, v44, v41
	v_bfe_u32 v46, v45, 20, 1
	s_delay_alu instid0(VALU_DEP_2) | instskip(NEXT) | instid1(VALU_DEP_2)
	v_cmp_eq_u32_e64 s7, v41, v47
	v_add_nc_u32_e32 v44, -1, v46
	s_delay_alu instid0(VALU_DEP_1) | instskip(SKIP_2) | instid1(VALU_DEP_2)
	v_cndmask_b32_e64 v41, 0, v44, s7
	v_lshrrev_b32_e32 v44, 23, v45
	s_mov_b32 s7, exec_lo
	v_add_nc_u32_e32 v41, v41, v45
	s_delay_alu instid0(VALU_DEP_2) | instskip(NEXT) | instid1(VALU_DEP_2)
	v_xor_b32_e32 v44, 1, v44
	v_and_b32_e32 v40, 0xfffff, v41
	s_delay_alu instid0(VALU_DEP_1) | instskip(NEXT) | instid1(VALU_DEP_3)
	v_add_nc_u32_e32 v41, v40, v45
                                        ; implicit-def: $vgpr40
	v_cmpx_ne_u32_e64 v43, v44
	s_xor_b32 s7, exec_lo, s7
; %bb.6790:                             ;   in Loop: Header=BB6_5432 Depth=2
	s_delay_alu instid0(VALU_DEP_2) | instskip(SKIP_2) | instid1(VALU_DEP_2)
	v_cmp_lt_u32_e32 vcc_lo, 0xffffff, v41
	v_sub_nc_u32_e32 v40, v43, v44
	v_cndmask_b32_e64 v43, 0, 1, vcc_lo
	v_add_co_ci_u32_e32 v40, vcc_lo, 0, v40, vcc_lo
	s_delay_alu instid0(VALU_DEP_2)
	v_lshrrev_b32_e32 v41, v43, v41
; %bb.6791:                             ;   in Loop: Header=BB6_5432 Depth=2
	s_and_not1_saveexec_b32 s7, s7
; %bb.6792:                             ;   in Loop: Header=BB6_5432 Depth=2
	s_delay_alu instid0(VALU_DEP_1)
	v_bfe_u32 v40, v41, 23, 1
; %bb.6793:                             ;   in Loop: Header=BB6_5432 Depth=2
	s_or_b32 exec_lo, exec_lo, s7
	v_lshrrev_b32_e32 v41, 20, v41
	s_delay_alu instid0(VALU_DEP_2) | instskip(SKIP_2) | instid1(VALU_DEP_2)
	v_cmp_gt_i32_e32 vcc_lo, 16, v40
	v_lshrrev_b32_e32 v42, 24, v42
	v_min_i32_e32 v43, 15, v40
	v_dual_cndmask_b32 v41, 7, v41 :: v_dual_and_b32 v42, 0x80, v42
	s_delay_alu instid0(VALU_DEP_1) | instskip(SKIP_1) | instid1(VALU_DEP_2)
	v_or_b32_e32 v40, v40, v41
	v_and_b32_e32 v44, 7, v41
	v_cmp_ne_u32_e32 vcc_lo, 0, v40
	v_lshlrev_b32_e32 v43, 3, v43
	s_delay_alu instid0(VALU_DEP_1) | instskip(NEXT) | instid1(VALU_DEP_1)
	v_and_b32_e32 v43, 0xf8, v43
	v_or3_b32 v41, v43, v42, v44
	s_delay_alu instid0(VALU_DEP_1)
	v_cndmask_b32_e32 v40, 0, v41, vcc_lo
.LBB6_6794:                             ;   in Loop: Header=BB6_5432 Depth=2
	s_or_b32 exec_lo, exec_lo, s25
.LBB6_6795:                             ;   in Loop: Header=BB6_5432 Depth=2
	s_delay_alu instid0(SALU_CYCLE_1)
	s_or_b32 exec_lo, exec_lo, s24
	v_lshrrev_b32_e32 v42, 24, v25
	v_lshrrev_b32_e32 v41, 24, v21
	s_and_not1_b32 vcc_lo, exec_lo, s23
	s_cbranch_vccnz .LBB6_6805
; %bb.6796:                             ;   in Loop: Header=BB6_5432 Depth=2
	s_mov_b32 s7, 0
	s_mov_b32 s25, exec_lo
                                        ; implicit-def: $sgpr24
	v_cmpx_lt_i16_e32 0x7f, v42
	s_xor_b32 s25, exec_lo, s25
	s_cbranch_execnz .LBB6_8038
; %bb.6797:                             ;   in Loop: Header=BB6_5432 Depth=2
	s_or_saveexec_b32 s25, s25
	v_mov_b32_e32 v43, s24
	s_xor_b32 exec_lo, exec_lo, s25
	s_cbranch_execnz .LBB6_8041
.LBB6_6798:                             ;   in Loop: Header=BB6_5432 Depth=2
	s_or_b32 exec_lo, exec_lo, s25
	s_and_saveexec_b32 s24, s7
	s_cbranch_execz .LBB6_6800
.LBB6_6799:                             ;   in Loop: Header=BB6_5432 Depth=2
	v_bfe_u32 v43, v25, 24, 3
	v_bfe_u32 v46, v25, 27, 4
	s_delay_alu instid0(VALU_DEP_2) | instskip(NEXT) | instid1(VALU_DEP_2)
	v_clz_i32_u32_e32 v44, v43
	v_cmp_eq_u32_e32 vcc_lo, 0, v46
	s_delay_alu instid0(VALU_DEP_2) | instskip(NEXT) | instid1(VALU_DEP_1)
	v_min_u32_e32 v44, 32, v44
	v_subrev_nc_u32_e32 v45, 28, v44
	v_sub_nc_u32_e32 v44, 29, v44
	s_delay_alu instid0(VALU_DEP_1) | instskip(NEXT) | instid1(VALU_DEP_1)
	v_dual_cndmask_b32 v44, v46, v44 :: v_dual_lshlrev_b32 v45, v45, v42
	v_and_b32_e32 v45, 7, v45
	s_delay_alu instid0(VALU_DEP_2) | instskip(NEXT) | instid1(VALU_DEP_2)
	v_lshl_add_u32 v44, v44, 23, 0x3b800000
	v_cndmask_b32_e32 v43, v43, v45, vcc_lo
	v_and_b32_e32 v45, 0x80000000, v25
	s_delay_alu instid0(VALU_DEP_2) | instskip(NEXT) | instid1(VALU_DEP_1)
	v_lshlrev_b32_e32 v43, 20, v43
	v_or3_b32 v43, v45, v44, v43
.LBB6_6800:                             ;   in Loop: Header=BB6_5432 Depth=2
	s_or_b32 exec_lo, exec_lo, s24
	s_mov_b32 s7, 0
	s_mov_b32 s25, exec_lo
                                        ; implicit-def: $sgpr24
	v_cmpx_lt_i16_e32 0x7f, v41
	s_xor_b32 s25, exec_lo, s25
	s_cbranch_execnz .LBB6_8042
; %bb.6801:                             ;   in Loop: Header=BB6_5432 Depth=2
	s_or_saveexec_b32 s25, s25
	v_mov_b32_e32 v44, s24
	s_xor_b32 exec_lo, exec_lo, s25
	s_cbranch_execnz .LBB6_8045
.LBB6_6802:                             ;   in Loop: Header=BB6_5432 Depth=2
	s_or_b32 exec_lo, exec_lo, s25
	s_and_saveexec_b32 s24, s7
	s_cbranch_execz .LBB6_6804
.LBB6_6803:                             ;   in Loop: Header=BB6_5432 Depth=2
	v_bfe_u32 v44, v21, 24, 3
	v_bfe_u32 v47, v21, 27, 4
	s_delay_alu instid0(VALU_DEP_2) | instskip(NEXT) | instid1(VALU_DEP_2)
	v_clz_i32_u32_e32 v45, v44
	v_cmp_eq_u32_e32 vcc_lo, 0, v47
	s_delay_alu instid0(VALU_DEP_2) | instskip(NEXT) | instid1(VALU_DEP_1)
	v_min_u32_e32 v45, 32, v45
	v_subrev_nc_u32_e32 v46, 28, v45
	v_sub_nc_u32_e32 v45, 29, v45
	s_delay_alu instid0(VALU_DEP_2) | instskip(NEXT) | instid1(VALU_DEP_1)
	v_lshlrev_b32_e32 v46, v46, v41
	v_dual_cndmask_b32 v45, v47, v45 :: v_dual_and_b32 v46, 7, v46
	s_delay_alu instid0(VALU_DEP_1) | instskip(NEXT) | instid1(VALU_DEP_2)
	v_lshl_add_u32 v45, v45, 23, 0x3b800000
	v_cndmask_b32_e32 v44, v44, v46, vcc_lo
	v_and_b32_e32 v46, 0x80000000, v21
	s_delay_alu instid0(VALU_DEP_2) | instskip(NEXT) | instid1(VALU_DEP_1)
	v_lshlrev_b32_e32 v44, 20, v44
	v_or3_b32 v44, v46, v45, v44
.LBB6_6804:                             ;   in Loop: Header=BB6_5432 Depth=2
	s_or_b32 exec_lo, exec_lo, s24
	s_delay_alu instid0(VALU_DEP_1) | instskip(SKIP_1) | instid1(VALU_DEP_1)
	v_dual_max_f32 v44, v44, v44 :: v_dual_max_f32 v43, v43, v43
	s_mov_b32 s7, 0
	v_max_f32_e32 v43, v43, v44
	s_branch .LBB6_6806
.LBB6_6805:                             ;   in Loop: Header=BB6_5432 Depth=2
	s_mov_b32 s7, -1
                                        ; implicit-def: $vgpr43
.LBB6_6806:                             ;   in Loop: Header=BB6_5432 Depth=2
	s_delay_alu instid0(SALU_CYCLE_1)
	s_and_b32 vcc_lo, exec_lo, s7
	s_cbranch_vccz .LBB6_6816
; %bb.6807:                             ;   in Loop: Header=BB6_5432 Depth=2
	s_mov_b32 s7, 0
	s_mov_b32 s25, exec_lo
                                        ; implicit-def: $sgpr24
	v_cmpx_lt_i16_e32 0x7f, v42
	s_xor_b32 s25, exec_lo, s25
	s_cbranch_execnz .LBB6_8046
; %bb.6808:                             ;   in Loop: Header=BB6_5432 Depth=2
	s_or_saveexec_b32 s25, s25
	v_mov_b32_e32 v43, s24
	s_xor_b32 exec_lo, exec_lo, s25
	s_cbranch_execnz .LBB6_8049
.LBB6_6809:                             ;   in Loop: Header=BB6_5432 Depth=2
	s_or_b32 exec_lo, exec_lo, s25
	s_and_saveexec_b32 s24, s7
	s_cbranch_execz .LBB6_6811
.LBB6_6810:                             ;   in Loop: Header=BB6_5432 Depth=2
	v_bfe_u32 v43, v25, 24, 3
	s_delay_alu instid0(VALU_DEP_1) | instskip(NEXT) | instid1(VALU_DEP_1)
	v_clz_i32_u32_e32 v44, v43
	v_min_u32_e32 v44, 32, v44
	s_delay_alu instid0(VALU_DEP_1) | instskip(SKIP_1) | instid1(VALU_DEP_2)
	v_subrev_nc_u32_e32 v45, 28, v44
	v_sub_nc_u32_e32 v44, 29, v44
	v_lshlrev_b32_e32 v42, v45, v42
	v_bfe_u32 v45, v25, 27, 4
	v_and_b32_e32 v25, 0x80000000, v25
	s_delay_alu instid0(VALU_DEP_3) | instskip(NEXT) | instid1(VALU_DEP_3)
	v_and_b32_e32 v42, 7, v42
	v_cmp_eq_u32_e32 vcc_lo, 0, v45
	v_cndmask_b32_e32 v44, v45, v44, vcc_lo
	s_delay_alu instid0(VALU_DEP_3) | instskip(NEXT) | instid1(VALU_DEP_2)
	v_cndmask_b32_e32 v42, v43, v42, vcc_lo
	v_lshl_add_u32 v43, v44, 23, 0x3b800000
	s_delay_alu instid0(VALU_DEP_2) | instskip(NEXT) | instid1(VALU_DEP_1)
	v_lshlrev_b32_e32 v42, 20, v42
	v_or3_b32 v43, v25, v43, v42
.LBB6_6811:                             ;   in Loop: Header=BB6_5432 Depth=2
	s_or_b32 exec_lo, exec_lo, s24
	s_mov_b32 s7, 0
	s_mov_b32 s25, exec_lo
                                        ; implicit-def: $sgpr24
	v_cmpx_lt_i16_e32 0x7f, v41
	s_xor_b32 s25, exec_lo, s25
	s_cbranch_execnz .LBB6_8050
; %bb.6812:                             ;   in Loop: Header=BB6_5432 Depth=2
	s_or_saveexec_b32 s25, s25
	v_mov_b32_e32 v25, s24
	s_xor_b32 exec_lo, exec_lo, s25
	s_cbranch_execnz .LBB6_8053
.LBB6_6813:                             ;   in Loop: Header=BB6_5432 Depth=2
	s_or_b32 exec_lo, exec_lo, s25
	s_and_saveexec_b32 s24, s7
	s_cbranch_execz .LBB6_6815
.LBB6_6814:                             ;   in Loop: Header=BB6_5432 Depth=2
	v_bfe_u32 v25, v21, 24, 3
	s_delay_alu instid0(VALU_DEP_1) | instskip(NEXT) | instid1(VALU_DEP_1)
	v_clz_i32_u32_e32 v42, v25
	v_min_u32_e32 v42, 32, v42
	s_delay_alu instid0(VALU_DEP_1) | instskip(SKIP_1) | instid1(VALU_DEP_2)
	v_subrev_nc_u32_e32 v44, 28, v42
	v_sub_nc_u32_e32 v42, 29, v42
	v_lshlrev_b32_e32 v41, v44, v41
	v_bfe_u32 v44, v21, 27, 4
	v_and_b32_e32 v21, 0x80000000, v21
	s_delay_alu instid0(VALU_DEP_2) | instskip(NEXT) | instid1(VALU_DEP_4)
	v_cmp_eq_u32_e32 vcc_lo, 0, v44
	v_dual_cndmask_b32 v42, v44, v42 :: v_dual_and_b32 v41, 7, v41
	s_delay_alu instid0(VALU_DEP_1) | instskip(NEXT) | instid1(VALU_DEP_2)
	v_cndmask_b32_e32 v25, v25, v41, vcc_lo
	v_lshl_add_u32 v41, v42, 23, 0x3b800000
	s_delay_alu instid0(VALU_DEP_2) | instskip(NEXT) | instid1(VALU_DEP_1)
	v_lshlrev_b32_e32 v25, 20, v25
	v_or3_b32 v25, v21, v41, v25
.LBB6_6815:                             ;   in Loop: Header=BB6_5432 Depth=2
	s_or_b32 exec_lo, exec_lo, s24
	s_delay_alu instid0(VALU_DEP_1) | instskip(SKIP_1) | instid1(VALU_DEP_1)
	v_max_f32_e32 v21, v25, v25
	v_max_f32_e32 v25, v43, v43
	v_min_f32_e32 v43, v25, v21
.LBB6_6816:                             ;   in Loop: Header=BB6_5432 Depth=2
	s_delay_alu instid0(VALU_DEP_1) | instskip(NEXT) | instid1(VALU_DEP_1)
	v_and_b32_e32 v21, 0x7f800000, v43
	v_cmp_ne_u32_e32 vcc_lo, 0x7f800000, v21
	v_mov_b32_e32 v21, 0x8000
	s_and_saveexec_b32 s24, vcc_lo
	s_cbranch_execz .LBB6_6824
; %bb.6817:                             ;   in Loop: Header=BB6_5432 Depth=2
	v_mov_b32_e32 v21, 0
	s_mov_b32 s25, exec_lo
	v_cmpx_ne_u32_e32 0, v43
	s_cbranch_execz .LBB6_6823
; %bb.6818:                             ;   in Loop: Header=BB6_5432 Depth=2
	v_bfe_u32 v21, v43, 23, 8
	v_and_b32_e32 v25, 0x7fffff, v43
	s_delay_alu instid0(VALU_DEP_2) | instskip(SKIP_1) | instid1(VALU_DEP_3)
	v_sub_nc_u32_e32 v41, 0x78, v21
	v_cmp_gt_u32_e32 vcc_lo, 0x79, v21
	v_or_b32_e32 v42, 0x800000, v25
	s_delay_alu instid0(VALU_DEP_3) | instskip(SKIP_2) | instid1(VALU_DEP_3)
	v_cndmask_b32_e32 v41, 0, v41, vcc_lo
	v_cmp_eq_u32_e32 vcc_lo, 0, v21
	v_add_nc_u32_e32 v21, 0xffffff89, v21
	v_cndmask_b32_e64 v41, v41, 0x77, vcc_lo
	v_cndmask_b32_e32 v25, v42, v25, vcc_lo
	s_delay_alu instid0(VALU_DEP_3) | instskip(NEXT) | instid1(VALU_DEP_3)
	v_cndmask_b32_e64 v21, v21, 0xffffff8a, vcc_lo
	v_lshl_add_u32 v42, 0x100000, v41, -1
	s_delay_alu instid0(VALU_DEP_3) | instskip(SKIP_1) | instid1(VALU_DEP_4)
	v_lshrrev_b32_e32 v44, v41, v25
	v_lshlrev_b32_e64 v46, v41, 0x80000
	v_add_nc_u32_e32 v41, v41, v21
	s_delay_alu instid0(VALU_DEP_4) | instskip(NEXT) | instid1(VALU_DEP_4)
	v_and_b32_e32 v25, v42, v25
	v_bfe_u32 v45, v44, 20, 1
	s_delay_alu instid0(VALU_DEP_2) | instskip(NEXT) | instid1(VALU_DEP_2)
	v_cmp_eq_u32_e64 s7, v25, v46
	v_add_nc_u32_e32 v42, -1, v45
	s_delay_alu instid0(VALU_DEP_1) | instskip(SKIP_2) | instid1(VALU_DEP_2)
	v_cndmask_b32_e64 v25, 0, v42, s7
	v_lshrrev_b32_e32 v42, 23, v44
	s_mov_b32 s7, exec_lo
	v_add_nc_u32_e32 v25, v25, v44
	s_delay_alu instid0(VALU_DEP_2) | instskip(NEXT) | instid1(VALU_DEP_2)
	v_xor_b32_e32 v42, 1, v42
	v_and_b32_e32 v21, 0xfffff, v25
	s_delay_alu instid0(VALU_DEP_1) | instskip(NEXT) | instid1(VALU_DEP_3)
	v_add_nc_u32_e32 v25, v21, v44
                                        ; implicit-def: $vgpr21
	v_cmpx_ne_u32_e64 v41, v42
	s_xor_b32 s7, exec_lo, s7
; %bb.6819:                             ;   in Loop: Header=BB6_5432 Depth=2
	s_delay_alu instid0(VALU_DEP_2) | instskip(SKIP_2) | instid1(VALU_DEP_2)
	v_cmp_lt_u32_e32 vcc_lo, 0xffffff, v25
	v_sub_nc_u32_e32 v21, v41, v42
	v_cndmask_b32_e64 v41, 0, 1, vcc_lo
	v_add_co_ci_u32_e32 v21, vcc_lo, 0, v21, vcc_lo
	s_delay_alu instid0(VALU_DEP_2)
	v_lshrrev_b32_e32 v25, v41, v25
; %bb.6820:                             ;   in Loop: Header=BB6_5432 Depth=2
	s_and_not1_saveexec_b32 s7, s7
; %bb.6821:                             ;   in Loop: Header=BB6_5432 Depth=2
	s_delay_alu instid0(VALU_DEP_1)
	v_bfe_u32 v21, v25, 23, 1
; %bb.6822:                             ;   in Loop: Header=BB6_5432 Depth=2
	s_or_b32 exec_lo, exec_lo, s7
	v_lshrrev_b32_e32 v25, 20, v25
	s_delay_alu instid0(VALU_DEP_2) | instskip(SKIP_2) | instid1(VALU_DEP_3)
	v_min_i32_e32 v41, 15, v21
	v_cmp_gt_i32_e32 vcc_lo, 16, v21
	v_lshrrev_b32_e32 v42, 24, v43
	v_lshlrev_b32_e32 v41, 3, v41
	s_delay_alu instid0(VALU_DEP_2) | instskip(NEXT) | instid1(VALU_DEP_2)
	v_dual_cndmask_b32 v25, 7, v25 :: v_dual_and_b32 v42, 0x80, v42
	v_and_b32_e32 v41, 0xf8, v41
	s_delay_alu instid0(VALU_DEP_2) | instskip(SKIP_1) | instid1(VALU_DEP_2)
	v_and_b32_e32 v43, 7, v25
	v_or_b32_e32 v21, v21, v25
	v_or3_b32 v41, v42, v41, v43
	s_delay_alu instid0(VALU_DEP_2) | instskip(NEXT) | instid1(VALU_DEP_2)
	v_cmp_ne_u32_e32 vcc_lo, 0, v21
	v_lshlrev_b32_e32 v25, 8, v41
	s_delay_alu instid0(VALU_DEP_1)
	v_cndmask_b32_e32 v21, 0, v25, vcc_lo
.LBB6_6823:                             ;   in Loop: Header=BB6_5432 Depth=2
	s_or_b32 exec_lo, exec_lo, s25
.LBB6_6824:                             ;   in Loop: Header=BB6_5432 Depth=2
	s_delay_alu instid0(SALU_CYCLE_1) | instskip(NEXT) | instid1(SALU_CYCLE_1)
	s_or_b32 exec_lo, exec_lo, s24
	s_and_not1_b32 vcc_lo, exec_lo, s23
	s_cbranch_vccnz .LBB6_6834
; %bb.6825:                             ;   in Loop: Header=BB6_5432 Depth=2
	v_and_b32_e32 v41, 0xff, v14
	s_mov_b32 s7, 0
	s_mov_b32 s25, exec_lo
                                        ; implicit-def: $sgpr24
	s_delay_alu instid0(VALU_DEP_1)
	v_cmpx_lt_i16_e32 0x7f, v41
	s_xor_b32 s25, exec_lo, s25
	s_cbranch_execnz .LBB6_8054
; %bb.6826:                             ;   in Loop: Header=BB6_5432 Depth=2
	s_or_saveexec_b32 s25, s25
	v_mov_b32_e32 v25, s24
	s_xor_b32 exec_lo, exec_lo, s25
	s_cbranch_execnz .LBB6_8057
.LBB6_6827:                             ;   in Loop: Header=BB6_5432 Depth=2
	s_or_b32 exec_lo, exec_lo, s25
	s_and_saveexec_b32 s24, s7
	s_cbranch_execz .LBB6_6829
.LBB6_6828:                             ;   in Loop: Header=BB6_5432 Depth=2
	v_and_b32_e32 v25, 7, v14
	v_bfe_u32 v43, v14, 3, 4
	v_lshlrev_b32_e32 v44, 24, v14
	s_delay_alu instid0(VALU_DEP_3) | instskip(NEXT) | instid1(VALU_DEP_3)
	v_clz_i32_u32_e32 v41, v25
	v_cmp_eq_u32_e32 vcc_lo, 0, v43
	s_delay_alu instid0(VALU_DEP_2) | instskip(NEXT) | instid1(VALU_DEP_1)
	v_min_u32_e32 v41, 32, v41
	v_subrev_nc_u32_e32 v42, 28, v41
	v_sub_nc_u32_e32 v41, 29, v41
	s_delay_alu instid0(VALU_DEP_1) | instskip(NEXT) | instid1(VALU_DEP_1)
	v_dual_cndmask_b32 v41, v43, v41 :: v_dual_lshlrev_b32 v42, v42, v14
	v_and_b32_e32 v42, 7, v42
	s_delay_alu instid0(VALU_DEP_2) | instskip(NEXT) | instid1(VALU_DEP_2)
	v_lshl_add_u32 v41, v41, 23, 0x3b800000
	v_dual_cndmask_b32 v25, v25, v42 :: v_dual_and_b32 v42, 0x80000000, v44
	s_delay_alu instid0(VALU_DEP_1) | instskip(NEXT) | instid1(VALU_DEP_1)
	v_lshlrev_b32_e32 v25, 20, v25
	v_or3_b32 v25, v42, v41, v25
.LBB6_6829:                             ;   in Loop: Header=BB6_5432 Depth=2
	s_or_b32 exec_lo, exec_lo, s24
	s_waitcnt vmcnt(0)
	v_and_b32_e32 v42, 0xff, v10
	s_mov_b32 s7, 0
	s_mov_b32 s25, exec_lo
                                        ; implicit-def: $sgpr24
	s_delay_alu instid0(VALU_DEP_1)
	v_cmpx_lt_i16_e32 0x7f, v42
	s_xor_b32 s25, exec_lo, s25
	s_cbranch_execnz .LBB6_8058
; %bb.6830:                             ;   in Loop: Header=BB6_5432 Depth=2
	s_or_saveexec_b32 s25, s25
	v_mov_b32_e32 v41, s24
	s_xor_b32 exec_lo, exec_lo, s25
	s_cbranch_execnz .LBB6_8061
.LBB6_6831:                             ;   in Loop: Header=BB6_5432 Depth=2
	s_or_b32 exec_lo, exec_lo, s25
	s_and_saveexec_b32 s24, s7
	s_cbranch_execz .LBB6_6833
.LBB6_6832:                             ;   in Loop: Header=BB6_5432 Depth=2
	v_and_b32_e32 v41, 7, v10
	v_bfe_u32 v44, v10, 3, 4
	v_lshlrev_b32_e32 v45, 24, v10
	s_delay_alu instid0(VALU_DEP_3) | instskip(NEXT) | instid1(VALU_DEP_3)
	v_clz_i32_u32_e32 v42, v41
	v_cmp_eq_u32_e32 vcc_lo, 0, v44
	s_delay_alu instid0(VALU_DEP_2) | instskip(NEXT) | instid1(VALU_DEP_1)
	v_min_u32_e32 v42, 32, v42
	v_subrev_nc_u32_e32 v43, 28, v42
	v_sub_nc_u32_e32 v42, 29, v42
	s_delay_alu instid0(VALU_DEP_2) | instskip(NEXT) | instid1(VALU_DEP_1)
	v_lshlrev_b32_e32 v43, v43, v10
	v_dual_cndmask_b32 v42, v44, v42 :: v_dual_and_b32 v43, 7, v43
	s_delay_alu instid0(VALU_DEP_1) | instskip(NEXT) | instid1(VALU_DEP_2)
	v_lshl_add_u32 v42, v42, 23, 0x3b800000
	v_cndmask_b32_e32 v41, v41, v43, vcc_lo
	v_and_b32_e32 v43, 0x80000000, v45
	s_delay_alu instid0(VALU_DEP_2) | instskip(NEXT) | instid1(VALU_DEP_1)
	v_lshlrev_b32_e32 v41, 20, v41
	v_or3_b32 v41, v43, v42, v41
.LBB6_6833:                             ;   in Loop: Header=BB6_5432 Depth=2
	s_or_b32 exec_lo, exec_lo, s24
	s_delay_alu instid0(VALU_DEP_1) | instskip(SKIP_2) | instid1(VALU_DEP_1)
	v_max_f32_e32 v41, v41, v41
	v_max_f32_e32 v25, v25, v25
	s_mov_b32 s7, 0
	v_max_f32_e32 v41, v25, v41
	s_branch .LBB6_6835
.LBB6_6834:                             ;   in Loop: Header=BB6_5432 Depth=2
	s_mov_b32 s7, -1
                                        ; implicit-def: $vgpr41
.LBB6_6835:                             ;   in Loop: Header=BB6_5432 Depth=2
	s_delay_alu instid0(SALU_CYCLE_1)
	s_and_b32 vcc_lo, exec_lo, s7
	s_cbranch_vccz .LBB6_6845
; %bb.6836:                             ;   in Loop: Header=BB6_5432 Depth=2
	v_and_b32_e32 v41, 0xff, v14
	s_mov_b32 s7, 0
	s_mov_b32 s25, exec_lo
                                        ; implicit-def: $sgpr24
	s_delay_alu instid0(VALU_DEP_1)
	v_cmpx_lt_i16_e32 0x7f, v41
	s_xor_b32 s25, exec_lo, s25
	s_cbranch_execnz .LBB6_8062
; %bb.6837:                             ;   in Loop: Header=BB6_5432 Depth=2
	s_or_saveexec_b32 s25, s25
	v_mov_b32_e32 v25, s24
	s_xor_b32 exec_lo, exec_lo, s25
	s_cbranch_execnz .LBB6_8065
.LBB6_6838:                             ;   in Loop: Header=BB6_5432 Depth=2
	s_or_b32 exec_lo, exec_lo, s25
	s_and_saveexec_b32 s24, s7
	s_cbranch_execz .LBB6_6840
.LBB6_6839:                             ;   in Loop: Header=BB6_5432 Depth=2
	v_and_b32_e32 v25, 7, v14
	v_bfe_u32 v43, v14, 3, 4
	v_lshlrev_b32_e32 v44, 24, v14
	s_delay_alu instid0(VALU_DEP_3) | instskip(NEXT) | instid1(VALU_DEP_3)
	v_clz_i32_u32_e32 v41, v25
	v_cmp_eq_u32_e32 vcc_lo, 0, v43
	s_delay_alu instid0(VALU_DEP_2) | instskip(NEXT) | instid1(VALU_DEP_1)
	v_min_u32_e32 v41, 32, v41
	v_subrev_nc_u32_e32 v42, 28, v41
	v_sub_nc_u32_e32 v41, 29, v41
	s_delay_alu instid0(VALU_DEP_1) | instskip(NEXT) | instid1(VALU_DEP_1)
	v_dual_cndmask_b32 v41, v43, v41 :: v_dual_lshlrev_b32 v42, v42, v14
	v_and_b32_e32 v42, 7, v42
	s_delay_alu instid0(VALU_DEP_2) | instskip(NEXT) | instid1(VALU_DEP_2)
	v_lshl_add_u32 v41, v41, 23, 0x3b800000
	v_dual_cndmask_b32 v25, v25, v42 :: v_dual_and_b32 v42, 0x80000000, v44
	s_delay_alu instid0(VALU_DEP_1) | instskip(NEXT) | instid1(VALU_DEP_1)
	v_lshlrev_b32_e32 v25, 20, v25
	v_or3_b32 v25, v42, v41, v25
.LBB6_6840:                             ;   in Loop: Header=BB6_5432 Depth=2
	s_or_b32 exec_lo, exec_lo, s24
	s_waitcnt vmcnt(0)
	v_and_b32_e32 v42, 0xff, v10
	s_mov_b32 s7, 0
	s_mov_b32 s25, exec_lo
                                        ; implicit-def: $sgpr24
	s_delay_alu instid0(VALU_DEP_1)
	v_cmpx_lt_i16_e32 0x7f, v42
	s_xor_b32 s25, exec_lo, s25
	s_cbranch_execnz .LBB6_8066
; %bb.6841:                             ;   in Loop: Header=BB6_5432 Depth=2
	s_or_saveexec_b32 s25, s25
	v_mov_b32_e32 v41, s24
	s_xor_b32 exec_lo, exec_lo, s25
	s_cbranch_execnz .LBB6_8069
.LBB6_6842:                             ;   in Loop: Header=BB6_5432 Depth=2
	s_or_b32 exec_lo, exec_lo, s25
	s_and_saveexec_b32 s24, s7
	s_cbranch_execz .LBB6_6844
.LBB6_6843:                             ;   in Loop: Header=BB6_5432 Depth=2
	v_and_b32_e32 v41, 7, v10
	v_bfe_u32 v44, v10, 3, 4
	v_lshlrev_b32_e32 v45, 24, v10
	s_delay_alu instid0(VALU_DEP_3) | instskip(NEXT) | instid1(VALU_DEP_3)
	v_clz_i32_u32_e32 v42, v41
	v_cmp_eq_u32_e32 vcc_lo, 0, v44
	s_delay_alu instid0(VALU_DEP_2) | instskip(NEXT) | instid1(VALU_DEP_1)
	v_min_u32_e32 v42, 32, v42
	v_subrev_nc_u32_e32 v43, 28, v42
	v_sub_nc_u32_e32 v42, 29, v42
	s_delay_alu instid0(VALU_DEP_2) | instskip(NEXT) | instid1(VALU_DEP_1)
	v_lshlrev_b32_e32 v43, v43, v10
	v_dual_cndmask_b32 v42, v44, v42 :: v_dual_and_b32 v43, 7, v43
	s_delay_alu instid0(VALU_DEP_1) | instskip(NEXT) | instid1(VALU_DEP_2)
	v_lshl_add_u32 v42, v42, 23, 0x3b800000
	v_cndmask_b32_e32 v41, v41, v43, vcc_lo
	v_and_b32_e32 v43, 0x80000000, v45
	s_delay_alu instid0(VALU_DEP_2) | instskip(NEXT) | instid1(VALU_DEP_1)
	v_lshlrev_b32_e32 v41, 20, v41
	v_or3_b32 v41, v43, v42, v41
.LBB6_6844:                             ;   in Loop: Header=BB6_5432 Depth=2
	s_or_b32 exec_lo, exec_lo, s24
	s_delay_alu instid0(VALU_DEP_1) | instskip(SKIP_1) | instid1(VALU_DEP_1)
	v_max_f32_e32 v41, v41, v41
	v_max_f32_e32 v25, v25, v25
	v_min_f32_e32 v41, v25, v41
.LBB6_6845:                             ;   in Loop: Header=BB6_5432 Depth=2
	s_delay_alu instid0(VALU_DEP_1) | instskip(NEXT) | instid1(VALU_DEP_1)
	v_and_b32_e32 v25, 0x7f800000, v41
	v_cmp_ne_u32_e32 vcc_lo, 0x7f800000, v25
	v_mov_b32_e32 v25, 0x80
	s_and_saveexec_b32 s24, vcc_lo
	s_cbranch_execz .LBB6_6853
; %bb.6846:                             ;   in Loop: Header=BB6_5432 Depth=2
	v_mov_b32_e32 v25, 0
	s_mov_b32 s25, exec_lo
	v_cmpx_ne_u32_e32 0, v41
	s_cbranch_execz .LBB6_6852
; %bb.6847:                             ;   in Loop: Header=BB6_5432 Depth=2
	v_bfe_u32 v25, v41, 23, 8
	s_delay_alu instid0(VALU_DEP_1) | instskip(SKIP_1) | instid1(VALU_DEP_2)
	v_sub_nc_u32_e32 v43, 0x78, v25
	v_cmp_gt_u32_e32 vcc_lo, 0x79, v25
	v_dual_cndmask_b32 v43, 0, v43 :: v_dual_and_b32 v42, 0x7fffff, v41
	s_delay_alu instid0(VALU_DEP_1) | instskip(SKIP_2) | instid1(VALU_DEP_4)
	v_or_b32_e32 v44, 0x800000, v42
	v_cmp_eq_u32_e32 vcc_lo, 0, v25
	v_add_nc_u32_e32 v25, 0xffffff89, v25
	v_cndmask_b32_e64 v43, v43, 0x77, vcc_lo
	s_delay_alu instid0(VALU_DEP_4) | instskip(NEXT) | instid1(VALU_DEP_3)
	v_cndmask_b32_e32 v42, v44, v42, vcc_lo
	v_cndmask_b32_e64 v25, v25, 0xffffff8a, vcc_lo
	s_delay_alu instid0(VALU_DEP_3) | instskip(NEXT) | instid1(VALU_DEP_3)
	v_lshl_add_u32 v44, 0x100000, v43, -1
	v_lshrrev_b32_e32 v45, v43, v42
	v_lshlrev_b32_e64 v47, v43, 0x80000
	s_delay_alu instid0(VALU_DEP_4) | instskip(NEXT) | instid1(VALU_DEP_4)
	v_add_nc_u32_e32 v43, v43, v25
	v_and_b32_e32 v42, v44, v42
	s_delay_alu instid0(VALU_DEP_4) | instskip(NEXT) | instid1(VALU_DEP_2)
	v_bfe_u32 v46, v45, 20, 1
	v_cmp_eq_u32_e64 s7, v42, v47
	s_delay_alu instid0(VALU_DEP_2) | instskip(NEXT) | instid1(VALU_DEP_1)
	v_add_nc_u32_e32 v44, -1, v46
	v_cndmask_b32_e64 v42, 0, v44, s7
	v_lshrrev_b32_e32 v44, 23, v45
	s_mov_b32 s7, exec_lo
	s_delay_alu instid0(VALU_DEP_2) | instskip(NEXT) | instid1(VALU_DEP_2)
	v_add_nc_u32_e32 v42, v42, v45
	v_xor_b32_e32 v44, 1, v44
	s_delay_alu instid0(VALU_DEP_2) | instskip(NEXT) | instid1(VALU_DEP_1)
	v_and_b32_e32 v25, 0xfffff, v42
	v_add_nc_u32_e32 v42, v25, v45
                                        ; implicit-def: $vgpr25
	s_delay_alu instid0(VALU_DEP_3)
	v_cmpx_ne_u32_e64 v43, v44
	s_xor_b32 s7, exec_lo, s7
; %bb.6848:                             ;   in Loop: Header=BB6_5432 Depth=2
	s_delay_alu instid0(VALU_DEP_2) | instskip(SKIP_2) | instid1(VALU_DEP_2)
	v_cmp_lt_u32_e32 vcc_lo, 0xffffff, v42
	v_sub_nc_u32_e32 v25, v43, v44
	v_cndmask_b32_e64 v43, 0, 1, vcc_lo
	v_add_co_ci_u32_e32 v25, vcc_lo, 0, v25, vcc_lo
	s_delay_alu instid0(VALU_DEP_2)
	v_lshrrev_b32_e32 v42, v43, v42
; %bb.6849:                             ;   in Loop: Header=BB6_5432 Depth=2
	s_and_not1_saveexec_b32 s7, s7
; %bb.6850:                             ;   in Loop: Header=BB6_5432 Depth=2
	s_delay_alu instid0(VALU_DEP_1)
	v_bfe_u32 v25, v42, 23, 1
; %bb.6851:                             ;   in Loop: Header=BB6_5432 Depth=2
	s_or_b32 exec_lo, exec_lo, s7
	v_lshrrev_b32_e32 v42, 20, v42
	s_delay_alu instid0(VALU_DEP_2) | instskip(SKIP_2) | instid1(VALU_DEP_2)
	v_cmp_gt_i32_e32 vcc_lo, 16, v25
	v_lshrrev_b32_e32 v41, 24, v41
	v_min_i32_e32 v43, 15, v25
	v_dual_cndmask_b32 v42, 7, v42 :: v_dual_and_b32 v41, 0x80, v41
	s_delay_alu instid0(VALU_DEP_2) | instskip(NEXT) | instid1(VALU_DEP_2)
	v_lshlrev_b32_e32 v43, 3, v43
	v_or_b32_e32 v25, v25, v42
	s_delay_alu instid0(VALU_DEP_1) | instskip(SKIP_1) | instid1(VALU_DEP_1)
	v_cmp_ne_u32_e32 vcc_lo, 0, v25
	v_and_b32_e32 v44, 7, v42
	v_or3_b32 v41, v43, v41, v44
	s_delay_alu instid0(VALU_DEP_1)
	v_cndmask_b32_e32 v25, 0, v41, vcc_lo
.LBB6_6852:                             ;   in Loop: Header=BB6_5432 Depth=2
	s_or_b32 exec_lo, exec_lo, s25
.LBB6_6853:                             ;   in Loop: Header=BB6_5432 Depth=2
	s_delay_alu instid0(SALU_CYCLE_1)
	s_or_b32 exec_lo, exec_lo, s24
	v_lshrrev_b16 v42, 8, v14
	s_waitcnt vmcnt(0)
	v_lshrrev_b16 v41, 8, v10
	s_and_not1_b32 vcc_lo, exec_lo, s23
	s_cbranch_vccnz .LBB6_6863
; %bb.6854:                             ;   in Loop: Header=BB6_5432 Depth=2
	s_mov_b32 s7, 0
	s_mov_b32 s25, exec_lo
                                        ; implicit-def: $sgpr24
	v_cmpx_lt_i16_e32 0x7f, v42
	s_xor_b32 s25, exec_lo, s25
	s_cbranch_execnz .LBB6_8070
; %bb.6855:                             ;   in Loop: Header=BB6_5432 Depth=2
	s_or_saveexec_b32 s25, s25
	v_mov_b32_e32 v43, s24
	s_xor_b32 exec_lo, exec_lo, s25
	s_cbranch_execnz .LBB6_8073
.LBB6_6856:                             ;   in Loop: Header=BB6_5432 Depth=2
	s_or_b32 exec_lo, exec_lo, s25
	s_and_saveexec_b32 s24, s7
	s_cbranch_execz .LBB6_6858
.LBB6_6857:                             ;   in Loop: Header=BB6_5432 Depth=2
	v_and_b32_e32 v43, 0xffff, v42
	v_lshlrev_b32_e32 v47, 16, v14
	s_delay_alu instid0(VALU_DEP_2) | instskip(NEXT) | instid1(VALU_DEP_1)
	v_and_b32_e32 v44, 7, v43
	v_clz_i32_u32_e32 v45, v44
	s_delay_alu instid0(VALU_DEP_1) | instskip(NEXT) | instid1(VALU_DEP_1)
	v_min_u32_e32 v45, 32, v45
	v_subrev_nc_u32_e32 v46, 28, v45
	v_sub_nc_u32_e32 v45, 29, v45
	s_delay_alu instid0(VALU_DEP_2) | instskip(SKIP_1) | instid1(VALU_DEP_2)
	v_lshlrev_b32_e32 v46, v46, v43
	v_bfe_u32 v43, v43, 3, 4
	v_and_b32_e32 v46, 7, v46
	s_delay_alu instid0(VALU_DEP_2) | instskip(NEXT) | instid1(VALU_DEP_2)
	v_cmp_eq_u32_e32 vcc_lo, 0, v43
	v_dual_cndmask_b32 v43, v43, v45 :: v_dual_cndmask_b32 v44, v44, v46
	v_and_b32_e32 v45, 0x80000000, v47
	s_delay_alu instid0(VALU_DEP_2) | instskip(NEXT) | instid1(VALU_DEP_3)
	v_lshl_add_u32 v43, v43, 23, 0x3b800000
	v_lshlrev_b32_e32 v44, 20, v44
	s_delay_alu instid0(VALU_DEP_1)
	v_or3_b32 v43, v45, v43, v44
.LBB6_6858:                             ;   in Loop: Header=BB6_5432 Depth=2
	s_or_b32 exec_lo, exec_lo, s24
	s_mov_b32 s7, 0
	s_mov_b32 s25, exec_lo
                                        ; implicit-def: $sgpr24
	v_cmpx_lt_i16_e32 0x7f, v41
	s_xor_b32 s25, exec_lo, s25
	s_cbranch_execnz .LBB6_8074
; %bb.6859:                             ;   in Loop: Header=BB6_5432 Depth=2
	s_or_saveexec_b32 s25, s25
	v_mov_b32_e32 v44, s24
	s_xor_b32 exec_lo, exec_lo, s25
	s_cbranch_execnz .LBB6_8077
.LBB6_6860:                             ;   in Loop: Header=BB6_5432 Depth=2
	s_or_b32 exec_lo, exec_lo, s25
	s_and_saveexec_b32 s24, s7
	s_cbranch_execz .LBB6_6862
.LBB6_6861:                             ;   in Loop: Header=BB6_5432 Depth=2
	v_and_b32_e32 v44, 0xffff, v41
	v_lshlrev_b32_e32 v56, 16, v10
	s_delay_alu instid0(VALU_DEP_2) | instskip(NEXT) | instid1(VALU_DEP_1)
	v_and_b32_e32 v45, 7, v44
	v_clz_i32_u32_e32 v46, v45
	s_delay_alu instid0(VALU_DEP_1) | instskip(NEXT) | instid1(VALU_DEP_1)
	v_min_u32_e32 v46, 32, v46
	v_subrev_nc_u32_e32 v47, 28, v46
	v_sub_nc_u32_e32 v46, 29, v46
	s_delay_alu instid0(VALU_DEP_2) | instskip(SKIP_1) | instid1(VALU_DEP_2)
	v_lshlrev_b32_e32 v47, v47, v44
	v_bfe_u32 v44, v44, 3, 4
	v_and_b32_e32 v47, 7, v47
	s_delay_alu instid0(VALU_DEP_2) | instskip(NEXT) | instid1(VALU_DEP_2)
	v_cmp_eq_u32_e32 vcc_lo, 0, v44
	v_dual_cndmask_b32 v44, v44, v46 :: v_dual_cndmask_b32 v45, v45, v47
	v_and_b32_e32 v46, 0x80000000, v56
	s_delay_alu instid0(VALU_DEP_2) | instskip(NEXT) | instid1(VALU_DEP_3)
	v_lshl_add_u32 v44, v44, 23, 0x3b800000
	v_lshlrev_b32_e32 v45, 20, v45
	s_delay_alu instid0(VALU_DEP_1)
	v_or3_b32 v44, v46, v44, v45
.LBB6_6862:                             ;   in Loop: Header=BB6_5432 Depth=2
	s_or_b32 exec_lo, exec_lo, s24
	s_delay_alu instid0(VALU_DEP_1) | instskip(SKIP_1) | instid1(VALU_DEP_1)
	v_dual_max_f32 v44, v44, v44 :: v_dual_max_f32 v43, v43, v43
	s_mov_b32 s7, 0
	v_max_f32_e32 v43, v43, v44
	s_branch .LBB6_6864
.LBB6_6863:                             ;   in Loop: Header=BB6_5432 Depth=2
	s_mov_b32 s7, -1
                                        ; implicit-def: $vgpr43
.LBB6_6864:                             ;   in Loop: Header=BB6_5432 Depth=2
	s_delay_alu instid0(SALU_CYCLE_1)
	s_and_b32 vcc_lo, exec_lo, s7
	s_cbranch_vccz .LBB6_6874
; %bb.6865:                             ;   in Loop: Header=BB6_5432 Depth=2
	s_mov_b32 s7, 0
	s_mov_b32 s25, exec_lo
                                        ; implicit-def: $sgpr24
	v_cmpx_lt_i16_e32 0x7f, v42
	s_xor_b32 s25, exec_lo, s25
	s_cbranch_execnz .LBB6_8078
; %bb.6866:                             ;   in Loop: Header=BB6_5432 Depth=2
	s_or_saveexec_b32 s25, s25
	v_mov_b32_e32 v43, s24
	s_xor_b32 exec_lo, exec_lo, s25
	s_cbranch_execnz .LBB6_8081
.LBB6_6867:                             ;   in Loop: Header=BB6_5432 Depth=2
	s_or_b32 exec_lo, exec_lo, s25
	s_and_saveexec_b32 s24, s7
	s_cbranch_execz .LBB6_6869
.LBB6_6868:                             ;   in Loop: Header=BB6_5432 Depth=2
	v_and_b32_e32 v42, 0xffff, v42
	v_lshlrev_b32_e32 v46, 16, v14
	s_delay_alu instid0(VALU_DEP_2) | instskip(NEXT) | instid1(VALU_DEP_1)
	v_and_b32_e32 v43, 7, v42
	v_clz_i32_u32_e32 v44, v43
	s_delay_alu instid0(VALU_DEP_1) | instskip(NEXT) | instid1(VALU_DEP_1)
	v_min_u32_e32 v44, 32, v44
	v_subrev_nc_u32_e32 v45, 28, v44
	v_sub_nc_u32_e32 v44, 29, v44
	s_delay_alu instid0(VALU_DEP_2) | instskip(SKIP_1) | instid1(VALU_DEP_2)
	v_lshlrev_b32_e32 v45, v45, v42
	v_bfe_u32 v42, v42, 3, 4
	v_and_b32_e32 v45, 7, v45
	s_delay_alu instid0(VALU_DEP_2) | instskip(NEXT) | instid1(VALU_DEP_2)
	v_cmp_eq_u32_e32 vcc_lo, 0, v42
	v_dual_cndmask_b32 v42, v42, v44 :: v_dual_cndmask_b32 v43, v43, v45
	v_and_b32_e32 v44, 0x80000000, v46
	s_delay_alu instid0(VALU_DEP_2) | instskip(NEXT) | instid1(VALU_DEP_3)
	v_lshl_add_u32 v42, v42, 23, 0x3b800000
	v_lshlrev_b32_e32 v43, 20, v43
	s_delay_alu instid0(VALU_DEP_1)
	v_or3_b32 v43, v44, v42, v43
.LBB6_6869:                             ;   in Loop: Header=BB6_5432 Depth=2
	s_or_b32 exec_lo, exec_lo, s24
	s_mov_b32 s7, 0
	s_mov_b32 s25, exec_lo
                                        ; implicit-def: $sgpr24
	v_cmpx_lt_i16_e32 0x7f, v41
	s_xor_b32 s25, exec_lo, s25
	s_cbranch_execnz .LBB6_8082
; %bb.6870:                             ;   in Loop: Header=BB6_5432 Depth=2
	s_or_saveexec_b32 s25, s25
	v_mov_b32_e32 v42, s24
	s_xor_b32 exec_lo, exec_lo, s25
	s_cbranch_execnz .LBB6_8085
.LBB6_6871:                             ;   in Loop: Header=BB6_5432 Depth=2
	s_or_b32 exec_lo, exec_lo, s25
	s_and_saveexec_b32 s24, s7
	s_cbranch_execz .LBB6_6873
.LBB6_6872:                             ;   in Loop: Header=BB6_5432 Depth=2
	v_and_b32_e32 v41, 0xffff, v41
	v_lshlrev_b32_e32 v46, 16, v10
	s_delay_alu instid0(VALU_DEP_2) | instskip(NEXT) | instid1(VALU_DEP_1)
	v_and_b32_e32 v42, 7, v41
	v_clz_i32_u32_e32 v44, v42
	s_delay_alu instid0(VALU_DEP_1) | instskip(NEXT) | instid1(VALU_DEP_1)
	v_min_u32_e32 v44, 32, v44
	v_subrev_nc_u32_e32 v45, 28, v44
	v_sub_nc_u32_e32 v44, 29, v44
	s_delay_alu instid0(VALU_DEP_2) | instskip(SKIP_1) | instid1(VALU_DEP_2)
	v_lshlrev_b32_e32 v45, v45, v41
	v_bfe_u32 v41, v41, 3, 4
	v_and_b32_e32 v45, 7, v45
	s_delay_alu instid0(VALU_DEP_2) | instskip(NEXT) | instid1(VALU_DEP_2)
	v_cmp_eq_u32_e32 vcc_lo, 0, v41
	v_dual_cndmask_b32 v41, v41, v44 :: v_dual_cndmask_b32 v42, v42, v45
	v_and_b32_e32 v44, 0x80000000, v46
	s_delay_alu instid0(VALU_DEP_2) | instskip(NEXT) | instid1(VALU_DEP_3)
	v_lshl_add_u32 v41, v41, 23, 0x3b800000
	v_lshlrev_b32_e32 v42, 20, v42
	s_delay_alu instid0(VALU_DEP_1)
	v_or3_b32 v42, v44, v41, v42
.LBB6_6873:                             ;   in Loop: Header=BB6_5432 Depth=2
	s_or_b32 exec_lo, exec_lo, s24
	s_delay_alu instid0(VALU_DEP_1) | instskip(NEXT) | instid1(VALU_DEP_1)
	v_dual_max_f32 v41, v42, v42 :: v_dual_max_f32 v42, v43, v43
	v_min_f32_e32 v43, v42, v41
.LBB6_6874:                             ;   in Loop: Header=BB6_5432 Depth=2
	s_delay_alu instid0(VALU_DEP_1) | instskip(NEXT) | instid1(VALU_DEP_1)
	v_and_b32_e32 v41, 0x7f800000, v43
	v_cmp_ne_u32_e32 vcc_lo, 0x7f800000, v41
	v_mov_b32_e32 v41, 0x80
	s_and_saveexec_b32 s24, vcc_lo
	s_cbranch_execz .LBB6_6882
; %bb.6875:                             ;   in Loop: Header=BB6_5432 Depth=2
	v_mov_b32_e32 v41, 0
	s_mov_b32 s25, exec_lo
	v_cmpx_ne_u32_e32 0, v43
	s_cbranch_execz .LBB6_6881
; %bb.6876:                             ;   in Loop: Header=BB6_5432 Depth=2
	v_bfe_u32 v41, v43, 23, 8
	v_and_b32_e32 v42, 0x7fffff, v43
	s_delay_alu instid0(VALU_DEP_2) | instskip(SKIP_1) | instid1(VALU_DEP_3)
	v_sub_nc_u32_e32 v44, 0x78, v41
	v_cmp_gt_u32_e32 vcc_lo, 0x79, v41
	v_or_b32_e32 v45, 0x800000, v42
	s_delay_alu instid0(VALU_DEP_3) | instskip(SKIP_2) | instid1(VALU_DEP_3)
	v_cndmask_b32_e32 v44, 0, v44, vcc_lo
	v_cmp_eq_u32_e32 vcc_lo, 0, v41
	v_add_nc_u32_e32 v41, 0xffffff89, v41
	v_cndmask_b32_e64 v44, v44, 0x77, vcc_lo
	v_cndmask_b32_e32 v42, v45, v42, vcc_lo
	s_delay_alu instid0(VALU_DEP_3) | instskip(NEXT) | instid1(VALU_DEP_3)
	v_cndmask_b32_e64 v41, v41, 0xffffff8a, vcc_lo
	v_lshl_add_u32 v45, 0x100000, v44, -1
	s_delay_alu instid0(VALU_DEP_3) | instskip(SKIP_1) | instid1(VALU_DEP_4)
	v_lshrrev_b32_e32 v46, v44, v42
	v_lshlrev_b32_e64 v56, v44, 0x80000
	v_add_nc_u32_e32 v44, v44, v41
	s_delay_alu instid0(VALU_DEP_4) | instskip(NEXT) | instid1(VALU_DEP_4)
	v_and_b32_e32 v42, v45, v42
	v_bfe_u32 v47, v46, 20, 1
	s_delay_alu instid0(VALU_DEP_2) | instskip(NEXT) | instid1(VALU_DEP_2)
	v_cmp_eq_u32_e64 s7, v42, v56
	v_add_nc_u32_e32 v45, -1, v47
	s_delay_alu instid0(VALU_DEP_1) | instskip(SKIP_2) | instid1(VALU_DEP_2)
	v_cndmask_b32_e64 v42, 0, v45, s7
	v_lshrrev_b32_e32 v45, 23, v46
	s_mov_b32 s7, exec_lo
	v_add_nc_u32_e32 v42, v42, v46
	s_delay_alu instid0(VALU_DEP_2) | instskip(NEXT) | instid1(VALU_DEP_2)
	v_xor_b32_e32 v45, 1, v45
	v_and_b32_e32 v41, 0xfffff, v42
	s_delay_alu instid0(VALU_DEP_1) | instskip(NEXT) | instid1(VALU_DEP_3)
	v_add_nc_u32_e32 v42, v41, v46
                                        ; implicit-def: $vgpr41
	v_cmpx_ne_u32_e64 v44, v45
	s_xor_b32 s7, exec_lo, s7
; %bb.6877:                             ;   in Loop: Header=BB6_5432 Depth=2
	s_delay_alu instid0(VALU_DEP_2) | instskip(SKIP_2) | instid1(VALU_DEP_2)
	v_cmp_lt_u32_e32 vcc_lo, 0xffffff, v42
	v_sub_nc_u32_e32 v41, v44, v45
	v_cndmask_b32_e64 v44, 0, 1, vcc_lo
	v_add_co_ci_u32_e32 v41, vcc_lo, 0, v41, vcc_lo
	s_delay_alu instid0(VALU_DEP_2)
	v_lshrrev_b32_e32 v42, v44, v42
; %bb.6878:                             ;   in Loop: Header=BB6_5432 Depth=2
	s_and_not1_saveexec_b32 s7, s7
; %bb.6879:                             ;   in Loop: Header=BB6_5432 Depth=2
	s_delay_alu instid0(VALU_DEP_1)
	v_bfe_u32 v41, v42, 23, 1
; %bb.6880:                             ;   in Loop: Header=BB6_5432 Depth=2
	s_or_b32 exec_lo, exec_lo, s7
	v_lshrrev_b32_e32 v42, 20, v42
	s_delay_alu instid0(VALU_DEP_2) | instskip(SKIP_2) | instid1(VALU_DEP_2)
	v_cmp_gt_i32_e32 vcc_lo, 16, v41
	v_lshrrev_b32_e32 v43, 24, v43
	v_min_i32_e32 v44, 15, v41
	v_dual_cndmask_b32 v42, 7, v42 :: v_dual_and_b32 v43, 0x80, v43
	s_delay_alu instid0(VALU_DEP_1) | instskip(SKIP_1) | instid1(VALU_DEP_2)
	v_or_b32_e32 v41, v41, v42
	v_and_b32_e32 v45, 7, v42
	v_cmp_ne_u32_e32 vcc_lo, 0, v41
	v_lshlrev_b32_e32 v44, 3, v44
	s_delay_alu instid0(VALU_DEP_1) | instskip(NEXT) | instid1(VALU_DEP_1)
	v_or3_b32 v42, v44, v43, v45
	v_cndmask_b32_e32 v41, 0, v42, vcc_lo
.LBB6_6881:                             ;   in Loop: Header=BB6_5432 Depth=2
	s_or_b32 exec_lo, exec_lo, s25
.LBB6_6882:                             ;   in Loop: Header=BB6_5432 Depth=2
	s_delay_alu instid0(SALU_CYCLE_1)
	s_or_b32 exec_lo, exec_lo, s24
	v_lshrrev_b32_e32 v43, 16, v14
	v_lshrrev_b32_e32 v42, 16, v10
	s_and_not1_b32 vcc_lo, exec_lo, s23
	s_cbranch_vccnz .LBB6_6892
; %bb.6883:                             ;   in Loop: Header=BB6_5432 Depth=2
	s_delay_alu instid0(VALU_DEP_2) | instskip(SKIP_2) | instid1(VALU_DEP_1)
	v_and_b32_e32 v45, 0xff, v43
	s_mov_b32 s7, 0
	s_mov_b32 s25, exec_lo
                                        ; implicit-def: $sgpr24
	v_cmpx_lt_i16_e32 0x7f, v45
	s_xor_b32 s25, exec_lo, s25
	s_cbranch_execnz .LBB6_8086
; %bb.6884:                             ;   in Loop: Header=BB6_5432 Depth=2
	s_or_saveexec_b32 s25, s25
	v_mov_b32_e32 v44, s24
	s_xor_b32 exec_lo, exec_lo, s25
	s_cbranch_execnz .LBB6_8089
.LBB6_6885:                             ;   in Loop: Header=BB6_5432 Depth=2
	s_or_b32 exec_lo, exec_lo, s25
	s_and_saveexec_b32 s24, s7
	s_cbranch_execz .LBB6_6887
.LBB6_6886:                             ;   in Loop: Header=BB6_5432 Depth=2
	v_bfe_u32 v44, v14, 16, 3
	v_bfe_u32 v47, v14, 19, 4
	v_lshlrev_b32_e32 v56, 24, v43
	s_delay_alu instid0(VALU_DEP_3) | instskip(NEXT) | instid1(VALU_DEP_3)
	v_clz_i32_u32_e32 v45, v44
	v_cmp_eq_u32_e32 vcc_lo, 0, v47
	s_delay_alu instid0(VALU_DEP_2) | instskip(NEXT) | instid1(VALU_DEP_1)
	v_min_u32_e32 v45, 32, v45
	v_subrev_nc_u32_e32 v46, 28, v45
	v_sub_nc_u32_e32 v45, 29, v45
	s_delay_alu instid0(VALU_DEP_1) | instskip(NEXT) | instid1(VALU_DEP_1)
	v_dual_cndmask_b32 v45, v47, v45 :: v_dual_lshlrev_b32 v46, v46, v43
	v_and_b32_e32 v46, 7, v46
	s_delay_alu instid0(VALU_DEP_2) | instskip(NEXT) | instid1(VALU_DEP_2)
	v_lshl_add_u32 v45, v45, 23, 0x3b800000
	v_cndmask_b32_e32 v44, v44, v46, vcc_lo
	v_and_b32_e32 v46, 0x80000000, v56
	s_delay_alu instid0(VALU_DEP_2) | instskip(NEXT) | instid1(VALU_DEP_1)
	v_lshlrev_b32_e32 v44, 20, v44
	v_or3_b32 v44, v46, v45, v44
.LBB6_6887:                             ;   in Loop: Header=BB6_5432 Depth=2
	s_or_b32 exec_lo, exec_lo, s24
	v_and_b32_e32 v46, 0xff, v42
	s_mov_b32 s7, 0
	s_mov_b32 s25, exec_lo
                                        ; implicit-def: $sgpr24
	s_delay_alu instid0(VALU_DEP_1)
	v_cmpx_lt_i16_e32 0x7f, v46
	s_xor_b32 s25, exec_lo, s25
	s_cbranch_execnz .LBB6_8090
; %bb.6888:                             ;   in Loop: Header=BB6_5432 Depth=2
	s_or_saveexec_b32 s25, s25
	v_mov_b32_e32 v45, s24
	s_xor_b32 exec_lo, exec_lo, s25
	s_cbranch_execnz .LBB6_8093
.LBB6_6889:                             ;   in Loop: Header=BB6_5432 Depth=2
	s_or_b32 exec_lo, exec_lo, s25
	s_and_saveexec_b32 s24, s7
	s_cbranch_execz .LBB6_6891
.LBB6_6890:                             ;   in Loop: Header=BB6_5432 Depth=2
	v_bfe_u32 v45, v10, 16, 3
	v_bfe_u32 v56, v10, 19, 4
	v_lshlrev_b32_e32 v57, 24, v42
	s_delay_alu instid0(VALU_DEP_3) | instskip(NEXT) | instid1(VALU_DEP_3)
	v_clz_i32_u32_e32 v46, v45
	v_cmp_eq_u32_e32 vcc_lo, 0, v56
	s_delay_alu instid0(VALU_DEP_2) | instskip(NEXT) | instid1(VALU_DEP_1)
	v_min_u32_e32 v46, 32, v46
	v_subrev_nc_u32_e32 v47, 28, v46
	v_sub_nc_u32_e32 v46, 29, v46
	s_delay_alu instid0(VALU_DEP_2) | instskip(NEXT) | instid1(VALU_DEP_1)
	v_lshlrev_b32_e32 v47, v47, v42
	v_dual_cndmask_b32 v46, v56, v46 :: v_dual_and_b32 v47, 7, v47
	s_delay_alu instid0(VALU_DEP_1) | instskip(NEXT) | instid1(VALU_DEP_2)
	v_lshl_add_u32 v46, v46, 23, 0x3b800000
	v_cndmask_b32_e32 v45, v45, v47, vcc_lo
	v_and_b32_e32 v47, 0x80000000, v57
	s_delay_alu instid0(VALU_DEP_2) | instskip(NEXT) | instid1(VALU_DEP_1)
	v_lshlrev_b32_e32 v45, 20, v45
	v_or3_b32 v45, v47, v46, v45
.LBB6_6891:                             ;   in Loop: Header=BB6_5432 Depth=2
	s_or_b32 exec_lo, exec_lo, s24
	s_delay_alu instid0(VALU_DEP_1) | instskip(SKIP_1) | instid1(VALU_DEP_1)
	v_dual_max_f32 v45, v45, v45 :: v_dual_max_f32 v44, v44, v44
	s_mov_b32 s7, 0
	v_max_f32_e32 v44, v44, v45
	s_branch .LBB6_6893
.LBB6_6892:                             ;   in Loop: Header=BB6_5432 Depth=2
	s_mov_b32 s7, -1
                                        ; implicit-def: $vgpr44
.LBB6_6893:                             ;   in Loop: Header=BB6_5432 Depth=2
	s_delay_alu instid0(SALU_CYCLE_1)
	s_and_b32 vcc_lo, exec_lo, s7
	s_cbranch_vccz .LBB6_6903
; %bb.6894:                             ;   in Loop: Header=BB6_5432 Depth=2
	v_and_b32_e32 v45, 0xff, v43
	s_mov_b32 s7, 0
	s_mov_b32 s25, exec_lo
                                        ; implicit-def: $sgpr24
	s_delay_alu instid0(VALU_DEP_1)
	v_cmpx_lt_i16_e32 0x7f, v45
	s_xor_b32 s25, exec_lo, s25
	s_cbranch_execnz .LBB6_8094
; %bb.6895:                             ;   in Loop: Header=BB6_5432 Depth=2
	s_or_saveexec_b32 s25, s25
	v_mov_b32_e32 v44, s24
	s_xor_b32 exec_lo, exec_lo, s25
	s_cbranch_execnz .LBB6_8097
.LBB6_6896:                             ;   in Loop: Header=BB6_5432 Depth=2
	s_or_b32 exec_lo, exec_lo, s25
	s_and_saveexec_b32 s24, s7
	s_cbranch_execz .LBB6_6898
.LBB6_6897:                             ;   in Loop: Header=BB6_5432 Depth=2
	v_bfe_u32 v44, v14, 16, 3
	v_bfe_u32 v47, v14, 19, 4
	s_delay_alu instid0(VALU_DEP_2) | instskip(NEXT) | instid1(VALU_DEP_2)
	v_clz_i32_u32_e32 v45, v44
	v_cmp_eq_u32_e32 vcc_lo, 0, v47
	s_delay_alu instid0(VALU_DEP_2) | instskip(NEXT) | instid1(VALU_DEP_1)
	v_min_u32_e32 v45, 32, v45
	v_subrev_nc_u32_e32 v46, 28, v45
	v_sub_nc_u32_e32 v45, 29, v45
	s_delay_alu instid0(VALU_DEP_1) | instskip(NEXT) | instid1(VALU_DEP_1)
	v_dual_cndmask_b32 v45, v47, v45 :: v_dual_lshlrev_b32 v46, v46, v43
	v_and_b32_e32 v46, 7, v46
	v_lshlrev_b32_e32 v43, 24, v43
	s_delay_alu instid0(VALU_DEP_3) | instskip(NEXT) | instid1(VALU_DEP_2)
	v_lshl_add_u32 v45, v45, 23, 0x3b800000
	v_dual_cndmask_b32 v44, v44, v46 :: v_dual_and_b32 v43, 0x80000000, v43
	s_delay_alu instid0(VALU_DEP_1) | instskip(NEXT) | instid1(VALU_DEP_1)
	v_lshlrev_b32_e32 v44, 20, v44
	v_or3_b32 v44, v43, v45, v44
.LBB6_6898:                             ;   in Loop: Header=BB6_5432 Depth=2
	s_or_b32 exec_lo, exec_lo, s24
	v_and_b32_e32 v45, 0xff, v42
	s_mov_b32 s7, 0
	s_mov_b32 s25, exec_lo
                                        ; implicit-def: $sgpr24
	s_delay_alu instid0(VALU_DEP_1)
	v_cmpx_lt_i16_e32 0x7f, v45
	s_xor_b32 s25, exec_lo, s25
	s_cbranch_execnz .LBB6_8098
; %bb.6899:                             ;   in Loop: Header=BB6_5432 Depth=2
	s_or_saveexec_b32 s25, s25
	v_mov_b32_e32 v43, s24
	s_xor_b32 exec_lo, exec_lo, s25
	s_cbranch_execnz .LBB6_8101
.LBB6_6900:                             ;   in Loop: Header=BB6_5432 Depth=2
	s_or_b32 exec_lo, exec_lo, s25
	s_and_saveexec_b32 s24, s7
	s_cbranch_execz .LBB6_6902
.LBB6_6901:                             ;   in Loop: Header=BB6_5432 Depth=2
	v_bfe_u32 v43, v10, 16, 3
	v_bfe_u32 v47, v10, 19, 4
	s_delay_alu instid0(VALU_DEP_2) | instskip(NEXT) | instid1(VALU_DEP_2)
	v_clz_i32_u32_e32 v45, v43
	v_cmp_eq_u32_e32 vcc_lo, 0, v47
	s_delay_alu instid0(VALU_DEP_2) | instskip(NEXT) | instid1(VALU_DEP_1)
	v_min_u32_e32 v45, 32, v45
	v_subrev_nc_u32_e32 v46, 28, v45
	v_sub_nc_u32_e32 v45, 29, v45
	s_delay_alu instid0(VALU_DEP_1) | instskip(SKIP_1) | instid1(VALU_DEP_2)
	v_dual_cndmask_b32 v45, v47, v45 :: v_dual_lshlrev_b32 v46, v46, v42
	v_lshlrev_b32_e32 v42, 24, v42
	v_and_b32_e32 v46, 7, v46
	s_delay_alu instid0(VALU_DEP_3) | instskip(NEXT) | instid1(VALU_DEP_3)
	v_lshl_add_u32 v45, v45, 23, 0x3b800000
	v_and_b32_e32 v42, 0x80000000, v42
	s_delay_alu instid0(VALU_DEP_3) | instskip(NEXT) | instid1(VALU_DEP_1)
	v_cndmask_b32_e32 v43, v43, v46, vcc_lo
	v_lshlrev_b32_e32 v43, 20, v43
	s_delay_alu instid0(VALU_DEP_1)
	v_or3_b32 v43, v42, v45, v43
.LBB6_6902:                             ;   in Loop: Header=BB6_5432 Depth=2
	s_or_b32 exec_lo, exec_lo, s24
	s_delay_alu instid0(VALU_DEP_1) | instskip(NEXT) | instid1(VALU_DEP_1)
	v_dual_max_f32 v42, v43, v43 :: v_dual_max_f32 v43, v44, v44
	v_min_f32_e32 v44, v43, v42
.LBB6_6903:                             ;   in Loop: Header=BB6_5432 Depth=2
	s_delay_alu instid0(VALU_DEP_1) | instskip(NEXT) | instid1(VALU_DEP_1)
	v_and_b32_e32 v42, 0x7f800000, v44
	v_cmp_ne_u32_e32 vcc_lo, 0x7f800000, v42
	v_mov_b32_e32 v42, 0x80
	s_and_saveexec_b32 s24, vcc_lo
	s_cbranch_execz .LBB6_6911
; %bb.6904:                             ;   in Loop: Header=BB6_5432 Depth=2
	v_mov_b32_e32 v42, 0
	s_mov_b32 s25, exec_lo
	v_cmpx_ne_u32_e32 0, v44
	s_cbranch_execz .LBB6_6910
; %bb.6905:                             ;   in Loop: Header=BB6_5432 Depth=2
	v_bfe_u32 v42, v44, 23, 8
	v_and_b32_e32 v43, 0x7fffff, v44
	s_delay_alu instid0(VALU_DEP_2) | instskip(SKIP_1) | instid1(VALU_DEP_3)
	v_sub_nc_u32_e32 v45, 0x78, v42
	v_cmp_gt_u32_e32 vcc_lo, 0x79, v42
	v_or_b32_e32 v46, 0x800000, v43
	s_delay_alu instid0(VALU_DEP_3) | instskip(SKIP_2) | instid1(VALU_DEP_3)
	v_cndmask_b32_e32 v45, 0, v45, vcc_lo
	v_cmp_eq_u32_e32 vcc_lo, 0, v42
	v_add_nc_u32_e32 v42, 0xffffff89, v42
	v_cndmask_b32_e64 v45, v45, 0x77, vcc_lo
	v_cndmask_b32_e32 v43, v46, v43, vcc_lo
	s_delay_alu instid0(VALU_DEP_3) | instskip(NEXT) | instid1(VALU_DEP_3)
	v_cndmask_b32_e64 v42, v42, 0xffffff8a, vcc_lo
	v_lshl_add_u32 v46, 0x100000, v45, -1
	s_delay_alu instid0(VALU_DEP_3) | instskip(SKIP_1) | instid1(VALU_DEP_4)
	v_lshrrev_b32_e32 v47, v45, v43
	v_lshlrev_b32_e64 v57, v45, 0x80000
	v_add_nc_u32_e32 v45, v45, v42
	s_delay_alu instid0(VALU_DEP_4) | instskip(NEXT) | instid1(VALU_DEP_4)
	v_and_b32_e32 v43, v46, v43
	v_bfe_u32 v56, v47, 20, 1
	s_delay_alu instid0(VALU_DEP_2) | instskip(NEXT) | instid1(VALU_DEP_2)
	v_cmp_eq_u32_e64 s7, v43, v57
	v_add_nc_u32_e32 v46, -1, v56
	s_delay_alu instid0(VALU_DEP_1) | instskip(SKIP_2) | instid1(VALU_DEP_2)
	v_cndmask_b32_e64 v43, 0, v46, s7
	v_lshrrev_b32_e32 v46, 23, v47
	s_mov_b32 s7, exec_lo
	v_add_nc_u32_e32 v43, v43, v47
	s_delay_alu instid0(VALU_DEP_2) | instskip(NEXT) | instid1(VALU_DEP_2)
	v_xor_b32_e32 v46, 1, v46
	v_and_b32_e32 v42, 0xfffff, v43
	s_delay_alu instid0(VALU_DEP_1) | instskip(NEXT) | instid1(VALU_DEP_3)
	v_add_nc_u32_e32 v43, v42, v47
                                        ; implicit-def: $vgpr42
	v_cmpx_ne_u32_e64 v45, v46
	s_xor_b32 s7, exec_lo, s7
; %bb.6906:                             ;   in Loop: Header=BB6_5432 Depth=2
	s_delay_alu instid0(VALU_DEP_2) | instskip(SKIP_2) | instid1(VALU_DEP_2)
	v_cmp_lt_u32_e32 vcc_lo, 0xffffff, v43
	v_sub_nc_u32_e32 v42, v45, v46
	v_cndmask_b32_e64 v45, 0, 1, vcc_lo
	v_add_co_ci_u32_e32 v42, vcc_lo, 0, v42, vcc_lo
	s_delay_alu instid0(VALU_DEP_2)
	v_lshrrev_b32_e32 v43, v45, v43
; %bb.6907:                             ;   in Loop: Header=BB6_5432 Depth=2
	s_and_not1_saveexec_b32 s7, s7
; %bb.6908:                             ;   in Loop: Header=BB6_5432 Depth=2
	s_delay_alu instid0(VALU_DEP_1)
	v_bfe_u32 v42, v43, 23, 1
; %bb.6909:                             ;   in Loop: Header=BB6_5432 Depth=2
	s_or_b32 exec_lo, exec_lo, s7
	v_lshrrev_b32_e32 v43, 20, v43
	s_delay_alu instid0(VALU_DEP_2) | instskip(SKIP_2) | instid1(VALU_DEP_2)
	v_cmp_gt_i32_e32 vcc_lo, 16, v42
	v_lshrrev_b32_e32 v44, 24, v44
	v_min_i32_e32 v45, 15, v42
	v_dual_cndmask_b32 v43, 7, v43 :: v_dual_and_b32 v44, 0x80, v44
	s_delay_alu instid0(VALU_DEP_1) | instskip(SKIP_1) | instid1(VALU_DEP_2)
	v_or_b32_e32 v42, v42, v43
	v_and_b32_e32 v46, 7, v43
	v_cmp_ne_u32_e32 vcc_lo, 0, v42
	v_lshlrev_b32_e32 v45, 3, v45
	s_delay_alu instid0(VALU_DEP_1) | instskip(NEXT) | instid1(VALU_DEP_1)
	v_or3_b32 v43, v45, v44, v46
	v_cndmask_b32_e32 v42, 0, v43, vcc_lo
.LBB6_6910:                             ;   in Loop: Header=BB6_5432 Depth=2
	s_or_b32 exec_lo, exec_lo, s25
.LBB6_6911:                             ;   in Loop: Header=BB6_5432 Depth=2
	s_delay_alu instid0(SALU_CYCLE_1)
	s_or_b32 exec_lo, exec_lo, s24
	v_lshrrev_b32_e32 v44, 24, v14
	v_lshrrev_b32_e32 v43, 24, v10
	s_and_not1_b32 vcc_lo, exec_lo, s23
	s_cbranch_vccnz .LBB6_6921
; %bb.6912:                             ;   in Loop: Header=BB6_5432 Depth=2
	s_mov_b32 s7, 0
	s_mov_b32 s25, exec_lo
                                        ; implicit-def: $sgpr24
	v_cmpx_lt_i16_e32 0x7f, v44
	s_xor_b32 s25, exec_lo, s25
	s_cbranch_execnz .LBB6_8102
; %bb.6913:                             ;   in Loop: Header=BB6_5432 Depth=2
	s_or_saveexec_b32 s25, s25
	v_mov_b32_e32 v45, s24
	s_xor_b32 exec_lo, exec_lo, s25
	s_cbranch_execnz .LBB6_8105
.LBB6_6914:                             ;   in Loop: Header=BB6_5432 Depth=2
	s_or_b32 exec_lo, exec_lo, s25
	s_and_saveexec_b32 s24, s7
	s_cbranch_execz .LBB6_6916
.LBB6_6915:                             ;   in Loop: Header=BB6_5432 Depth=2
	v_bfe_u32 v45, v14, 24, 3
	v_bfe_u32 v56, v14, 27, 4
	s_delay_alu instid0(VALU_DEP_2) | instskip(NEXT) | instid1(VALU_DEP_2)
	v_clz_i32_u32_e32 v46, v45
	v_cmp_eq_u32_e32 vcc_lo, 0, v56
	s_delay_alu instid0(VALU_DEP_2) | instskip(NEXT) | instid1(VALU_DEP_1)
	v_min_u32_e32 v46, 32, v46
	v_subrev_nc_u32_e32 v47, 28, v46
	v_sub_nc_u32_e32 v46, 29, v46
	s_delay_alu instid0(VALU_DEP_1) | instskip(NEXT) | instid1(VALU_DEP_1)
	v_dual_cndmask_b32 v46, v56, v46 :: v_dual_lshlrev_b32 v47, v47, v44
	v_and_b32_e32 v47, 7, v47
	s_delay_alu instid0(VALU_DEP_2) | instskip(NEXT) | instid1(VALU_DEP_2)
	v_lshl_add_u32 v46, v46, 23, 0x3b800000
	v_cndmask_b32_e32 v45, v45, v47, vcc_lo
	v_and_b32_e32 v47, 0x80000000, v14
	s_delay_alu instid0(VALU_DEP_2) | instskip(NEXT) | instid1(VALU_DEP_1)
	v_lshlrev_b32_e32 v45, 20, v45
	v_or3_b32 v45, v47, v46, v45
.LBB6_6916:                             ;   in Loop: Header=BB6_5432 Depth=2
	s_or_b32 exec_lo, exec_lo, s24
	s_mov_b32 s7, 0
	s_mov_b32 s25, exec_lo
                                        ; implicit-def: $sgpr24
	v_cmpx_lt_i16_e32 0x7f, v43
	s_xor_b32 s25, exec_lo, s25
	s_cbranch_execnz .LBB6_8106
; %bb.6917:                             ;   in Loop: Header=BB6_5432 Depth=2
	s_or_saveexec_b32 s25, s25
	v_mov_b32_e32 v46, s24
	s_xor_b32 exec_lo, exec_lo, s25
	s_cbranch_execnz .LBB6_8109
.LBB6_6918:                             ;   in Loop: Header=BB6_5432 Depth=2
	s_or_b32 exec_lo, exec_lo, s25
	s_and_saveexec_b32 s24, s7
	s_cbranch_execz .LBB6_6920
.LBB6_6919:                             ;   in Loop: Header=BB6_5432 Depth=2
	v_bfe_u32 v46, v10, 24, 3
	v_bfe_u32 v57, v10, 27, 4
	s_delay_alu instid0(VALU_DEP_2) | instskip(NEXT) | instid1(VALU_DEP_2)
	v_clz_i32_u32_e32 v47, v46
	v_cmp_eq_u32_e32 vcc_lo, 0, v57
	s_delay_alu instid0(VALU_DEP_2) | instskip(NEXT) | instid1(VALU_DEP_1)
	v_min_u32_e32 v47, 32, v47
	v_subrev_nc_u32_e32 v56, 28, v47
	v_sub_nc_u32_e32 v47, 29, v47
	s_delay_alu instid0(VALU_DEP_2) | instskip(NEXT) | instid1(VALU_DEP_1)
	v_lshlrev_b32_e32 v56, v56, v43
	v_dual_cndmask_b32 v47, v57, v47 :: v_dual_and_b32 v56, 7, v56
	s_delay_alu instid0(VALU_DEP_1) | instskip(NEXT) | instid1(VALU_DEP_2)
	v_lshl_add_u32 v47, v47, 23, 0x3b800000
	v_cndmask_b32_e32 v46, v46, v56, vcc_lo
	v_and_b32_e32 v56, 0x80000000, v10
	s_delay_alu instid0(VALU_DEP_2) | instskip(NEXT) | instid1(VALU_DEP_1)
	v_lshlrev_b32_e32 v46, 20, v46
	v_or3_b32 v46, v56, v47, v46
.LBB6_6920:                             ;   in Loop: Header=BB6_5432 Depth=2
	s_or_b32 exec_lo, exec_lo, s24
	s_delay_alu instid0(VALU_DEP_1) | instskip(SKIP_1) | instid1(VALU_DEP_1)
	v_dual_max_f32 v46, v46, v46 :: v_dual_max_f32 v45, v45, v45
	s_mov_b32 s7, 0
	v_max_f32_e32 v45, v45, v46
	s_branch .LBB6_6922
.LBB6_6921:                             ;   in Loop: Header=BB6_5432 Depth=2
	s_mov_b32 s7, -1
                                        ; implicit-def: $vgpr45
.LBB6_6922:                             ;   in Loop: Header=BB6_5432 Depth=2
	s_delay_alu instid0(SALU_CYCLE_1)
	s_and_b32 vcc_lo, exec_lo, s7
	s_cbranch_vccz .LBB6_6932
; %bb.6923:                             ;   in Loop: Header=BB6_5432 Depth=2
	s_mov_b32 s7, 0
	s_mov_b32 s25, exec_lo
                                        ; implicit-def: $sgpr24
	v_cmpx_lt_i16_e32 0x7f, v44
	s_xor_b32 s25, exec_lo, s25
	s_cbranch_execnz .LBB6_8110
; %bb.6924:                             ;   in Loop: Header=BB6_5432 Depth=2
	s_or_saveexec_b32 s25, s25
	v_mov_b32_e32 v45, s24
	s_xor_b32 exec_lo, exec_lo, s25
	s_cbranch_execnz .LBB6_8113
.LBB6_6925:                             ;   in Loop: Header=BB6_5432 Depth=2
	s_or_b32 exec_lo, exec_lo, s25
	s_and_saveexec_b32 s24, s7
	s_cbranch_execz .LBB6_6927
.LBB6_6926:                             ;   in Loop: Header=BB6_5432 Depth=2
	v_bfe_u32 v45, v14, 24, 3
	s_delay_alu instid0(VALU_DEP_1) | instskip(NEXT) | instid1(VALU_DEP_1)
	v_clz_i32_u32_e32 v46, v45
	v_min_u32_e32 v46, 32, v46
	s_delay_alu instid0(VALU_DEP_1) | instskip(SKIP_1) | instid1(VALU_DEP_2)
	v_subrev_nc_u32_e32 v47, 28, v46
	v_sub_nc_u32_e32 v46, 29, v46
	v_lshlrev_b32_e32 v44, v47, v44
	v_bfe_u32 v47, v14, 27, 4
	v_and_b32_e32 v14, 0x80000000, v14
	s_delay_alu instid0(VALU_DEP_3) | instskip(NEXT) | instid1(VALU_DEP_3)
	v_and_b32_e32 v44, 7, v44
	v_cmp_eq_u32_e32 vcc_lo, 0, v47
	v_cndmask_b32_e32 v46, v47, v46, vcc_lo
	s_delay_alu instid0(VALU_DEP_3) | instskip(NEXT) | instid1(VALU_DEP_2)
	v_cndmask_b32_e32 v44, v45, v44, vcc_lo
	v_lshl_add_u32 v45, v46, 23, 0x3b800000
	s_delay_alu instid0(VALU_DEP_2) | instskip(NEXT) | instid1(VALU_DEP_1)
	v_lshlrev_b32_e32 v44, 20, v44
	v_or3_b32 v45, v14, v45, v44
.LBB6_6927:                             ;   in Loop: Header=BB6_5432 Depth=2
	s_or_b32 exec_lo, exec_lo, s24
	s_mov_b32 s7, 0
	s_mov_b32 s25, exec_lo
                                        ; implicit-def: $sgpr24
	v_cmpx_lt_i16_e32 0x7f, v43
	s_xor_b32 s25, exec_lo, s25
	s_cbranch_execnz .LBB6_8114
; %bb.6928:                             ;   in Loop: Header=BB6_5432 Depth=2
	s_or_saveexec_b32 s25, s25
	v_mov_b32_e32 v14, s24
	s_xor_b32 exec_lo, exec_lo, s25
	s_cbranch_execnz .LBB6_8117
.LBB6_6929:                             ;   in Loop: Header=BB6_5432 Depth=2
	s_or_b32 exec_lo, exec_lo, s25
	s_and_saveexec_b32 s24, s7
	s_cbranch_execz .LBB6_6931
.LBB6_6930:                             ;   in Loop: Header=BB6_5432 Depth=2
	v_bfe_u32 v14, v10, 24, 3
	s_delay_alu instid0(VALU_DEP_1) | instskip(NEXT) | instid1(VALU_DEP_1)
	v_clz_i32_u32_e32 v44, v14
	v_min_u32_e32 v44, 32, v44
	s_delay_alu instid0(VALU_DEP_1) | instskip(SKIP_1) | instid1(VALU_DEP_2)
	v_subrev_nc_u32_e32 v46, 28, v44
	v_sub_nc_u32_e32 v44, 29, v44
	v_lshlrev_b32_e32 v43, v46, v43
	v_bfe_u32 v46, v10, 27, 4
	v_and_b32_e32 v10, 0x80000000, v10
	s_delay_alu instid0(VALU_DEP_2) | instskip(NEXT) | instid1(VALU_DEP_4)
	v_cmp_eq_u32_e32 vcc_lo, 0, v46
	v_dual_cndmask_b32 v44, v46, v44 :: v_dual_and_b32 v43, 7, v43
	s_delay_alu instid0(VALU_DEP_1) | instskip(NEXT) | instid1(VALU_DEP_2)
	v_cndmask_b32_e32 v14, v14, v43, vcc_lo
	v_lshl_add_u32 v43, v44, 23, 0x3b800000
	s_delay_alu instid0(VALU_DEP_2) | instskip(NEXT) | instid1(VALU_DEP_1)
	v_lshlrev_b32_e32 v14, 20, v14
	v_or3_b32 v14, v10, v43, v14
.LBB6_6931:                             ;   in Loop: Header=BB6_5432 Depth=2
	s_or_b32 exec_lo, exec_lo, s24
	s_delay_alu instid0(VALU_DEP_1) | instskip(SKIP_1) | instid1(VALU_DEP_1)
	v_max_f32_e32 v10, v14, v14
	v_max_f32_e32 v14, v45, v45
	v_min_f32_e32 v45, v14, v10
.LBB6_6932:                             ;   in Loop: Header=BB6_5432 Depth=2
	s_delay_alu instid0(VALU_DEP_1) | instskip(NEXT) | instid1(VALU_DEP_1)
	v_and_b32_e32 v10, 0x7f800000, v45
	v_cmp_ne_u32_e32 vcc_lo, 0x7f800000, v10
	v_mov_b32_e32 v10, 0x80
	s_and_saveexec_b32 s24, vcc_lo
	s_cbranch_execz .LBB6_6940
; %bb.6933:                             ;   in Loop: Header=BB6_5432 Depth=2
	v_mov_b32_e32 v10, 0
	s_mov_b32 s25, exec_lo
	v_cmpx_ne_u32_e32 0, v45
	s_cbranch_execz .LBB6_6939
; %bb.6934:                             ;   in Loop: Header=BB6_5432 Depth=2
	v_bfe_u32 v10, v45, 23, 8
	s_delay_alu instid0(VALU_DEP_1) | instskip(SKIP_1) | instid1(VALU_DEP_2)
	v_sub_nc_u32_e32 v43, 0x78, v10
	v_cmp_gt_u32_e32 vcc_lo, 0x79, v10
	v_dual_cndmask_b32 v43, 0, v43 :: v_dual_and_b32 v14, 0x7fffff, v45
	s_delay_alu instid0(VALU_DEP_1) | instskip(SKIP_2) | instid1(VALU_DEP_4)
	v_or_b32_e32 v44, 0x800000, v14
	v_cmp_eq_u32_e32 vcc_lo, 0, v10
	v_add_nc_u32_e32 v10, 0xffffff89, v10
	v_cndmask_b32_e64 v43, v43, 0x77, vcc_lo
	s_delay_alu instid0(VALU_DEP_4) | instskip(NEXT) | instid1(VALU_DEP_3)
	v_cndmask_b32_e32 v14, v44, v14, vcc_lo
	v_cndmask_b32_e64 v10, v10, 0xffffff8a, vcc_lo
	s_delay_alu instid0(VALU_DEP_3) | instskip(NEXT) | instid1(VALU_DEP_3)
	v_lshl_add_u32 v44, 0x100000, v43, -1
	v_lshrrev_b32_e32 v46, v43, v14
	v_lshlrev_b32_e64 v56, v43, 0x80000
	s_delay_alu instid0(VALU_DEP_4) | instskip(NEXT) | instid1(VALU_DEP_4)
	v_add_nc_u32_e32 v43, v43, v10
	v_and_b32_e32 v14, v44, v14
	s_delay_alu instid0(VALU_DEP_4) | instskip(NEXT) | instid1(VALU_DEP_2)
	v_bfe_u32 v47, v46, 20, 1
	v_cmp_eq_u32_e64 s7, v14, v56
	s_delay_alu instid0(VALU_DEP_2) | instskip(NEXT) | instid1(VALU_DEP_1)
	v_add_nc_u32_e32 v44, -1, v47
	v_cndmask_b32_e64 v14, 0, v44, s7
	v_lshrrev_b32_e32 v44, 23, v46
	s_mov_b32 s7, exec_lo
	s_delay_alu instid0(VALU_DEP_2) | instskip(NEXT) | instid1(VALU_DEP_2)
	v_add_nc_u32_e32 v14, v14, v46
	v_xor_b32_e32 v44, 1, v44
	s_delay_alu instid0(VALU_DEP_2) | instskip(NEXT) | instid1(VALU_DEP_1)
	v_and_b32_e32 v10, 0xfffff, v14
	v_add_nc_u32_e32 v14, v10, v46
                                        ; implicit-def: $vgpr10
	s_delay_alu instid0(VALU_DEP_3)
	v_cmpx_ne_u32_e64 v43, v44
	s_xor_b32 s7, exec_lo, s7
; %bb.6935:                             ;   in Loop: Header=BB6_5432 Depth=2
	s_delay_alu instid0(VALU_DEP_2) | instskip(SKIP_2) | instid1(VALU_DEP_2)
	v_cmp_lt_u32_e32 vcc_lo, 0xffffff, v14
	v_sub_nc_u32_e32 v10, v43, v44
	v_cndmask_b32_e64 v43, 0, 1, vcc_lo
	v_add_co_ci_u32_e32 v10, vcc_lo, 0, v10, vcc_lo
	s_delay_alu instid0(VALU_DEP_2)
	v_lshrrev_b32_e32 v14, v43, v14
; %bb.6936:                             ;   in Loop: Header=BB6_5432 Depth=2
	s_and_not1_saveexec_b32 s7, s7
; %bb.6937:                             ;   in Loop: Header=BB6_5432 Depth=2
	s_delay_alu instid0(VALU_DEP_1)
	v_bfe_u32 v10, v14, 23, 1
; %bb.6938:                             ;   in Loop: Header=BB6_5432 Depth=2
	s_or_b32 exec_lo, exec_lo, s7
	v_lshrrev_b32_e32 v14, 20, v14
	s_delay_alu instid0(VALU_DEP_2) | instskip(SKIP_2) | instid1(VALU_DEP_2)
	v_cmp_gt_i32_e32 vcc_lo, 16, v10
	v_lshrrev_b32_e32 v43, 24, v45
	v_min_i32_e32 v44, 15, v10
	v_dual_cndmask_b32 v14, 7, v14 :: v_dual_and_b32 v43, 0x80, v43
	s_delay_alu instid0(VALU_DEP_2) | instskip(NEXT) | instid1(VALU_DEP_2)
	v_lshlrev_b32_e32 v44, 3, v44
	v_and_b32_e32 v45, 7, v14
	v_or_b32_e32 v10, v10, v14
	s_delay_alu instid0(VALU_DEP_2) | instskip(NEXT) | instid1(VALU_DEP_2)
	v_or3_b32 v14, v44, v43, v45
	v_cmp_ne_u32_e32 vcc_lo, 0, v10
	s_delay_alu instid0(VALU_DEP_2)
	v_cndmask_b32_e32 v10, 0, v14, vcc_lo
.LBB6_6939:                             ;   in Loop: Header=BB6_5432 Depth=2
	s_or_b32 exec_lo, exec_lo, s25
.LBB6_6940:                             ;   in Loop: Header=BB6_5432 Depth=2
	s_delay_alu instid0(SALU_CYCLE_1) | instskip(NEXT) | instid1(SALU_CYCLE_1)
	s_or_b32 exec_lo, exec_lo, s24
	s_and_not1_b32 vcc_lo, exec_lo, s23
	s_cbranch_vccnz .LBB6_6950
; %bb.6941:                             ;   in Loop: Header=BB6_5432 Depth=2
	v_and_b32_e32 v43, 0xff, v15
	s_mov_b32 s7, 0
	s_mov_b32 s25, exec_lo
                                        ; implicit-def: $sgpr24
	s_delay_alu instid0(VALU_DEP_1)
	v_cmpx_lt_i16_e32 0x7f, v43
	s_xor_b32 s25, exec_lo, s25
	s_cbranch_execnz .LBB6_8118
; %bb.6942:                             ;   in Loop: Header=BB6_5432 Depth=2
	s_or_saveexec_b32 s25, s25
	v_mov_b32_e32 v14, s24
	s_xor_b32 exec_lo, exec_lo, s25
	s_cbranch_execnz .LBB6_8121
.LBB6_6943:                             ;   in Loop: Header=BB6_5432 Depth=2
	s_or_b32 exec_lo, exec_lo, s25
	s_and_saveexec_b32 s24, s7
	s_cbranch_execz .LBB6_6945
.LBB6_6944:                             ;   in Loop: Header=BB6_5432 Depth=2
	v_and_b32_e32 v14, 7, v15
	v_bfe_u32 v45, v15, 3, 4
	v_lshlrev_b32_e32 v46, 24, v15
	s_delay_alu instid0(VALU_DEP_3) | instskip(NEXT) | instid1(VALU_DEP_3)
	v_clz_i32_u32_e32 v43, v14
	v_cmp_eq_u32_e32 vcc_lo, 0, v45
	s_delay_alu instid0(VALU_DEP_2) | instskip(NEXT) | instid1(VALU_DEP_1)
	v_min_u32_e32 v43, 32, v43
	v_subrev_nc_u32_e32 v44, 28, v43
	v_sub_nc_u32_e32 v43, 29, v43
	s_delay_alu instid0(VALU_DEP_2) | instskip(NEXT) | instid1(VALU_DEP_1)
	v_lshlrev_b32_e32 v44, v44, v15
	v_dual_cndmask_b32 v43, v45, v43 :: v_dual_and_b32 v44, 7, v44
	s_delay_alu instid0(VALU_DEP_1) | instskip(NEXT) | instid1(VALU_DEP_2)
	v_lshl_add_u32 v43, v43, 23, 0x3b800000
	v_cndmask_b32_e32 v14, v14, v44, vcc_lo
	v_and_b32_e32 v44, 0x80000000, v46
	s_delay_alu instid0(VALU_DEP_2) | instskip(NEXT) | instid1(VALU_DEP_1)
	v_lshlrev_b32_e32 v14, 20, v14
	v_or3_b32 v14, v44, v43, v14
.LBB6_6945:                             ;   in Loop: Header=BB6_5432 Depth=2
	s_or_b32 exec_lo, exec_lo, s24
	v_and_b32_e32 v44, 0xff, v11
	s_mov_b32 s7, 0
	s_mov_b32 s25, exec_lo
                                        ; implicit-def: $sgpr24
	s_delay_alu instid0(VALU_DEP_1)
	v_cmpx_lt_i16_e32 0x7f, v44
	s_xor_b32 s25, exec_lo, s25
	s_cbranch_execnz .LBB6_8122
; %bb.6946:                             ;   in Loop: Header=BB6_5432 Depth=2
	s_or_saveexec_b32 s25, s25
	v_mov_b32_e32 v43, s24
	s_xor_b32 exec_lo, exec_lo, s25
	s_cbranch_execnz .LBB6_8125
.LBB6_6947:                             ;   in Loop: Header=BB6_5432 Depth=2
	s_or_b32 exec_lo, exec_lo, s25
	s_and_saveexec_b32 s24, s7
	s_cbranch_execz .LBB6_6949
.LBB6_6948:                             ;   in Loop: Header=BB6_5432 Depth=2
	v_bfe_u32 v46, v11, 3, 4
	v_lshlrev_b32_e32 v47, 24, v11
	s_delay_alu instid0(VALU_DEP_2) | instskip(SKIP_1) | instid1(VALU_DEP_1)
	v_cmp_eq_u32_e32 vcc_lo, 0, v46
	v_and_b32_e32 v43, 7, v11
	v_clz_i32_u32_e32 v44, v43
	s_delay_alu instid0(VALU_DEP_1) | instskip(NEXT) | instid1(VALU_DEP_1)
	v_min_u32_e32 v44, 32, v44
	v_subrev_nc_u32_e32 v45, 28, v44
	v_sub_nc_u32_e32 v44, 29, v44
	s_delay_alu instid0(VALU_DEP_1) | instskip(NEXT) | instid1(VALU_DEP_1)
	v_dual_cndmask_b32 v44, v46, v44 :: v_dual_lshlrev_b32 v45, v45, v11
	v_and_b32_e32 v45, 7, v45
	s_delay_alu instid0(VALU_DEP_2) | instskip(NEXT) | instid1(VALU_DEP_2)
	v_lshl_add_u32 v44, v44, 23, 0x3b800000
	v_cndmask_b32_e32 v43, v43, v45, vcc_lo
	v_and_b32_e32 v45, 0x80000000, v47
	s_delay_alu instid0(VALU_DEP_2) | instskip(NEXT) | instid1(VALU_DEP_1)
	v_lshlrev_b32_e32 v43, 20, v43
	v_or3_b32 v43, v45, v44, v43
.LBB6_6949:                             ;   in Loop: Header=BB6_5432 Depth=2
	s_or_b32 exec_lo, exec_lo, s24
	s_delay_alu instid0(VALU_DEP_1) | instskip(SKIP_1) | instid1(VALU_DEP_1)
	v_dual_max_f32 v43, v43, v43 :: v_dual_max_f32 v14, v14, v14
	s_mov_b32 s7, 0
	v_max_f32_e32 v43, v14, v43
	s_branch .LBB6_6951
.LBB6_6950:                             ;   in Loop: Header=BB6_5432 Depth=2
	s_mov_b32 s7, -1
                                        ; implicit-def: $vgpr43
.LBB6_6951:                             ;   in Loop: Header=BB6_5432 Depth=2
	s_delay_alu instid0(SALU_CYCLE_1)
	s_and_b32 vcc_lo, exec_lo, s7
	s_cbranch_vccz .LBB6_6961
; %bb.6952:                             ;   in Loop: Header=BB6_5432 Depth=2
	v_and_b32_e32 v43, 0xff, v15
	s_mov_b32 s7, 0
	s_mov_b32 s25, exec_lo
                                        ; implicit-def: $sgpr24
	s_delay_alu instid0(VALU_DEP_1)
	v_cmpx_lt_i16_e32 0x7f, v43
	s_xor_b32 s25, exec_lo, s25
	s_cbranch_execnz .LBB6_8126
; %bb.6953:                             ;   in Loop: Header=BB6_5432 Depth=2
	s_or_saveexec_b32 s25, s25
	v_mov_b32_e32 v14, s24
	s_xor_b32 exec_lo, exec_lo, s25
	s_cbranch_execnz .LBB6_8129
.LBB6_6954:                             ;   in Loop: Header=BB6_5432 Depth=2
	s_or_b32 exec_lo, exec_lo, s25
	s_and_saveexec_b32 s24, s7
	s_cbranch_execz .LBB6_6956
.LBB6_6955:                             ;   in Loop: Header=BB6_5432 Depth=2
	v_and_b32_e32 v14, 7, v15
	v_bfe_u32 v45, v15, 3, 4
	v_lshlrev_b32_e32 v46, 24, v15
	s_delay_alu instid0(VALU_DEP_3) | instskip(NEXT) | instid1(VALU_DEP_3)
	v_clz_i32_u32_e32 v43, v14
	v_cmp_eq_u32_e32 vcc_lo, 0, v45
	s_delay_alu instid0(VALU_DEP_2) | instskip(NEXT) | instid1(VALU_DEP_1)
	v_min_u32_e32 v43, 32, v43
	v_subrev_nc_u32_e32 v44, 28, v43
	v_sub_nc_u32_e32 v43, 29, v43
	s_delay_alu instid0(VALU_DEP_2) | instskip(NEXT) | instid1(VALU_DEP_1)
	v_lshlrev_b32_e32 v44, v44, v15
	v_dual_cndmask_b32 v43, v45, v43 :: v_dual_and_b32 v44, 7, v44
	s_delay_alu instid0(VALU_DEP_1) | instskip(NEXT) | instid1(VALU_DEP_2)
	v_lshl_add_u32 v43, v43, 23, 0x3b800000
	v_cndmask_b32_e32 v14, v14, v44, vcc_lo
	v_and_b32_e32 v44, 0x80000000, v46
	s_delay_alu instid0(VALU_DEP_2) | instskip(NEXT) | instid1(VALU_DEP_1)
	v_lshlrev_b32_e32 v14, 20, v14
	v_or3_b32 v14, v44, v43, v14
.LBB6_6956:                             ;   in Loop: Header=BB6_5432 Depth=2
	s_or_b32 exec_lo, exec_lo, s24
	v_and_b32_e32 v44, 0xff, v11
	s_mov_b32 s7, 0
	s_mov_b32 s25, exec_lo
                                        ; implicit-def: $sgpr24
	s_delay_alu instid0(VALU_DEP_1)
	v_cmpx_lt_i16_e32 0x7f, v44
	s_xor_b32 s25, exec_lo, s25
	s_cbranch_execnz .LBB6_8130
; %bb.6957:                             ;   in Loop: Header=BB6_5432 Depth=2
	s_or_saveexec_b32 s25, s25
	v_mov_b32_e32 v43, s24
	s_xor_b32 exec_lo, exec_lo, s25
	s_cbranch_execnz .LBB6_8133
.LBB6_6958:                             ;   in Loop: Header=BB6_5432 Depth=2
	s_or_b32 exec_lo, exec_lo, s25
	s_and_saveexec_b32 s24, s7
	s_cbranch_execz .LBB6_6960
.LBB6_6959:                             ;   in Loop: Header=BB6_5432 Depth=2
	v_bfe_u32 v46, v11, 3, 4
	v_lshlrev_b32_e32 v47, 24, v11
	s_delay_alu instid0(VALU_DEP_2) | instskip(SKIP_1) | instid1(VALU_DEP_1)
	v_cmp_eq_u32_e32 vcc_lo, 0, v46
	v_and_b32_e32 v43, 7, v11
	v_clz_i32_u32_e32 v44, v43
	s_delay_alu instid0(VALU_DEP_1) | instskip(NEXT) | instid1(VALU_DEP_1)
	v_min_u32_e32 v44, 32, v44
	v_subrev_nc_u32_e32 v45, 28, v44
	v_sub_nc_u32_e32 v44, 29, v44
	s_delay_alu instid0(VALU_DEP_1) | instskip(NEXT) | instid1(VALU_DEP_1)
	v_dual_cndmask_b32 v44, v46, v44 :: v_dual_lshlrev_b32 v45, v45, v11
	v_and_b32_e32 v45, 7, v45
	s_delay_alu instid0(VALU_DEP_2) | instskip(NEXT) | instid1(VALU_DEP_2)
	v_lshl_add_u32 v44, v44, 23, 0x3b800000
	v_cndmask_b32_e32 v43, v43, v45, vcc_lo
	v_and_b32_e32 v45, 0x80000000, v47
	s_delay_alu instid0(VALU_DEP_2) | instskip(NEXT) | instid1(VALU_DEP_1)
	v_lshlrev_b32_e32 v43, 20, v43
	v_or3_b32 v43, v45, v44, v43
.LBB6_6960:                             ;   in Loop: Header=BB6_5432 Depth=2
	s_or_b32 exec_lo, exec_lo, s24
	s_delay_alu instid0(VALU_DEP_1) | instskip(NEXT) | instid1(VALU_DEP_1)
	v_dual_max_f32 v43, v43, v43 :: v_dual_max_f32 v14, v14, v14
	v_min_f32_e32 v43, v14, v43
.LBB6_6961:                             ;   in Loop: Header=BB6_5432 Depth=2
	s_delay_alu instid0(VALU_DEP_1) | instskip(NEXT) | instid1(VALU_DEP_1)
	v_and_b32_e32 v14, 0x7f800000, v43
	v_cmp_ne_u32_e32 vcc_lo, 0x7f800000, v14
	v_mov_b32_e32 v14, 0x80
	s_and_saveexec_b32 s24, vcc_lo
	s_cbranch_execz .LBB6_6969
; %bb.6962:                             ;   in Loop: Header=BB6_5432 Depth=2
	v_mov_b32_e32 v14, 0
	s_mov_b32 s25, exec_lo
	v_cmpx_ne_u32_e32 0, v43
	s_cbranch_execz .LBB6_6968
; %bb.6963:                             ;   in Loop: Header=BB6_5432 Depth=2
	v_bfe_u32 v14, v43, 23, 8
	s_delay_alu instid0(VALU_DEP_1) | instskip(SKIP_1) | instid1(VALU_DEP_2)
	v_sub_nc_u32_e32 v45, 0x78, v14
	v_cmp_gt_u32_e32 vcc_lo, 0x79, v14
	v_dual_cndmask_b32 v45, 0, v45 :: v_dual_and_b32 v44, 0x7fffff, v43
	s_delay_alu instid0(VALU_DEP_1) | instskip(SKIP_2) | instid1(VALU_DEP_4)
	v_or_b32_e32 v46, 0x800000, v44
	v_cmp_eq_u32_e32 vcc_lo, 0, v14
	v_add_nc_u32_e32 v14, 0xffffff89, v14
	v_cndmask_b32_e64 v45, v45, 0x77, vcc_lo
	s_delay_alu instid0(VALU_DEP_2) | instskip(SKIP_1) | instid1(VALU_DEP_3)
	v_cndmask_b32_e64 v14, v14, 0xffffff8a, vcc_lo
	v_cndmask_b32_e32 v44, v46, v44, vcc_lo
	v_lshl_add_u32 v46, 0x100000, v45, -1
	v_lshlrev_b32_e64 v57, v45, 0x80000
	s_delay_alu instid0(VALU_DEP_3) | instskip(SKIP_1) | instid1(VALU_DEP_4)
	v_lshrrev_b32_e32 v47, v45, v44
	v_add_nc_u32_e32 v45, v45, v14
	v_and_b32_e32 v44, v46, v44
	s_delay_alu instid0(VALU_DEP_3) | instskip(NEXT) | instid1(VALU_DEP_2)
	v_bfe_u32 v56, v47, 20, 1
	v_cmp_eq_u32_e64 s7, v44, v57
	s_delay_alu instid0(VALU_DEP_2) | instskip(NEXT) | instid1(VALU_DEP_1)
	v_add_nc_u32_e32 v46, -1, v56
	v_cndmask_b32_e64 v44, 0, v46, s7
	v_lshrrev_b32_e32 v46, 23, v47
	s_mov_b32 s7, exec_lo
	s_delay_alu instid0(VALU_DEP_2) | instskip(NEXT) | instid1(VALU_DEP_2)
	v_add_nc_u32_e32 v44, v44, v47
	v_xor_b32_e32 v46, 1, v46
	s_delay_alu instid0(VALU_DEP_2) | instskip(NEXT) | instid1(VALU_DEP_1)
	v_and_b32_e32 v14, 0xfffff, v44
	v_add_nc_u32_e32 v44, v14, v47
                                        ; implicit-def: $vgpr14
	s_delay_alu instid0(VALU_DEP_3)
	v_cmpx_ne_u32_e64 v45, v46
	s_xor_b32 s7, exec_lo, s7
; %bb.6964:                             ;   in Loop: Header=BB6_5432 Depth=2
	s_delay_alu instid0(VALU_DEP_2) | instskip(SKIP_2) | instid1(VALU_DEP_2)
	v_cmp_lt_u32_e32 vcc_lo, 0xffffff, v44
	v_sub_nc_u32_e32 v14, v45, v46
	v_cndmask_b32_e64 v45, 0, 1, vcc_lo
	v_add_co_ci_u32_e32 v14, vcc_lo, 0, v14, vcc_lo
	s_delay_alu instid0(VALU_DEP_2)
	v_lshrrev_b32_e32 v44, v45, v44
; %bb.6965:                             ;   in Loop: Header=BB6_5432 Depth=2
	s_and_not1_saveexec_b32 s7, s7
; %bb.6966:                             ;   in Loop: Header=BB6_5432 Depth=2
	s_delay_alu instid0(VALU_DEP_1)
	v_bfe_u32 v14, v44, 23, 1
; %bb.6967:                             ;   in Loop: Header=BB6_5432 Depth=2
	s_or_b32 exec_lo, exec_lo, s7
	v_lshrrev_b32_e32 v44, 20, v44
	s_delay_alu instid0(VALU_DEP_2) | instskip(SKIP_2) | instid1(VALU_DEP_2)
	v_cmp_gt_i32_e32 vcc_lo, 16, v14
	v_lshrrev_b32_e32 v43, 24, v43
	v_min_i32_e32 v45, 15, v14
	v_dual_cndmask_b32 v44, 7, v44 :: v_dual_and_b32 v43, 0x80, v43
	s_delay_alu instid0(VALU_DEP_1) | instskip(SKIP_1) | instid1(VALU_DEP_2)
	v_or_b32_e32 v14, v14, v44
	v_and_b32_e32 v46, 7, v44
	v_cmp_ne_u32_e32 vcc_lo, 0, v14
	v_lshlrev_b32_e32 v45, 3, v45
	s_delay_alu instid0(VALU_DEP_1) | instskip(NEXT) | instid1(VALU_DEP_1)
	v_or3_b32 v43, v45, v43, v46
	v_cndmask_b32_e32 v14, 0, v43, vcc_lo
.LBB6_6968:                             ;   in Loop: Header=BB6_5432 Depth=2
	s_or_b32 exec_lo, exec_lo, s25
.LBB6_6969:                             ;   in Loop: Header=BB6_5432 Depth=2
	s_delay_alu instid0(SALU_CYCLE_1)
	s_or_b32 exec_lo, exec_lo, s24
	v_lshrrev_b16 v44, 8, v15
	v_lshrrev_b16 v43, 8, v11
	s_and_not1_b32 vcc_lo, exec_lo, s23
	s_cbranch_vccnz .LBB6_6979
; %bb.6970:                             ;   in Loop: Header=BB6_5432 Depth=2
	s_mov_b32 s7, 0
	s_mov_b32 s25, exec_lo
                                        ; implicit-def: $sgpr24
	v_cmpx_lt_i16_e32 0x7f, v44
	s_xor_b32 s25, exec_lo, s25
	s_cbranch_execnz .LBB6_8134
; %bb.6971:                             ;   in Loop: Header=BB6_5432 Depth=2
	s_or_saveexec_b32 s25, s25
	v_mov_b32_e32 v45, s24
	s_xor_b32 exec_lo, exec_lo, s25
	s_cbranch_execnz .LBB6_8137
.LBB6_6972:                             ;   in Loop: Header=BB6_5432 Depth=2
	s_or_b32 exec_lo, exec_lo, s25
	s_and_saveexec_b32 s24, s7
	s_cbranch_execz .LBB6_6974
.LBB6_6973:                             ;   in Loop: Header=BB6_5432 Depth=2
	v_and_b32_e32 v45, 0xffff, v44
	s_delay_alu instid0(VALU_DEP_1) | instskip(NEXT) | instid1(VALU_DEP_1)
	v_and_b32_e32 v46, 7, v45
	v_clz_i32_u32_e32 v47, v46
	s_delay_alu instid0(VALU_DEP_1) | instskip(NEXT) | instid1(VALU_DEP_1)
	v_min_u32_e32 v47, 32, v47
	v_subrev_nc_u32_e32 v56, 28, v47
	v_sub_nc_u32_e32 v47, 29, v47
	s_delay_alu instid0(VALU_DEP_2) | instskip(SKIP_1) | instid1(VALU_DEP_2)
	v_lshlrev_b32_e32 v56, v56, v45
	v_bfe_u32 v45, v45, 3, 4
	v_and_b32_e32 v56, 7, v56
	s_delay_alu instid0(VALU_DEP_2) | instskip(SKIP_1) | instid1(VALU_DEP_3)
	v_cmp_eq_u32_e32 vcc_lo, 0, v45
	v_cndmask_b32_e32 v45, v45, v47, vcc_lo
	v_dual_cndmask_b32 v46, v46, v56 :: v_dual_lshlrev_b32 v57, 16, v15
	s_delay_alu instid0(VALU_DEP_2) | instskip(NEXT) | instid1(VALU_DEP_2)
	v_lshl_add_u32 v45, v45, 23, 0x3b800000
	v_and_b32_e32 v47, 0x80000000, v57
	s_delay_alu instid0(VALU_DEP_3) | instskip(NEXT) | instid1(VALU_DEP_1)
	v_lshlrev_b32_e32 v46, 20, v46
	v_or3_b32 v45, v47, v45, v46
.LBB6_6974:                             ;   in Loop: Header=BB6_5432 Depth=2
	s_or_b32 exec_lo, exec_lo, s24
	s_mov_b32 s7, 0
	s_mov_b32 s25, exec_lo
                                        ; implicit-def: $sgpr24
	v_cmpx_lt_i16_e32 0x7f, v43
	s_xor_b32 s25, exec_lo, s25
	s_cbranch_execnz .LBB6_8138
; %bb.6975:                             ;   in Loop: Header=BB6_5432 Depth=2
	s_or_saveexec_b32 s25, s25
	v_mov_b32_e32 v46, s24
	s_xor_b32 exec_lo, exec_lo, s25
	s_cbranch_execnz .LBB6_8141
.LBB6_6976:                             ;   in Loop: Header=BB6_5432 Depth=2
	s_or_b32 exec_lo, exec_lo, s25
	s_and_saveexec_b32 s24, s7
	s_cbranch_execz .LBB6_6978
.LBB6_6977:                             ;   in Loop: Header=BB6_5432 Depth=2
	v_and_b32_e32 v46, 0xffff, v43
	v_lshlrev_b32_e32 v58, 16, v11
	s_delay_alu instid0(VALU_DEP_2) | instskip(NEXT) | instid1(VALU_DEP_1)
	v_and_b32_e32 v47, 7, v46
	v_clz_i32_u32_e32 v56, v47
	s_delay_alu instid0(VALU_DEP_1) | instskip(NEXT) | instid1(VALU_DEP_1)
	v_min_u32_e32 v56, 32, v56
	v_subrev_nc_u32_e32 v57, 28, v56
	v_sub_nc_u32_e32 v56, 29, v56
	s_delay_alu instid0(VALU_DEP_2) | instskip(SKIP_1) | instid1(VALU_DEP_2)
	v_lshlrev_b32_e32 v57, v57, v46
	v_bfe_u32 v46, v46, 3, 4
	v_and_b32_e32 v57, 7, v57
	s_delay_alu instid0(VALU_DEP_2) | instskip(NEXT) | instid1(VALU_DEP_2)
	v_cmp_eq_u32_e32 vcc_lo, 0, v46
	v_dual_cndmask_b32 v46, v46, v56 :: v_dual_cndmask_b32 v47, v47, v57
	v_and_b32_e32 v56, 0x80000000, v58
	s_delay_alu instid0(VALU_DEP_2) | instskip(NEXT) | instid1(VALU_DEP_3)
	v_lshl_add_u32 v46, v46, 23, 0x3b800000
	v_lshlrev_b32_e32 v47, 20, v47
	s_delay_alu instid0(VALU_DEP_1)
	v_or3_b32 v46, v56, v46, v47
.LBB6_6978:                             ;   in Loop: Header=BB6_5432 Depth=2
	s_or_b32 exec_lo, exec_lo, s24
	s_delay_alu instid0(VALU_DEP_1) | instskip(SKIP_1) | instid1(VALU_DEP_1)
	v_dual_max_f32 v46, v46, v46 :: v_dual_max_f32 v45, v45, v45
	s_mov_b32 s7, 0
	v_max_f32_e32 v45, v45, v46
	s_branch .LBB6_6980
.LBB6_6979:                             ;   in Loop: Header=BB6_5432 Depth=2
	s_mov_b32 s7, -1
                                        ; implicit-def: $vgpr45
.LBB6_6980:                             ;   in Loop: Header=BB6_5432 Depth=2
	s_delay_alu instid0(SALU_CYCLE_1)
	s_and_b32 vcc_lo, exec_lo, s7
	s_cbranch_vccz .LBB6_6990
; %bb.6981:                             ;   in Loop: Header=BB6_5432 Depth=2
	s_mov_b32 s7, 0
	s_mov_b32 s25, exec_lo
                                        ; implicit-def: $sgpr24
	v_cmpx_lt_i16_e32 0x7f, v44
	s_xor_b32 s25, exec_lo, s25
	s_cbranch_execnz .LBB6_8142
; %bb.6982:                             ;   in Loop: Header=BB6_5432 Depth=2
	s_or_saveexec_b32 s25, s25
	v_mov_b32_e32 v45, s24
	s_xor_b32 exec_lo, exec_lo, s25
	s_cbranch_execnz .LBB6_8145
.LBB6_6983:                             ;   in Loop: Header=BB6_5432 Depth=2
	s_or_b32 exec_lo, exec_lo, s25
	s_and_saveexec_b32 s24, s7
	s_cbranch_execz .LBB6_6985
.LBB6_6984:                             ;   in Loop: Header=BB6_5432 Depth=2
	v_and_b32_e32 v44, 0xffff, v44
	v_lshlrev_b32_e32 v56, 16, v15
	s_delay_alu instid0(VALU_DEP_2) | instskip(NEXT) | instid1(VALU_DEP_1)
	v_and_b32_e32 v45, 7, v44
	v_clz_i32_u32_e32 v46, v45
	s_delay_alu instid0(VALU_DEP_1) | instskip(NEXT) | instid1(VALU_DEP_1)
	v_min_u32_e32 v46, 32, v46
	v_subrev_nc_u32_e32 v47, 28, v46
	v_sub_nc_u32_e32 v46, 29, v46
	s_delay_alu instid0(VALU_DEP_2) | instskip(SKIP_1) | instid1(VALU_DEP_2)
	v_lshlrev_b32_e32 v47, v47, v44
	v_bfe_u32 v44, v44, 3, 4
	v_and_b32_e32 v47, 7, v47
	s_delay_alu instid0(VALU_DEP_2) | instskip(NEXT) | instid1(VALU_DEP_2)
	v_cmp_eq_u32_e32 vcc_lo, 0, v44
	v_dual_cndmask_b32 v44, v44, v46 :: v_dual_cndmask_b32 v45, v45, v47
	v_and_b32_e32 v46, 0x80000000, v56
	s_delay_alu instid0(VALU_DEP_2) | instskip(NEXT) | instid1(VALU_DEP_3)
	v_lshl_add_u32 v44, v44, 23, 0x3b800000
	v_lshlrev_b32_e32 v45, 20, v45
	s_delay_alu instid0(VALU_DEP_1)
	v_or3_b32 v45, v46, v44, v45
.LBB6_6985:                             ;   in Loop: Header=BB6_5432 Depth=2
	s_or_b32 exec_lo, exec_lo, s24
	s_mov_b32 s7, 0
	s_mov_b32 s25, exec_lo
                                        ; implicit-def: $sgpr24
	v_cmpx_lt_i16_e32 0x7f, v43
	s_xor_b32 s25, exec_lo, s25
	s_cbranch_execnz .LBB6_8146
; %bb.6986:                             ;   in Loop: Header=BB6_5432 Depth=2
	s_or_saveexec_b32 s25, s25
	v_mov_b32_e32 v44, s24
	s_xor_b32 exec_lo, exec_lo, s25
	s_cbranch_execnz .LBB6_8149
.LBB6_6987:                             ;   in Loop: Header=BB6_5432 Depth=2
	s_or_b32 exec_lo, exec_lo, s25
	s_and_saveexec_b32 s24, s7
	s_cbranch_execz .LBB6_6989
.LBB6_6988:                             ;   in Loop: Header=BB6_5432 Depth=2
	v_and_b32_e32 v43, 0xffff, v43
	v_lshlrev_b32_e32 v56, 16, v11
	s_delay_alu instid0(VALU_DEP_2) | instskip(NEXT) | instid1(VALU_DEP_1)
	v_and_b32_e32 v44, 7, v43
	v_clz_i32_u32_e32 v46, v44
	s_delay_alu instid0(VALU_DEP_1) | instskip(NEXT) | instid1(VALU_DEP_1)
	v_min_u32_e32 v46, 32, v46
	v_subrev_nc_u32_e32 v47, 28, v46
	v_sub_nc_u32_e32 v46, 29, v46
	s_delay_alu instid0(VALU_DEP_2) | instskip(SKIP_1) | instid1(VALU_DEP_2)
	v_lshlrev_b32_e32 v47, v47, v43
	v_bfe_u32 v43, v43, 3, 4
	v_and_b32_e32 v47, 7, v47
	s_delay_alu instid0(VALU_DEP_2) | instskip(NEXT) | instid1(VALU_DEP_2)
	v_cmp_eq_u32_e32 vcc_lo, 0, v43
	v_dual_cndmask_b32 v43, v43, v46 :: v_dual_cndmask_b32 v44, v44, v47
	v_and_b32_e32 v46, 0x80000000, v56
	s_delay_alu instid0(VALU_DEP_2) | instskip(NEXT) | instid1(VALU_DEP_3)
	v_lshl_add_u32 v43, v43, 23, 0x3b800000
	v_lshlrev_b32_e32 v44, 20, v44
	s_delay_alu instid0(VALU_DEP_1)
	v_or3_b32 v44, v46, v43, v44
.LBB6_6989:                             ;   in Loop: Header=BB6_5432 Depth=2
	s_or_b32 exec_lo, exec_lo, s24
	s_delay_alu instid0(VALU_DEP_1) | instskip(NEXT) | instid1(VALU_DEP_1)
	v_dual_max_f32 v43, v44, v44 :: v_dual_max_f32 v44, v45, v45
	v_min_f32_e32 v45, v44, v43
.LBB6_6990:                             ;   in Loop: Header=BB6_5432 Depth=2
	s_delay_alu instid0(VALU_DEP_1) | instskip(NEXT) | instid1(VALU_DEP_1)
	v_and_b32_e32 v43, 0x7f800000, v45
	v_cmp_ne_u32_e32 vcc_lo, 0x7f800000, v43
	v_mov_b32_e32 v43, 0x80
	s_and_saveexec_b32 s24, vcc_lo
	s_cbranch_execz .LBB6_6998
; %bb.6991:                             ;   in Loop: Header=BB6_5432 Depth=2
	v_mov_b32_e32 v43, 0
	s_mov_b32 s25, exec_lo
	v_cmpx_ne_u32_e32 0, v45
	s_cbranch_execz .LBB6_6997
; %bb.6992:                             ;   in Loop: Header=BB6_5432 Depth=2
	v_bfe_u32 v43, v45, 23, 8
	v_and_b32_e32 v44, 0x7fffff, v45
	s_delay_alu instid0(VALU_DEP_2) | instskip(SKIP_1) | instid1(VALU_DEP_3)
	v_sub_nc_u32_e32 v46, 0x78, v43
	v_cmp_gt_u32_e32 vcc_lo, 0x79, v43
	v_or_b32_e32 v47, 0x800000, v44
	s_delay_alu instid0(VALU_DEP_3) | instskip(SKIP_2) | instid1(VALU_DEP_3)
	v_cndmask_b32_e32 v46, 0, v46, vcc_lo
	v_cmp_eq_u32_e32 vcc_lo, 0, v43
	v_add_nc_u32_e32 v43, 0xffffff89, v43
	v_cndmask_b32_e64 v46, v46, 0x77, vcc_lo
	v_cndmask_b32_e32 v44, v47, v44, vcc_lo
	s_delay_alu instid0(VALU_DEP_3) | instskip(NEXT) | instid1(VALU_DEP_3)
	v_cndmask_b32_e64 v43, v43, 0xffffff8a, vcc_lo
	v_lshl_add_u32 v47, 0x100000, v46, -1
	s_delay_alu instid0(VALU_DEP_3) | instskip(SKIP_1) | instid1(VALU_DEP_4)
	v_lshrrev_b32_e32 v56, v46, v44
	v_lshlrev_b32_e64 v58, v46, 0x80000
	v_add_nc_u32_e32 v46, v46, v43
	s_delay_alu instid0(VALU_DEP_4) | instskip(NEXT) | instid1(VALU_DEP_4)
	v_and_b32_e32 v44, v47, v44
	v_bfe_u32 v57, v56, 20, 1
	s_delay_alu instid0(VALU_DEP_2) | instskip(NEXT) | instid1(VALU_DEP_2)
	v_cmp_eq_u32_e64 s7, v44, v58
	v_add_nc_u32_e32 v47, -1, v57
	s_delay_alu instid0(VALU_DEP_1) | instskip(SKIP_2) | instid1(VALU_DEP_2)
	v_cndmask_b32_e64 v44, 0, v47, s7
	v_lshrrev_b32_e32 v47, 23, v56
	s_mov_b32 s7, exec_lo
	v_add_nc_u32_e32 v44, v44, v56
	s_delay_alu instid0(VALU_DEP_2) | instskip(NEXT) | instid1(VALU_DEP_2)
	v_xor_b32_e32 v47, 1, v47
	v_and_b32_e32 v43, 0xfffff, v44
	s_delay_alu instid0(VALU_DEP_1) | instskip(NEXT) | instid1(VALU_DEP_3)
	v_add_nc_u32_e32 v44, v43, v56
                                        ; implicit-def: $vgpr43
	v_cmpx_ne_u32_e64 v46, v47
	s_xor_b32 s7, exec_lo, s7
; %bb.6993:                             ;   in Loop: Header=BB6_5432 Depth=2
	s_delay_alu instid0(VALU_DEP_2) | instskip(SKIP_2) | instid1(VALU_DEP_2)
	v_cmp_lt_u32_e32 vcc_lo, 0xffffff, v44
	v_sub_nc_u32_e32 v43, v46, v47
	v_cndmask_b32_e64 v46, 0, 1, vcc_lo
	v_add_co_ci_u32_e32 v43, vcc_lo, 0, v43, vcc_lo
	s_delay_alu instid0(VALU_DEP_2)
	v_lshrrev_b32_e32 v44, v46, v44
; %bb.6994:                             ;   in Loop: Header=BB6_5432 Depth=2
	s_and_not1_saveexec_b32 s7, s7
; %bb.6995:                             ;   in Loop: Header=BB6_5432 Depth=2
	s_delay_alu instid0(VALU_DEP_1)
	v_bfe_u32 v43, v44, 23, 1
; %bb.6996:                             ;   in Loop: Header=BB6_5432 Depth=2
	s_or_b32 exec_lo, exec_lo, s7
	v_lshrrev_b32_e32 v44, 20, v44
	s_delay_alu instid0(VALU_DEP_2) | instskip(SKIP_2) | instid1(VALU_DEP_2)
	v_cmp_gt_i32_e32 vcc_lo, 16, v43
	v_lshrrev_b32_e32 v45, 24, v45
	v_min_i32_e32 v46, 15, v43
	v_dual_cndmask_b32 v44, 7, v44 :: v_dual_and_b32 v45, 0x80, v45
	s_delay_alu instid0(VALU_DEP_1) | instskip(SKIP_1) | instid1(VALU_DEP_2)
	v_or_b32_e32 v43, v43, v44
	v_and_b32_e32 v47, 7, v44
	v_cmp_ne_u32_e32 vcc_lo, 0, v43
	v_lshlrev_b32_e32 v46, 3, v46
	s_delay_alu instid0(VALU_DEP_1) | instskip(NEXT) | instid1(VALU_DEP_1)
	v_or3_b32 v44, v46, v45, v47
	v_cndmask_b32_e32 v43, 0, v44, vcc_lo
.LBB6_6997:                             ;   in Loop: Header=BB6_5432 Depth=2
	s_or_b32 exec_lo, exec_lo, s25
.LBB6_6998:                             ;   in Loop: Header=BB6_5432 Depth=2
	s_delay_alu instid0(SALU_CYCLE_1)
	s_or_b32 exec_lo, exec_lo, s24
	v_lshrrev_b32_e32 v45, 16, v15
	v_lshrrev_b32_e32 v44, 16, v11
	s_and_not1_b32 vcc_lo, exec_lo, s23
	s_cbranch_vccnz .LBB6_7008
; %bb.6999:                             ;   in Loop: Header=BB6_5432 Depth=2
	s_delay_alu instid0(VALU_DEP_2) | instskip(SKIP_2) | instid1(VALU_DEP_1)
	v_and_b32_e32 v47, 0xff, v45
	s_mov_b32 s7, 0
	s_mov_b32 s25, exec_lo
                                        ; implicit-def: $sgpr24
	v_cmpx_lt_i16_e32 0x7f, v47
	s_xor_b32 s25, exec_lo, s25
	s_cbranch_execnz .LBB6_8150
; %bb.7000:                             ;   in Loop: Header=BB6_5432 Depth=2
	s_or_saveexec_b32 s25, s25
	v_mov_b32_e32 v46, s24
	s_xor_b32 exec_lo, exec_lo, s25
	s_cbranch_execnz .LBB6_8153
.LBB6_7001:                             ;   in Loop: Header=BB6_5432 Depth=2
	s_or_b32 exec_lo, exec_lo, s25
	s_and_saveexec_b32 s24, s7
	s_cbranch_execz .LBB6_7003
.LBB6_7002:                             ;   in Loop: Header=BB6_5432 Depth=2
	v_bfe_u32 v46, v15, 16, 3
	v_bfe_u32 v57, v15, 19, 4
	v_lshlrev_b32_e32 v58, 24, v45
	s_delay_alu instid0(VALU_DEP_3) | instskip(NEXT) | instid1(VALU_DEP_3)
	v_clz_i32_u32_e32 v47, v46
	v_cmp_eq_u32_e32 vcc_lo, 0, v57
	s_delay_alu instid0(VALU_DEP_2) | instskip(NEXT) | instid1(VALU_DEP_1)
	v_min_u32_e32 v47, 32, v47
	v_subrev_nc_u32_e32 v56, 28, v47
	v_sub_nc_u32_e32 v47, 29, v47
	s_delay_alu instid0(VALU_DEP_1) | instskip(NEXT) | instid1(VALU_DEP_1)
	v_dual_cndmask_b32 v47, v57, v47 :: v_dual_lshlrev_b32 v56, v56, v45
	v_and_b32_e32 v56, 7, v56
	s_delay_alu instid0(VALU_DEP_2) | instskip(NEXT) | instid1(VALU_DEP_2)
	v_lshl_add_u32 v47, v47, 23, 0x3b800000
	v_cndmask_b32_e32 v46, v46, v56, vcc_lo
	v_and_b32_e32 v56, 0x80000000, v58
	s_delay_alu instid0(VALU_DEP_2) | instskip(NEXT) | instid1(VALU_DEP_1)
	v_lshlrev_b32_e32 v46, 20, v46
	v_or3_b32 v46, v56, v47, v46
.LBB6_7003:                             ;   in Loop: Header=BB6_5432 Depth=2
	s_or_b32 exec_lo, exec_lo, s24
	v_and_b32_e32 v56, 0xff, v44
	s_mov_b32 s7, 0
	s_mov_b32 s25, exec_lo
                                        ; implicit-def: $sgpr24
	s_delay_alu instid0(VALU_DEP_1)
	v_cmpx_lt_i16_e32 0x7f, v56
	s_xor_b32 s25, exec_lo, s25
	s_cbranch_execnz .LBB6_8154
; %bb.7004:                             ;   in Loop: Header=BB6_5432 Depth=2
	s_or_saveexec_b32 s25, s25
	v_mov_b32_e32 v47, s24
	s_xor_b32 exec_lo, exec_lo, s25
	s_cbranch_execnz .LBB6_8157
.LBB6_7005:                             ;   in Loop: Header=BB6_5432 Depth=2
	s_or_b32 exec_lo, exec_lo, s25
	s_and_saveexec_b32 s24, s7
	s_cbranch_execz .LBB6_7007
.LBB6_7006:                             ;   in Loop: Header=BB6_5432 Depth=2
	v_bfe_u32 v47, v11, 16, 3
	v_bfe_u32 v58, v11, 19, 4
	v_lshlrev_b32_e32 v59, 24, v44
	s_delay_alu instid0(VALU_DEP_3) | instskip(NEXT) | instid1(VALU_DEP_3)
	v_clz_i32_u32_e32 v56, v47
	v_cmp_eq_u32_e32 vcc_lo, 0, v58
	s_delay_alu instid0(VALU_DEP_2) | instskip(NEXT) | instid1(VALU_DEP_1)
	v_min_u32_e32 v56, 32, v56
	v_subrev_nc_u32_e32 v57, 28, v56
	v_sub_nc_u32_e32 v56, 29, v56
	s_delay_alu instid0(VALU_DEP_2) | instskip(NEXT) | instid1(VALU_DEP_1)
	v_lshlrev_b32_e32 v57, v57, v44
	v_dual_cndmask_b32 v56, v58, v56 :: v_dual_and_b32 v57, 7, v57
	s_delay_alu instid0(VALU_DEP_1) | instskip(NEXT) | instid1(VALU_DEP_2)
	v_lshl_add_u32 v56, v56, 23, 0x3b800000
	v_cndmask_b32_e32 v47, v47, v57, vcc_lo
	v_and_b32_e32 v57, 0x80000000, v59
	s_delay_alu instid0(VALU_DEP_2) | instskip(NEXT) | instid1(VALU_DEP_1)
	v_lshlrev_b32_e32 v47, 20, v47
	v_or3_b32 v47, v57, v56, v47
.LBB6_7007:                             ;   in Loop: Header=BB6_5432 Depth=2
	s_or_b32 exec_lo, exec_lo, s24
	s_delay_alu instid0(VALU_DEP_1) | instskip(SKIP_1) | instid1(VALU_DEP_1)
	v_dual_max_f32 v47, v47, v47 :: v_dual_max_f32 v46, v46, v46
	s_mov_b32 s7, 0
	v_max_f32_e32 v46, v46, v47
	s_branch .LBB6_7009
.LBB6_7008:                             ;   in Loop: Header=BB6_5432 Depth=2
	s_mov_b32 s7, -1
                                        ; implicit-def: $vgpr46
.LBB6_7009:                             ;   in Loop: Header=BB6_5432 Depth=2
	s_delay_alu instid0(SALU_CYCLE_1)
	s_and_b32 vcc_lo, exec_lo, s7
	s_cbranch_vccz .LBB6_7019
; %bb.7010:                             ;   in Loop: Header=BB6_5432 Depth=2
	v_and_b32_e32 v47, 0xff, v45
	s_mov_b32 s7, 0
	s_mov_b32 s25, exec_lo
                                        ; implicit-def: $sgpr24
	s_delay_alu instid0(VALU_DEP_1)
	v_cmpx_lt_i16_e32 0x7f, v47
	s_xor_b32 s25, exec_lo, s25
	s_cbranch_execnz .LBB6_8158
; %bb.7011:                             ;   in Loop: Header=BB6_5432 Depth=2
	s_or_saveexec_b32 s25, s25
	v_mov_b32_e32 v46, s24
	s_xor_b32 exec_lo, exec_lo, s25
	s_cbranch_execnz .LBB6_8161
.LBB6_7012:                             ;   in Loop: Header=BB6_5432 Depth=2
	s_or_b32 exec_lo, exec_lo, s25
	s_and_saveexec_b32 s24, s7
	s_cbranch_execz .LBB6_7014
.LBB6_7013:                             ;   in Loop: Header=BB6_5432 Depth=2
	v_bfe_u32 v46, v15, 16, 3
	v_bfe_u32 v57, v15, 19, 4
	s_delay_alu instid0(VALU_DEP_2) | instskip(NEXT) | instid1(VALU_DEP_2)
	v_clz_i32_u32_e32 v47, v46
	v_cmp_eq_u32_e32 vcc_lo, 0, v57
	s_delay_alu instid0(VALU_DEP_2) | instskip(NEXT) | instid1(VALU_DEP_1)
	v_min_u32_e32 v47, 32, v47
	v_subrev_nc_u32_e32 v56, 28, v47
	v_sub_nc_u32_e32 v47, 29, v47
	s_delay_alu instid0(VALU_DEP_1) | instskip(NEXT) | instid1(VALU_DEP_1)
	v_dual_cndmask_b32 v47, v57, v47 :: v_dual_lshlrev_b32 v56, v56, v45
	v_and_b32_e32 v56, 7, v56
	v_lshlrev_b32_e32 v45, 24, v45
	s_delay_alu instid0(VALU_DEP_3) | instskip(NEXT) | instid1(VALU_DEP_2)
	v_lshl_add_u32 v47, v47, 23, 0x3b800000
	v_dual_cndmask_b32 v46, v46, v56 :: v_dual_and_b32 v45, 0x80000000, v45
	s_delay_alu instid0(VALU_DEP_1) | instskip(NEXT) | instid1(VALU_DEP_1)
	v_lshlrev_b32_e32 v46, 20, v46
	v_or3_b32 v46, v45, v47, v46
.LBB6_7014:                             ;   in Loop: Header=BB6_5432 Depth=2
	s_or_b32 exec_lo, exec_lo, s24
	v_and_b32_e32 v47, 0xff, v44
	s_mov_b32 s7, 0
	s_mov_b32 s25, exec_lo
                                        ; implicit-def: $sgpr24
	s_delay_alu instid0(VALU_DEP_1)
	v_cmpx_lt_i16_e32 0x7f, v47
	s_xor_b32 s25, exec_lo, s25
	s_cbranch_execnz .LBB6_8162
; %bb.7015:                             ;   in Loop: Header=BB6_5432 Depth=2
	s_or_saveexec_b32 s25, s25
	v_mov_b32_e32 v45, s24
	s_xor_b32 exec_lo, exec_lo, s25
	s_cbranch_execnz .LBB6_8165
.LBB6_7016:                             ;   in Loop: Header=BB6_5432 Depth=2
	s_or_b32 exec_lo, exec_lo, s25
	s_and_saveexec_b32 s24, s7
	s_cbranch_execz .LBB6_7018
.LBB6_7017:                             ;   in Loop: Header=BB6_5432 Depth=2
	v_bfe_u32 v45, v11, 16, 3
	v_bfe_u32 v57, v11, 19, 4
	s_delay_alu instid0(VALU_DEP_2) | instskip(NEXT) | instid1(VALU_DEP_2)
	v_clz_i32_u32_e32 v47, v45
	v_cmp_eq_u32_e32 vcc_lo, 0, v57
	s_delay_alu instid0(VALU_DEP_2) | instskip(NEXT) | instid1(VALU_DEP_1)
	v_min_u32_e32 v47, 32, v47
	v_subrev_nc_u32_e32 v56, 28, v47
	v_sub_nc_u32_e32 v47, 29, v47
	s_delay_alu instid0(VALU_DEP_1) | instskip(SKIP_1) | instid1(VALU_DEP_2)
	v_dual_cndmask_b32 v47, v57, v47 :: v_dual_lshlrev_b32 v56, v56, v44
	v_lshlrev_b32_e32 v44, 24, v44
	v_and_b32_e32 v56, 7, v56
	s_delay_alu instid0(VALU_DEP_3) | instskip(NEXT) | instid1(VALU_DEP_3)
	v_lshl_add_u32 v47, v47, 23, 0x3b800000
	v_and_b32_e32 v44, 0x80000000, v44
	s_delay_alu instid0(VALU_DEP_3) | instskip(NEXT) | instid1(VALU_DEP_1)
	v_cndmask_b32_e32 v45, v45, v56, vcc_lo
	v_lshlrev_b32_e32 v45, 20, v45
	s_delay_alu instid0(VALU_DEP_1)
	v_or3_b32 v45, v44, v47, v45
.LBB6_7018:                             ;   in Loop: Header=BB6_5432 Depth=2
	s_or_b32 exec_lo, exec_lo, s24
	s_delay_alu instid0(VALU_DEP_1) | instskip(NEXT) | instid1(VALU_DEP_1)
	v_dual_max_f32 v44, v45, v45 :: v_dual_max_f32 v45, v46, v46
	v_min_f32_e32 v46, v45, v44
.LBB6_7019:                             ;   in Loop: Header=BB6_5432 Depth=2
	s_delay_alu instid0(VALU_DEP_1) | instskip(NEXT) | instid1(VALU_DEP_1)
	v_and_b32_e32 v44, 0x7f800000, v46
	v_cmp_ne_u32_e32 vcc_lo, 0x7f800000, v44
	v_mov_b32_e32 v44, 0x80
	s_and_saveexec_b32 s24, vcc_lo
	s_cbranch_execz .LBB6_7027
; %bb.7020:                             ;   in Loop: Header=BB6_5432 Depth=2
	v_mov_b32_e32 v44, 0
	s_mov_b32 s25, exec_lo
	v_cmpx_ne_u32_e32 0, v46
	s_cbranch_execz .LBB6_7026
; %bb.7021:                             ;   in Loop: Header=BB6_5432 Depth=2
	v_bfe_u32 v44, v46, 23, 8
	v_and_b32_e32 v45, 0x7fffff, v46
	s_delay_alu instid0(VALU_DEP_2) | instskip(SKIP_1) | instid1(VALU_DEP_3)
	v_sub_nc_u32_e32 v47, 0x78, v44
	v_cmp_gt_u32_e32 vcc_lo, 0x79, v44
	v_or_b32_e32 v56, 0x800000, v45
	s_delay_alu instid0(VALU_DEP_3) | instskip(SKIP_2) | instid1(VALU_DEP_3)
	v_cndmask_b32_e32 v47, 0, v47, vcc_lo
	v_cmp_eq_u32_e32 vcc_lo, 0, v44
	v_add_nc_u32_e32 v44, 0xffffff89, v44
	v_cndmask_b32_e64 v47, v47, 0x77, vcc_lo
	v_cndmask_b32_e32 v45, v56, v45, vcc_lo
	s_delay_alu instid0(VALU_DEP_3) | instskip(NEXT) | instid1(VALU_DEP_3)
	v_cndmask_b32_e64 v44, v44, 0xffffff8a, vcc_lo
	v_lshl_add_u32 v56, 0x100000, v47, -1
	s_delay_alu instid0(VALU_DEP_3) | instskip(SKIP_1) | instid1(VALU_DEP_4)
	v_lshrrev_b32_e32 v57, v47, v45
	v_lshlrev_b32_e64 v59, v47, 0x80000
	v_add_nc_u32_e32 v47, v47, v44
	s_delay_alu instid0(VALU_DEP_4) | instskip(NEXT) | instid1(VALU_DEP_4)
	v_and_b32_e32 v45, v56, v45
	v_bfe_u32 v58, v57, 20, 1
	s_delay_alu instid0(VALU_DEP_2) | instskip(NEXT) | instid1(VALU_DEP_2)
	v_cmp_eq_u32_e64 s7, v45, v59
	v_add_nc_u32_e32 v56, -1, v58
	s_delay_alu instid0(VALU_DEP_1) | instskip(SKIP_2) | instid1(VALU_DEP_2)
	v_cndmask_b32_e64 v45, 0, v56, s7
	v_lshrrev_b32_e32 v56, 23, v57
	s_mov_b32 s7, exec_lo
	v_add_nc_u32_e32 v45, v45, v57
	s_delay_alu instid0(VALU_DEP_2) | instskip(NEXT) | instid1(VALU_DEP_2)
	v_xor_b32_e32 v56, 1, v56
	v_and_b32_e32 v44, 0xfffff, v45
	s_delay_alu instid0(VALU_DEP_1) | instskip(NEXT) | instid1(VALU_DEP_3)
	v_add_nc_u32_e32 v45, v44, v57
                                        ; implicit-def: $vgpr44
	v_cmpx_ne_u32_e64 v47, v56
	s_xor_b32 s7, exec_lo, s7
; %bb.7022:                             ;   in Loop: Header=BB6_5432 Depth=2
	s_delay_alu instid0(VALU_DEP_2) | instskip(SKIP_2) | instid1(VALU_DEP_2)
	v_cmp_lt_u32_e32 vcc_lo, 0xffffff, v45
	v_sub_nc_u32_e32 v44, v47, v56
	v_cndmask_b32_e64 v47, 0, 1, vcc_lo
	v_add_co_ci_u32_e32 v44, vcc_lo, 0, v44, vcc_lo
	s_delay_alu instid0(VALU_DEP_2)
	v_lshrrev_b32_e32 v45, v47, v45
; %bb.7023:                             ;   in Loop: Header=BB6_5432 Depth=2
	s_and_not1_saveexec_b32 s7, s7
; %bb.7024:                             ;   in Loop: Header=BB6_5432 Depth=2
	s_delay_alu instid0(VALU_DEP_1)
	v_bfe_u32 v44, v45, 23, 1
; %bb.7025:                             ;   in Loop: Header=BB6_5432 Depth=2
	s_or_b32 exec_lo, exec_lo, s7
	v_lshrrev_b32_e32 v45, 20, v45
	s_delay_alu instid0(VALU_DEP_2) | instskip(SKIP_2) | instid1(VALU_DEP_2)
	v_cmp_gt_i32_e32 vcc_lo, 16, v44
	v_lshrrev_b32_e32 v46, 24, v46
	v_min_i32_e32 v47, 15, v44
	v_dual_cndmask_b32 v45, 7, v45 :: v_dual_and_b32 v46, 0x80, v46
	s_delay_alu instid0(VALU_DEP_1) | instskip(SKIP_1) | instid1(VALU_DEP_2)
	v_or_b32_e32 v44, v44, v45
	v_and_b32_e32 v56, 7, v45
	v_cmp_ne_u32_e32 vcc_lo, 0, v44
	v_lshlrev_b32_e32 v47, 3, v47
	s_delay_alu instid0(VALU_DEP_1) | instskip(NEXT) | instid1(VALU_DEP_1)
	v_and_b32_e32 v47, 0xf8, v47
	v_or3_b32 v45, v47, v46, v56
	s_delay_alu instid0(VALU_DEP_1)
	v_cndmask_b32_e32 v44, 0, v45, vcc_lo
.LBB6_7026:                             ;   in Loop: Header=BB6_5432 Depth=2
	s_or_b32 exec_lo, exec_lo, s25
.LBB6_7027:                             ;   in Loop: Header=BB6_5432 Depth=2
	s_delay_alu instid0(SALU_CYCLE_1)
	s_or_b32 exec_lo, exec_lo, s24
	v_lshrrev_b32_e32 v46, 24, v15
	v_lshrrev_b32_e32 v45, 24, v11
	s_and_not1_b32 vcc_lo, exec_lo, s23
	s_cbranch_vccnz .LBB6_7037
; %bb.7028:                             ;   in Loop: Header=BB6_5432 Depth=2
	s_mov_b32 s7, 0
	s_mov_b32 s25, exec_lo
                                        ; implicit-def: $sgpr24
	v_cmpx_lt_i16_e32 0x7f, v46
	s_xor_b32 s25, exec_lo, s25
	s_cbranch_execnz .LBB6_8166
; %bb.7029:                             ;   in Loop: Header=BB6_5432 Depth=2
	s_or_saveexec_b32 s25, s25
	v_mov_b32_e32 v47, s24
	s_xor_b32 exec_lo, exec_lo, s25
	s_cbranch_execnz .LBB6_8169
.LBB6_7030:                             ;   in Loop: Header=BB6_5432 Depth=2
	s_or_b32 exec_lo, exec_lo, s25
	s_and_saveexec_b32 s24, s7
	s_cbranch_execz .LBB6_7032
.LBB6_7031:                             ;   in Loop: Header=BB6_5432 Depth=2
	v_bfe_u32 v47, v15, 24, 3
	v_bfe_u32 v58, v15, 27, 4
	s_delay_alu instid0(VALU_DEP_2) | instskip(NEXT) | instid1(VALU_DEP_2)
	v_clz_i32_u32_e32 v56, v47
	v_cmp_eq_u32_e32 vcc_lo, 0, v58
	s_delay_alu instid0(VALU_DEP_2) | instskip(NEXT) | instid1(VALU_DEP_1)
	v_min_u32_e32 v56, 32, v56
	v_subrev_nc_u32_e32 v57, 28, v56
	v_sub_nc_u32_e32 v56, 29, v56
	s_delay_alu instid0(VALU_DEP_1) | instskip(NEXT) | instid1(VALU_DEP_1)
	v_dual_cndmask_b32 v56, v58, v56 :: v_dual_lshlrev_b32 v57, v57, v46
	v_and_b32_e32 v57, 7, v57
	s_delay_alu instid0(VALU_DEP_2) | instskip(NEXT) | instid1(VALU_DEP_2)
	v_lshl_add_u32 v56, v56, 23, 0x3b800000
	v_cndmask_b32_e32 v47, v47, v57, vcc_lo
	v_and_b32_e32 v57, 0x80000000, v15
	s_delay_alu instid0(VALU_DEP_2) | instskip(NEXT) | instid1(VALU_DEP_1)
	v_lshlrev_b32_e32 v47, 20, v47
	v_or3_b32 v47, v57, v56, v47
.LBB6_7032:                             ;   in Loop: Header=BB6_5432 Depth=2
	s_or_b32 exec_lo, exec_lo, s24
	s_mov_b32 s7, 0
	s_mov_b32 s25, exec_lo
                                        ; implicit-def: $sgpr24
	v_cmpx_lt_i16_e32 0x7f, v45
	s_xor_b32 s25, exec_lo, s25
	s_cbranch_execnz .LBB6_8170
; %bb.7033:                             ;   in Loop: Header=BB6_5432 Depth=2
	s_or_saveexec_b32 s25, s25
	v_mov_b32_e32 v56, s24
	s_xor_b32 exec_lo, exec_lo, s25
	s_cbranch_execnz .LBB6_8173
.LBB6_7034:                             ;   in Loop: Header=BB6_5432 Depth=2
	s_or_b32 exec_lo, exec_lo, s25
	s_and_saveexec_b32 s24, s7
	s_cbranch_execz .LBB6_7036
.LBB6_7035:                             ;   in Loop: Header=BB6_5432 Depth=2
	v_bfe_u32 v56, v11, 24, 3
	v_bfe_u32 v59, v11, 27, 4
	s_delay_alu instid0(VALU_DEP_2) | instskip(NEXT) | instid1(VALU_DEP_2)
	v_clz_i32_u32_e32 v57, v56
	v_cmp_eq_u32_e32 vcc_lo, 0, v59
	s_delay_alu instid0(VALU_DEP_2) | instskip(NEXT) | instid1(VALU_DEP_1)
	v_min_u32_e32 v57, 32, v57
	v_subrev_nc_u32_e32 v58, 28, v57
	v_sub_nc_u32_e32 v57, 29, v57
	s_delay_alu instid0(VALU_DEP_2) | instskip(NEXT) | instid1(VALU_DEP_1)
	v_lshlrev_b32_e32 v58, v58, v45
	v_dual_cndmask_b32 v57, v59, v57 :: v_dual_and_b32 v58, 7, v58
	s_delay_alu instid0(VALU_DEP_1) | instskip(NEXT) | instid1(VALU_DEP_2)
	v_lshl_add_u32 v57, v57, 23, 0x3b800000
	v_cndmask_b32_e32 v56, v56, v58, vcc_lo
	v_and_b32_e32 v58, 0x80000000, v11
	s_delay_alu instid0(VALU_DEP_2) | instskip(NEXT) | instid1(VALU_DEP_1)
	v_lshlrev_b32_e32 v56, 20, v56
	v_or3_b32 v56, v58, v57, v56
.LBB6_7036:                             ;   in Loop: Header=BB6_5432 Depth=2
	s_or_b32 exec_lo, exec_lo, s24
	s_delay_alu instid0(VALU_DEP_1) | instskip(SKIP_1) | instid1(VALU_DEP_1)
	v_dual_max_f32 v56, v56, v56 :: v_dual_max_f32 v47, v47, v47
	s_mov_b32 s7, 0
	v_max_f32_e32 v47, v47, v56
	s_branch .LBB6_7038
.LBB6_7037:                             ;   in Loop: Header=BB6_5432 Depth=2
	s_mov_b32 s7, -1
                                        ; implicit-def: $vgpr47
.LBB6_7038:                             ;   in Loop: Header=BB6_5432 Depth=2
	s_delay_alu instid0(SALU_CYCLE_1)
	s_and_b32 vcc_lo, exec_lo, s7
	s_cbranch_vccz .LBB6_7048
; %bb.7039:                             ;   in Loop: Header=BB6_5432 Depth=2
	s_mov_b32 s7, 0
	s_mov_b32 s25, exec_lo
                                        ; implicit-def: $sgpr24
	v_cmpx_lt_i16_e32 0x7f, v46
	s_xor_b32 s25, exec_lo, s25
	s_cbranch_execnz .LBB6_8174
; %bb.7040:                             ;   in Loop: Header=BB6_5432 Depth=2
	s_or_saveexec_b32 s25, s25
	v_mov_b32_e32 v47, s24
	s_xor_b32 exec_lo, exec_lo, s25
	s_cbranch_execnz .LBB6_8177
.LBB6_7041:                             ;   in Loop: Header=BB6_5432 Depth=2
	s_or_b32 exec_lo, exec_lo, s25
	s_and_saveexec_b32 s24, s7
	s_cbranch_execz .LBB6_7043
.LBB6_7042:                             ;   in Loop: Header=BB6_5432 Depth=2
	v_bfe_u32 v47, v15, 24, 3
	s_delay_alu instid0(VALU_DEP_1) | instskip(NEXT) | instid1(VALU_DEP_1)
	v_clz_i32_u32_e32 v56, v47
	v_min_u32_e32 v56, 32, v56
	s_delay_alu instid0(VALU_DEP_1) | instskip(SKIP_1) | instid1(VALU_DEP_2)
	v_subrev_nc_u32_e32 v57, 28, v56
	v_sub_nc_u32_e32 v56, 29, v56
	v_lshlrev_b32_e32 v46, v57, v46
	v_bfe_u32 v57, v15, 27, 4
	v_and_b32_e32 v15, 0x80000000, v15
	s_delay_alu instid0(VALU_DEP_3) | instskip(NEXT) | instid1(VALU_DEP_3)
	v_and_b32_e32 v46, 7, v46
	v_cmp_eq_u32_e32 vcc_lo, 0, v57
	v_cndmask_b32_e32 v56, v57, v56, vcc_lo
	s_delay_alu instid0(VALU_DEP_3) | instskip(NEXT) | instid1(VALU_DEP_2)
	v_cndmask_b32_e32 v46, v47, v46, vcc_lo
	v_lshl_add_u32 v47, v56, 23, 0x3b800000
	s_delay_alu instid0(VALU_DEP_2) | instskip(NEXT) | instid1(VALU_DEP_1)
	v_lshlrev_b32_e32 v46, 20, v46
	v_or3_b32 v47, v15, v47, v46
.LBB6_7043:                             ;   in Loop: Header=BB6_5432 Depth=2
	s_or_b32 exec_lo, exec_lo, s24
	s_mov_b32 s7, 0
	s_mov_b32 s25, exec_lo
                                        ; implicit-def: $sgpr24
	v_cmpx_lt_i16_e32 0x7f, v45
	s_xor_b32 s25, exec_lo, s25
	s_cbranch_execnz .LBB6_8178
; %bb.7044:                             ;   in Loop: Header=BB6_5432 Depth=2
	s_or_saveexec_b32 s25, s25
	v_mov_b32_e32 v15, s24
	s_xor_b32 exec_lo, exec_lo, s25
	s_cbranch_execnz .LBB6_8181
.LBB6_7045:                             ;   in Loop: Header=BB6_5432 Depth=2
	s_or_b32 exec_lo, exec_lo, s25
	s_and_saveexec_b32 s24, s7
	s_cbranch_execz .LBB6_7047
.LBB6_7046:                             ;   in Loop: Header=BB6_5432 Depth=2
	v_bfe_u32 v15, v11, 24, 3
	s_delay_alu instid0(VALU_DEP_1) | instskip(NEXT) | instid1(VALU_DEP_1)
	v_clz_i32_u32_e32 v46, v15
	v_min_u32_e32 v46, 32, v46
	s_delay_alu instid0(VALU_DEP_1) | instskip(SKIP_1) | instid1(VALU_DEP_2)
	v_subrev_nc_u32_e32 v56, 28, v46
	v_sub_nc_u32_e32 v46, 29, v46
	v_lshlrev_b32_e32 v45, v56, v45
	v_bfe_u32 v56, v11, 27, 4
	v_and_b32_e32 v11, 0x80000000, v11
	s_delay_alu instid0(VALU_DEP_2) | instskip(NEXT) | instid1(VALU_DEP_4)
	v_cmp_eq_u32_e32 vcc_lo, 0, v56
	v_dual_cndmask_b32 v46, v56, v46 :: v_dual_and_b32 v45, 7, v45
	s_delay_alu instid0(VALU_DEP_1) | instskip(NEXT) | instid1(VALU_DEP_2)
	v_cndmask_b32_e32 v15, v15, v45, vcc_lo
	v_lshl_add_u32 v45, v46, 23, 0x3b800000
	s_delay_alu instid0(VALU_DEP_2) | instskip(NEXT) | instid1(VALU_DEP_1)
	v_lshlrev_b32_e32 v15, 20, v15
	v_or3_b32 v15, v11, v45, v15
.LBB6_7047:                             ;   in Loop: Header=BB6_5432 Depth=2
	s_or_b32 exec_lo, exec_lo, s24
	s_delay_alu instid0(VALU_DEP_1) | instskip(SKIP_1) | instid1(VALU_DEP_1)
	v_max_f32_e32 v11, v15, v15
	v_max_f32_e32 v15, v47, v47
	v_min_f32_e32 v47, v15, v11
.LBB6_7048:                             ;   in Loop: Header=BB6_5432 Depth=2
	s_delay_alu instid0(VALU_DEP_1) | instskip(NEXT) | instid1(VALU_DEP_1)
	v_and_b32_e32 v11, 0x7f800000, v47
	v_cmp_ne_u32_e32 vcc_lo, 0x7f800000, v11
	v_mov_b32_e32 v11, 0x8000
	s_and_saveexec_b32 s24, vcc_lo
	s_cbranch_execz .LBB6_7056
; %bb.7049:                             ;   in Loop: Header=BB6_5432 Depth=2
	v_mov_b32_e32 v11, 0
	s_mov_b32 s25, exec_lo
	v_cmpx_ne_u32_e32 0, v47
	s_cbranch_execz .LBB6_7055
; %bb.7050:                             ;   in Loop: Header=BB6_5432 Depth=2
	v_bfe_u32 v11, v47, 23, 8
	v_and_b32_e32 v15, 0x7fffff, v47
	s_delay_alu instid0(VALU_DEP_2) | instskip(SKIP_1) | instid1(VALU_DEP_3)
	v_sub_nc_u32_e32 v45, 0x78, v11
	v_cmp_gt_u32_e32 vcc_lo, 0x79, v11
	v_or_b32_e32 v46, 0x800000, v15
	s_delay_alu instid0(VALU_DEP_3) | instskip(SKIP_2) | instid1(VALU_DEP_3)
	v_cndmask_b32_e32 v45, 0, v45, vcc_lo
	v_cmp_eq_u32_e32 vcc_lo, 0, v11
	v_add_nc_u32_e32 v11, 0xffffff89, v11
	v_cndmask_b32_e64 v45, v45, 0x77, vcc_lo
	v_cndmask_b32_e32 v15, v46, v15, vcc_lo
	s_delay_alu instid0(VALU_DEP_3) | instskip(NEXT) | instid1(VALU_DEP_3)
	v_cndmask_b32_e64 v11, v11, 0xffffff8a, vcc_lo
	v_lshl_add_u32 v46, 0x100000, v45, -1
	s_delay_alu instid0(VALU_DEP_3) | instskip(SKIP_1) | instid1(VALU_DEP_4)
	v_lshrrev_b32_e32 v56, v45, v15
	v_lshlrev_b32_e64 v58, v45, 0x80000
	v_add_nc_u32_e32 v45, v45, v11
	s_delay_alu instid0(VALU_DEP_4) | instskip(NEXT) | instid1(VALU_DEP_4)
	v_and_b32_e32 v15, v46, v15
	v_bfe_u32 v57, v56, 20, 1
	s_delay_alu instid0(VALU_DEP_2) | instskip(NEXT) | instid1(VALU_DEP_2)
	v_cmp_eq_u32_e64 s7, v15, v58
	v_add_nc_u32_e32 v46, -1, v57
	s_delay_alu instid0(VALU_DEP_1) | instskip(SKIP_2) | instid1(VALU_DEP_2)
	v_cndmask_b32_e64 v15, 0, v46, s7
	v_lshrrev_b32_e32 v46, 23, v56
	s_mov_b32 s7, exec_lo
	v_add_nc_u32_e32 v15, v15, v56
	s_delay_alu instid0(VALU_DEP_2) | instskip(NEXT) | instid1(VALU_DEP_2)
	v_xor_b32_e32 v46, 1, v46
	v_and_b32_e32 v11, 0xfffff, v15
	s_delay_alu instid0(VALU_DEP_1) | instskip(NEXT) | instid1(VALU_DEP_3)
	v_add_nc_u32_e32 v15, v11, v56
                                        ; implicit-def: $vgpr11
	v_cmpx_ne_u32_e64 v45, v46
	s_xor_b32 s7, exec_lo, s7
; %bb.7051:                             ;   in Loop: Header=BB6_5432 Depth=2
	s_delay_alu instid0(VALU_DEP_2) | instskip(SKIP_2) | instid1(VALU_DEP_2)
	v_cmp_lt_u32_e32 vcc_lo, 0xffffff, v15
	v_sub_nc_u32_e32 v11, v45, v46
	v_cndmask_b32_e64 v45, 0, 1, vcc_lo
	v_add_co_ci_u32_e32 v11, vcc_lo, 0, v11, vcc_lo
	s_delay_alu instid0(VALU_DEP_2)
	v_lshrrev_b32_e32 v15, v45, v15
; %bb.7052:                             ;   in Loop: Header=BB6_5432 Depth=2
	s_and_not1_saveexec_b32 s7, s7
; %bb.7053:                             ;   in Loop: Header=BB6_5432 Depth=2
	s_delay_alu instid0(VALU_DEP_1)
	v_bfe_u32 v11, v15, 23, 1
; %bb.7054:                             ;   in Loop: Header=BB6_5432 Depth=2
	s_or_b32 exec_lo, exec_lo, s7
	v_lshrrev_b32_e32 v15, 20, v15
	s_delay_alu instid0(VALU_DEP_2) | instskip(SKIP_2) | instid1(VALU_DEP_3)
	v_min_i32_e32 v45, 15, v11
	v_cmp_gt_i32_e32 vcc_lo, 16, v11
	v_lshrrev_b32_e32 v46, 24, v47
	v_lshlrev_b32_e32 v45, 3, v45
	s_delay_alu instid0(VALU_DEP_2) | instskip(NEXT) | instid1(VALU_DEP_2)
	v_dual_cndmask_b32 v15, 7, v15 :: v_dual_and_b32 v46, 0x80, v46
	v_and_b32_e32 v45, 0xf8, v45
	s_delay_alu instid0(VALU_DEP_2) | instskip(SKIP_1) | instid1(VALU_DEP_2)
	v_and_b32_e32 v47, 7, v15
	v_or_b32_e32 v11, v11, v15
	v_or3_b32 v45, v46, v45, v47
	s_delay_alu instid0(VALU_DEP_2) | instskip(NEXT) | instid1(VALU_DEP_2)
	v_cmp_ne_u32_e32 vcc_lo, 0, v11
	v_lshlrev_b32_e32 v15, 8, v45
	s_delay_alu instid0(VALU_DEP_1)
	v_cndmask_b32_e32 v11, 0, v15, vcc_lo
.LBB6_7055:                             ;   in Loop: Header=BB6_5432 Depth=2
	s_or_b32 exec_lo, exec_lo, s25
.LBB6_7056:                             ;   in Loop: Header=BB6_5432 Depth=2
	s_delay_alu instid0(SALU_CYCLE_1) | instskip(NEXT) | instid1(SALU_CYCLE_1)
	s_or_b32 exec_lo, exec_lo, s24
	s_and_not1_b32 vcc_lo, exec_lo, s23
	s_cbranch_vccnz .LBB6_7066
; %bb.7057:                             ;   in Loop: Header=BB6_5432 Depth=2
	v_and_b32_e32 v45, 0xff, v16
	s_mov_b32 s7, 0
	s_mov_b32 s25, exec_lo
                                        ; implicit-def: $sgpr24
	s_delay_alu instid0(VALU_DEP_1)
	v_cmpx_lt_i16_e32 0x7f, v45
	s_xor_b32 s25, exec_lo, s25
	s_cbranch_execnz .LBB6_8182
; %bb.7058:                             ;   in Loop: Header=BB6_5432 Depth=2
	s_or_saveexec_b32 s25, s25
	v_mov_b32_e32 v15, s24
	s_xor_b32 exec_lo, exec_lo, s25
	s_cbranch_execnz .LBB6_8185
.LBB6_7059:                             ;   in Loop: Header=BB6_5432 Depth=2
	s_or_b32 exec_lo, exec_lo, s25
	s_and_saveexec_b32 s24, s7
	s_cbranch_execz .LBB6_7061
.LBB6_7060:                             ;   in Loop: Header=BB6_5432 Depth=2
	v_and_b32_e32 v15, 7, v16
	v_bfe_u32 v47, v16, 3, 4
	s_delay_alu instid0(VALU_DEP_2) | instskip(NEXT) | instid1(VALU_DEP_2)
	v_clz_i32_u32_e32 v45, v15
	v_cmp_eq_u32_e32 vcc_lo, 0, v47
	s_delay_alu instid0(VALU_DEP_2) | instskip(NEXT) | instid1(VALU_DEP_1)
	v_min_u32_e32 v45, 32, v45
	v_subrev_nc_u32_e32 v46, 28, v45
	v_sub_nc_u32_e32 v45, 29, v45
	s_delay_alu instid0(VALU_DEP_1) | instskip(NEXT) | instid1(VALU_DEP_1)
	v_dual_cndmask_b32 v45, v47, v45 :: v_dual_lshlrev_b32 v46, v46, v16
	v_and_b32_e32 v46, 7, v46
	v_lshlrev_b32_e32 v56, 24, v16
	s_delay_alu instid0(VALU_DEP_3) | instskip(NEXT) | instid1(VALU_DEP_2)
	v_lshl_add_u32 v45, v45, 23, 0x3b800000
	v_dual_cndmask_b32 v15, v15, v46 :: v_dual_and_b32 v46, 0x80000000, v56
	s_delay_alu instid0(VALU_DEP_1) | instskip(NEXT) | instid1(VALU_DEP_1)
	v_lshlrev_b32_e32 v15, 20, v15
	v_or3_b32 v15, v46, v45, v15
.LBB6_7061:                             ;   in Loop: Header=BB6_5432 Depth=2
	s_or_b32 exec_lo, exec_lo, s24
	v_and_b32_e32 v46, 0xff, v12
	s_mov_b32 s7, 0
	s_mov_b32 s25, exec_lo
                                        ; implicit-def: $sgpr24
	s_delay_alu instid0(VALU_DEP_1)
	v_cmpx_lt_i16_e32 0x7f, v46
	s_xor_b32 s25, exec_lo, s25
	s_cbranch_execnz .LBB6_8186
; %bb.7062:                             ;   in Loop: Header=BB6_5432 Depth=2
	s_or_saveexec_b32 s25, s25
	v_mov_b32_e32 v45, s24
	s_xor_b32 exec_lo, exec_lo, s25
	s_cbranch_execnz .LBB6_8189
.LBB6_7063:                             ;   in Loop: Header=BB6_5432 Depth=2
	s_or_b32 exec_lo, exec_lo, s25
	s_and_saveexec_b32 s24, s7
	s_cbranch_execz .LBB6_7065
.LBB6_7064:                             ;   in Loop: Header=BB6_5432 Depth=2
	v_bfe_u32 v56, v12, 3, 4
	v_lshlrev_b32_e32 v57, 24, v12
	s_delay_alu instid0(VALU_DEP_2) | instskip(SKIP_1) | instid1(VALU_DEP_1)
	v_cmp_eq_u32_e32 vcc_lo, 0, v56
	v_and_b32_e32 v45, 7, v12
	v_clz_i32_u32_e32 v46, v45
	s_delay_alu instid0(VALU_DEP_1) | instskip(NEXT) | instid1(VALU_DEP_1)
	v_min_u32_e32 v46, 32, v46
	v_subrev_nc_u32_e32 v47, 28, v46
	v_sub_nc_u32_e32 v46, 29, v46
	s_delay_alu instid0(VALU_DEP_1) | instskip(NEXT) | instid1(VALU_DEP_1)
	v_dual_cndmask_b32 v46, v56, v46 :: v_dual_lshlrev_b32 v47, v47, v12
	v_and_b32_e32 v47, 7, v47
	s_delay_alu instid0(VALU_DEP_2) | instskip(NEXT) | instid1(VALU_DEP_2)
	v_lshl_add_u32 v46, v46, 23, 0x3b800000
	v_cndmask_b32_e32 v45, v45, v47, vcc_lo
	v_and_b32_e32 v47, 0x80000000, v57
	s_delay_alu instid0(VALU_DEP_2) | instskip(NEXT) | instid1(VALU_DEP_1)
	v_lshlrev_b32_e32 v45, 20, v45
	v_or3_b32 v45, v47, v46, v45
.LBB6_7065:                             ;   in Loop: Header=BB6_5432 Depth=2
	s_or_b32 exec_lo, exec_lo, s24
	s_delay_alu instid0(VALU_DEP_1) | instskip(SKIP_2) | instid1(VALU_DEP_1)
	v_max_f32_e32 v45, v45, v45
	v_max_f32_e32 v15, v15, v15
	s_mov_b32 s7, 0
	v_max_f32_e32 v45, v15, v45
	s_branch .LBB6_7067
.LBB6_7066:                             ;   in Loop: Header=BB6_5432 Depth=2
	s_mov_b32 s7, -1
                                        ; implicit-def: $vgpr45
.LBB6_7067:                             ;   in Loop: Header=BB6_5432 Depth=2
	s_delay_alu instid0(SALU_CYCLE_1)
	s_and_b32 vcc_lo, exec_lo, s7
	s_cbranch_vccz .LBB6_7077
; %bb.7068:                             ;   in Loop: Header=BB6_5432 Depth=2
	v_and_b32_e32 v45, 0xff, v16
	s_mov_b32 s7, 0
	s_mov_b32 s25, exec_lo
                                        ; implicit-def: $sgpr24
	s_delay_alu instid0(VALU_DEP_1)
	v_cmpx_lt_i16_e32 0x7f, v45
	s_xor_b32 s25, exec_lo, s25
	s_cbranch_execnz .LBB6_8190
; %bb.7069:                             ;   in Loop: Header=BB6_5432 Depth=2
	s_or_saveexec_b32 s25, s25
	v_mov_b32_e32 v15, s24
	s_xor_b32 exec_lo, exec_lo, s25
	s_cbranch_execnz .LBB6_8193
.LBB6_7070:                             ;   in Loop: Header=BB6_5432 Depth=2
	s_or_b32 exec_lo, exec_lo, s25
	s_and_saveexec_b32 s24, s7
	s_cbranch_execz .LBB6_7072
.LBB6_7071:                             ;   in Loop: Header=BB6_5432 Depth=2
	v_and_b32_e32 v15, 7, v16
	v_bfe_u32 v47, v16, 3, 4
	s_delay_alu instid0(VALU_DEP_2) | instskip(NEXT) | instid1(VALU_DEP_2)
	v_clz_i32_u32_e32 v45, v15
	v_cmp_eq_u32_e32 vcc_lo, 0, v47
	s_delay_alu instid0(VALU_DEP_2) | instskip(NEXT) | instid1(VALU_DEP_1)
	v_min_u32_e32 v45, 32, v45
	v_subrev_nc_u32_e32 v46, 28, v45
	v_sub_nc_u32_e32 v45, 29, v45
	s_delay_alu instid0(VALU_DEP_1) | instskip(NEXT) | instid1(VALU_DEP_1)
	v_dual_cndmask_b32 v45, v47, v45 :: v_dual_lshlrev_b32 v46, v46, v16
	v_and_b32_e32 v46, 7, v46
	v_lshlrev_b32_e32 v56, 24, v16
	s_delay_alu instid0(VALU_DEP_3) | instskip(NEXT) | instid1(VALU_DEP_2)
	v_lshl_add_u32 v45, v45, 23, 0x3b800000
	v_dual_cndmask_b32 v15, v15, v46 :: v_dual_and_b32 v46, 0x80000000, v56
	s_delay_alu instid0(VALU_DEP_1) | instskip(NEXT) | instid1(VALU_DEP_1)
	v_lshlrev_b32_e32 v15, 20, v15
	v_or3_b32 v15, v46, v45, v15
.LBB6_7072:                             ;   in Loop: Header=BB6_5432 Depth=2
	s_or_b32 exec_lo, exec_lo, s24
	v_and_b32_e32 v46, 0xff, v12
	s_mov_b32 s7, 0
	s_mov_b32 s25, exec_lo
                                        ; implicit-def: $sgpr24
	s_delay_alu instid0(VALU_DEP_1)
	v_cmpx_lt_i16_e32 0x7f, v46
	s_xor_b32 s25, exec_lo, s25
	s_cbranch_execnz .LBB6_8194
; %bb.7073:                             ;   in Loop: Header=BB6_5432 Depth=2
	s_or_saveexec_b32 s25, s25
	v_mov_b32_e32 v45, s24
	s_xor_b32 exec_lo, exec_lo, s25
	s_cbranch_execnz .LBB6_8197
.LBB6_7074:                             ;   in Loop: Header=BB6_5432 Depth=2
	s_or_b32 exec_lo, exec_lo, s25
	s_and_saveexec_b32 s24, s7
	s_cbranch_execz .LBB6_7076
.LBB6_7075:                             ;   in Loop: Header=BB6_5432 Depth=2
	v_bfe_u32 v56, v12, 3, 4
	v_lshlrev_b32_e32 v57, 24, v12
	s_delay_alu instid0(VALU_DEP_2) | instskip(SKIP_1) | instid1(VALU_DEP_1)
	v_cmp_eq_u32_e32 vcc_lo, 0, v56
	v_and_b32_e32 v45, 7, v12
	v_clz_i32_u32_e32 v46, v45
	s_delay_alu instid0(VALU_DEP_1) | instskip(NEXT) | instid1(VALU_DEP_1)
	v_min_u32_e32 v46, 32, v46
	v_subrev_nc_u32_e32 v47, 28, v46
	v_sub_nc_u32_e32 v46, 29, v46
	s_delay_alu instid0(VALU_DEP_1) | instskip(NEXT) | instid1(VALU_DEP_1)
	v_dual_cndmask_b32 v46, v56, v46 :: v_dual_lshlrev_b32 v47, v47, v12
	v_and_b32_e32 v47, 7, v47
	s_delay_alu instid0(VALU_DEP_2) | instskip(NEXT) | instid1(VALU_DEP_2)
	v_lshl_add_u32 v46, v46, 23, 0x3b800000
	v_cndmask_b32_e32 v45, v45, v47, vcc_lo
	v_and_b32_e32 v47, 0x80000000, v57
	s_delay_alu instid0(VALU_DEP_2) | instskip(NEXT) | instid1(VALU_DEP_1)
	v_lshlrev_b32_e32 v45, 20, v45
	v_or3_b32 v45, v47, v46, v45
.LBB6_7076:                             ;   in Loop: Header=BB6_5432 Depth=2
	s_or_b32 exec_lo, exec_lo, s24
	s_delay_alu instid0(VALU_DEP_1) | instskip(SKIP_1) | instid1(VALU_DEP_1)
	v_max_f32_e32 v45, v45, v45
	v_max_f32_e32 v15, v15, v15
	v_min_f32_e32 v45, v15, v45
.LBB6_7077:                             ;   in Loop: Header=BB6_5432 Depth=2
	s_delay_alu instid0(VALU_DEP_1) | instskip(NEXT) | instid1(VALU_DEP_1)
	v_and_b32_e32 v15, 0x7f800000, v45
	v_cmp_ne_u32_e32 vcc_lo, 0x7f800000, v15
	v_mov_b32_e32 v15, 0x80
	s_and_saveexec_b32 s24, vcc_lo
	s_cbranch_execz .LBB6_7085
; %bb.7078:                             ;   in Loop: Header=BB6_5432 Depth=2
	v_mov_b32_e32 v15, 0
	s_mov_b32 s25, exec_lo
	v_cmpx_ne_u32_e32 0, v45
	s_cbranch_execz .LBB6_7084
; %bb.7079:                             ;   in Loop: Header=BB6_5432 Depth=2
	v_bfe_u32 v15, v45, 23, 8
	s_delay_alu instid0(VALU_DEP_1) | instskip(SKIP_1) | instid1(VALU_DEP_2)
	v_sub_nc_u32_e32 v47, 0x78, v15
	v_cmp_gt_u32_e32 vcc_lo, 0x79, v15
	v_dual_cndmask_b32 v47, 0, v47 :: v_dual_and_b32 v46, 0x7fffff, v45
	s_delay_alu instid0(VALU_DEP_1) | instskip(SKIP_2) | instid1(VALU_DEP_4)
	v_or_b32_e32 v56, 0x800000, v46
	v_cmp_eq_u32_e32 vcc_lo, 0, v15
	v_add_nc_u32_e32 v15, 0xffffff89, v15
	v_cndmask_b32_e64 v47, v47, 0x77, vcc_lo
	s_delay_alu instid0(VALU_DEP_4) | instskip(NEXT) | instid1(VALU_DEP_3)
	v_cndmask_b32_e32 v46, v56, v46, vcc_lo
	v_cndmask_b32_e64 v15, v15, 0xffffff8a, vcc_lo
	s_delay_alu instid0(VALU_DEP_3) | instskip(NEXT) | instid1(VALU_DEP_3)
	v_lshl_add_u32 v56, 0x100000, v47, -1
	v_lshrrev_b32_e32 v57, v47, v46
	v_lshlrev_b32_e64 v59, v47, 0x80000
	s_delay_alu instid0(VALU_DEP_4) | instskip(NEXT) | instid1(VALU_DEP_4)
	v_add_nc_u32_e32 v47, v47, v15
	v_and_b32_e32 v46, v56, v46
	s_delay_alu instid0(VALU_DEP_4) | instskip(NEXT) | instid1(VALU_DEP_2)
	v_bfe_u32 v58, v57, 20, 1
	v_cmp_eq_u32_e64 s7, v46, v59
	s_delay_alu instid0(VALU_DEP_2) | instskip(NEXT) | instid1(VALU_DEP_1)
	v_add_nc_u32_e32 v56, -1, v58
	v_cndmask_b32_e64 v46, 0, v56, s7
	v_lshrrev_b32_e32 v56, 23, v57
	s_mov_b32 s7, exec_lo
	s_delay_alu instid0(VALU_DEP_2) | instskip(NEXT) | instid1(VALU_DEP_2)
	v_add_nc_u32_e32 v46, v46, v57
	v_xor_b32_e32 v56, 1, v56
	s_delay_alu instid0(VALU_DEP_2) | instskip(NEXT) | instid1(VALU_DEP_1)
	v_and_b32_e32 v15, 0xfffff, v46
	v_add_nc_u32_e32 v46, v15, v57
                                        ; implicit-def: $vgpr15
	s_delay_alu instid0(VALU_DEP_3)
	v_cmpx_ne_u32_e64 v47, v56
	s_xor_b32 s7, exec_lo, s7
; %bb.7080:                             ;   in Loop: Header=BB6_5432 Depth=2
	s_delay_alu instid0(VALU_DEP_2) | instskip(SKIP_2) | instid1(VALU_DEP_2)
	v_cmp_lt_u32_e32 vcc_lo, 0xffffff, v46
	v_sub_nc_u32_e32 v15, v47, v56
	v_cndmask_b32_e64 v47, 0, 1, vcc_lo
	v_add_co_ci_u32_e32 v15, vcc_lo, 0, v15, vcc_lo
	s_delay_alu instid0(VALU_DEP_2)
	v_lshrrev_b32_e32 v46, v47, v46
; %bb.7081:                             ;   in Loop: Header=BB6_5432 Depth=2
	s_and_not1_saveexec_b32 s7, s7
; %bb.7082:                             ;   in Loop: Header=BB6_5432 Depth=2
	s_delay_alu instid0(VALU_DEP_1)
	v_bfe_u32 v15, v46, 23, 1
; %bb.7083:                             ;   in Loop: Header=BB6_5432 Depth=2
	s_or_b32 exec_lo, exec_lo, s7
	v_lshrrev_b32_e32 v46, 20, v46
	s_delay_alu instid0(VALU_DEP_2) | instskip(SKIP_2) | instid1(VALU_DEP_2)
	v_cmp_gt_i32_e32 vcc_lo, 16, v15
	v_lshrrev_b32_e32 v45, 24, v45
	v_min_i32_e32 v47, 15, v15
	v_dual_cndmask_b32 v46, 7, v46 :: v_dual_and_b32 v45, 0x80, v45
	s_delay_alu instid0(VALU_DEP_2) | instskip(NEXT) | instid1(VALU_DEP_2)
	v_lshlrev_b32_e32 v47, 3, v47
	v_or_b32_e32 v15, v15, v46
	s_delay_alu instid0(VALU_DEP_1) | instskip(SKIP_1) | instid1(VALU_DEP_1)
	v_cmp_ne_u32_e32 vcc_lo, 0, v15
	v_and_b32_e32 v56, 7, v46
	v_or3_b32 v45, v47, v45, v56
	s_delay_alu instid0(VALU_DEP_1)
	v_cndmask_b32_e32 v15, 0, v45, vcc_lo
.LBB6_7084:                             ;   in Loop: Header=BB6_5432 Depth=2
	s_or_b32 exec_lo, exec_lo, s25
.LBB6_7085:                             ;   in Loop: Header=BB6_5432 Depth=2
	s_delay_alu instid0(SALU_CYCLE_1)
	s_or_b32 exec_lo, exec_lo, s24
	v_lshrrev_b16 v46, 8, v16
	v_lshrrev_b16 v45, 8, v12
	s_and_not1_b32 vcc_lo, exec_lo, s23
	s_cbranch_vccnz .LBB6_7095
; %bb.7086:                             ;   in Loop: Header=BB6_5432 Depth=2
	s_mov_b32 s7, 0
	s_mov_b32 s25, exec_lo
                                        ; implicit-def: $sgpr24
	v_cmpx_lt_i16_e32 0x7f, v46
	s_xor_b32 s25, exec_lo, s25
	s_cbranch_execnz .LBB6_8198
; %bb.7087:                             ;   in Loop: Header=BB6_5432 Depth=2
	s_or_saveexec_b32 s25, s25
	v_mov_b32_e32 v47, s24
	s_xor_b32 exec_lo, exec_lo, s25
	s_cbranch_execnz .LBB6_8201
.LBB6_7088:                             ;   in Loop: Header=BB6_5432 Depth=2
	s_or_b32 exec_lo, exec_lo, s25
	s_and_saveexec_b32 s24, s7
	s_cbranch_execz .LBB6_7090
.LBB6_7089:                             ;   in Loop: Header=BB6_5432 Depth=2
	v_and_b32_e32 v47, 0xffff, v46
	s_delay_alu instid0(VALU_DEP_1) | instskip(NEXT) | instid1(VALU_DEP_1)
	v_and_b32_e32 v56, 7, v47
	v_clz_i32_u32_e32 v57, v56
	s_delay_alu instid0(VALU_DEP_1) | instskip(NEXT) | instid1(VALU_DEP_1)
	v_min_u32_e32 v57, 32, v57
	v_subrev_nc_u32_e32 v58, 28, v57
	v_sub_nc_u32_e32 v57, 29, v57
	s_delay_alu instid0(VALU_DEP_2) | instskip(SKIP_1) | instid1(VALU_DEP_2)
	v_lshlrev_b32_e32 v58, v58, v47
	v_bfe_u32 v47, v47, 3, 4
	v_and_b32_e32 v58, 7, v58
	s_delay_alu instid0(VALU_DEP_2) | instskip(SKIP_1) | instid1(VALU_DEP_3)
	v_cmp_eq_u32_e32 vcc_lo, 0, v47
	v_cndmask_b32_e32 v47, v47, v57, vcc_lo
	v_dual_cndmask_b32 v56, v56, v58 :: v_dual_lshlrev_b32 v59, 16, v16
	s_delay_alu instid0(VALU_DEP_2) | instskip(NEXT) | instid1(VALU_DEP_2)
	v_lshl_add_u32 v47, v47, 23, 0x3b800000
	v_and_b32_e32 v57, 0x80000000, v59
	s_delay_alu instid0(VALU_DEP_3) | instskip(NEXT) | instid1(VALU_DEP_1)
	v_lshlrev_b32_e32 v56, 20, v56
	v_or3_b32 v47, v57, v47, v56
.LBB6_7090:                             ;   in Loop: Header=BB6_5432 Depth=2
	s_or_b32 exec_lo, exec_lo, s24
	s_mov_b32 s7, 0
	s_mov_b32 s25, exec_lo
                                        ; implicit-def: $sgpr24
	v_cmpx_lt_i16_e32 0x7f, v45
	s_xor_b32 s25, exec_lo, s25
	s_cbranch_execnz .LBB6_8202
; %bb.7091:                             ;   in Loop: Header=BB6_5432 Depth=2
	s_or_saveexec_b32 s25, s25
	v_mov_b32_e32 v56, s24
	s_xor_b32 exec_lo, exec_lo, s25
	s_cbranch_execnz .LBB6_8205
.LBB6_7092:                             ;   in Loop: Header=BB6_5432 Depth=2
	s_or_b32 exec_lo, exec_lo, s25
	s_and_saveexec_b32 s24, s7
	s_cbranch_execz .LBB6_7094
.LBB6_7093:                             ;   in Loop: Header=BB6_5432 Depth=2
	v_and_b32_e32 v56, 0xffff, v45
	v_lshlrev_b32_e32 v60, 16, v12
	s_delay_alu instid0(VALU_DEP_2) | instskip(NEXT) | instid1(VALU_DEP_1)
	v_and_b32_e32 v57, 7, v56
	v_clz_i32_u32_e32 v58, v57
	s_delay_alu instid0(VALU_DEP_1) | instskip(NEXT) | instid1(VALU_DEP_1)
	v_min_u32_e32 v58, 32, v58
	v_subrev_nc_u32_e32 v59, 28, v58
	v_sub_nc_u32_e32 v58, 29, v58
	s_delay_alu instid0(VALU_DEP_2) | instskip(SKIP_1) | instid1(VALU_DEP_2)
	v_lshlrev_b32_e32 v59, v59, v56
	v_bfe_u32 v56, v56, 3, 4
	v_and_b32_e32 v59, 7, v59
	s_delay_alu instid0(VALU_DEP_2) | instskip(NEXT) | instid1(VALU_DEP_2)
	v_cmp_eq_u32_e32 vcc_lo, 0, v56
	v_dual_cndmask_b32 v56, v56, v58 :: v_dual_cndmask_b32 v57, v57, v59
	v_and_b32_e32 v58, 0x80000000, v60
	s_delay_alu instid0(VALU_DEP_2) | instskip(NEXT) | instid1(VALU_DEP_3)
	v_lshl_add_u32 v56, v56, 23, 0x3b800000
	v_lshlrev_b32_e32 v57, 20, v57
	s_delay_alu instid0(VALU_DEP_1)
	v_or3_b32 v56, v58, v56, v57
.LBB6_7094:                             ;   in Loop: Header=BB6_5432 Depth=2
	s_or_b32 exec_lo, exec_lo, s24
	s_delay_alu instid0(VALU_DEP_1) | instskip(SKIP_1) | instid1(VALU_DEP_1)
	v_dual_max_f32 v56, v56, v56 :: v_dual_max_f32 v47, v47, v47
	s_mov_b32 s7, 0
	v_max_f32_e32 v47, v47, v56
	s_branch .LBB6_7096
.LBB6_7095:                             ;   in Loop: Header=BB6_5432 Depth=2
	s_mov_b32 s7, -1
                                        ; implicit-def: $vgpr47
.LBB6_7096:                             ;   in Loop: Header=BB6_5432 Depth=2
	s_delay_alu instid0(SALU_CYCLE_1)
	s_and_b32 vcc_lo, exec_lo, s7
	s_cbranch_vccz .LBB6_7106
; %bb.7097:                             ;   in Loop: Header=BB6_5432 Depth=2
	s_mov_b32 s7, 0
	s_mov_b32 s25, exec_lo
                                        ; implicit-def: $sgpr24
	v_cmpx_lt_i16_e32 0x7f, v46
	s_xor_b32 s25, exec_lo, s25
	s_cbranch_execnz .LBB6_8206
; %bb.7098:                             ;   in Loop: Header=BB6_5432 Depth=2
	s_or_saveexec_b32 s25, s25
	v_mov_b32_e32 v47, s24
	s_xor_b32 exec_lo, exec_lo, s25
	s_cbranch_execnz .LBB6_8209
.LBB6_7099:                             ;   in Loop: Header=BB6_5432 Depth=2
	s_or_b32 exec_lo, exec_lo, s25
	s_and_saveexec_b32 s24, s7
	s_cbranch_execz .LBB6_7101
.LBB6_7100:                             ;   in Loop: Header=BB6_5432 Depth=2
	v_and_b32_e32 v46, 0xffff, v46
	v_lshlrev_b32_e32 v58, 16, v16
	s_delay_alu instid0(VALU_DEP_2) | instskip(NEXT) | instid1(VALU_DEP_1)
	v_and_b32_e32 v47, 7, v46
	v_clz_i32_u32_e32 v56, v47
	s_delay_alu instid0(VALU_DEP_1) | instskip(NEXT) | instid1(VALU_DEP_1)
	v_min_u32_e32 v56, 32, v56
	v_subrev_nc_u32_e32 v57, 28, v56
	v_sub_nc_u32_e32 v56, 29, v56
	s_delay_alu instid0(VALU_DEP_2) | instskip(SKIP_1) | instid1(VALU_DEP_2)
	v_lshlrev_b32_e32 v57, v57, v46
	v_bfe_u32 v46, v46, 3, 4
	v_and_b32_e32 v57, 7, v57
	s_delay_alu instid0(VALU_DEP_2) | instskip(NEXT) | instid1(VALU_DEP_2)
	v_cmp_eq_u32_e32 vcc_lo, 0, v46
	v_dual_cndmask_b32 v46, v46, v56 :: v_dual_cndmask_b32 v47, v47, v57
	v_and_b32_e32 v56, 0x80000000, v58
	s_delay_alu instid0(VALU_DEP_2) | instskip(NEXT) | instid1(VALU_DEP_3)
	v_lshl_add_u32 v46, v46, 23, 0x3b800000
	v_lshlrev_b32_e32 v47, 20, v47
	s_delay_alu instid0(VALU_DEP_1)
	v_or3_b32 v47, v56, v46, v47
.LBB6_7101:                             ;   in Loop: Header=BB6_5432 Depth=2
	s_or_b32 exec_lo, exec_lo, s24
	s_mov_b32 s7, 0
	s_mov_b32 s25, exec_lo
                                        ; implicit-def: $sgpr24
	v_cmpx_lt_i16_e32 0x7f, v45
	s_xor_b32 s25, exec_lo, s25
	s_cbranch_execnz .LBB6_8210
; %bb.7102:                             ;   in Loop: Header=BB6_5432 Depth=2
	s_or_saveexec_b32 s25, s25
	v_mov_b32_e32 v46, s24
	s_xor_b32 exec_lo, exec_lo, s25
	s_cbranch_execnz .LBB6_8213
.LBB6_7103:                             ;   in Loop: Header=BB6_5432 Depth=2
	s_or_b32 exec_lo, exec_lo, s25
	s_and_saveexec_b32 s24, s7
	s_cbranch_execz .LBB6_7105
.LBB6_7104:                             ;   in Loop: Header=BB6_5432 Depth=2
	v_and_b32_e32 v45, 0xffff, v45
	v_lshlrev_b32_e32 v58, 16, v12
	s_delay_alu instid0(VALU_DEP_2) | instskip(NEXT) | instid1(VALU_DEP_1)
	v_and_b32_e32 v46, 7, v45
	v_clz_i32_u32_e32 v56, v46
	s_delay_alu instid0(VALU_DEP_1) | instskip(NEXT) | instid1(VALU_DEP_1)
	v_min_u32_e32 v56, 32, v56
	v_subrev_nc_u32_e32 v57, 28, v56
	v_sub_nc_u32_e32 v56, 29, v56
	s_delay_alu instid0(VALU_DEP_2) | instskip(SKIP_1) | instid1(VALU_DEP_2)
	v_lshlrev_b32_e32 v57, v57, v45
	v_bfe_u32 v45, v45, 3, 4
	v_and_b32_e32 v57, 7, v57
	s_delay_alu instid0(VALU_DEP_2) | instskip(NEXT) | instid1(VALU_DEP_2)
	v_cmp_eq_u32_e32 vcc_lo, 0, v45
	v_dual_cndmask_b32 v45, v45, v56 :: v_dual_cndmask_b32 v46, v46, v57
	v_and_b32_e32 v56, 0x80000000, v58
	s_delay_alu instid0(VALU_DEP_2) | instskip(NEXT) | instid1(VALU_DEP_3)
	v_lshl_add_u32 v45, v45, 23, 0x3b800000
	v_lshlrev_b32_e32 v46, 20, v46
	s_delay_alu instid0(VALU_DEP_1)
	v_or3_b32 v46, v56, v45, v46
.LBB6_7105:                             ;   in Loop: Header=BB6_5432 Depth=2
	s_or_b32 exec_lo, exec_lo, s24
	s_delay_alu instid0(VALU_DEP_1) | instskip(NEXT) | instid1(VALU_DEP_1)
	v_dual_max_f32 v45, v46, v46 :: v_dual_max_f32 v46, v47, v47
	v_min_f32_e32 v47, v46, v45
.LBB6_7106:                             ;   in Loop: Header=BB6_5432 Depth=2
	s_delay_alu instid0(VALU_DEP_1) | instskip(NEXT) | instid1(VALU_DEP_1)
	v_and_b32_e32 v45, 0x7f800000, v47
	v_cmp_ne_u32_e32 vcc_lo, 0x7f800000, v45
	v_mov_b32_e32 v45, 0x80
	s_and_saveexec_b32 s24, vcc_lo
	s_cbranch_execz .LBB6_7114
; %bb.7107:                             ;   in Loop: Header=BB6_5432 Depth=2
	v_mov_b32_e32 v45, 0
	s_mov_b32 s25, exec_lo
	v_cmpx_ne_u32_e32 0, v47
	s_cbranch_execz .LBB6_7113
; %bb.7108:                             ;   in Loop: Header=BB6_5432 Depth=2
	v_bfe_u32 v45, v47, 23, 8
	v_and_b32_e32 v46, 0x7fffff, v47
	s_delay_alu instid0(VALU_DEP_2) | instskip(SKIP_1) | instid1(VALU_DEP_3)
	v_sub_nc_u32_e32 v56, 0x78, v45
	v_cmp_gt_u32_e32 vcc_lo, 0x79, v45
	v_or_b32_e32 v57, 0x800000, v46
	s_delay_alu instid0(VALU_DEP_3) | instskip(SKIP_2) | instid1(VALU_DEP_3)
	v_cndmask_b32_e32 v56, 0, v56, vcc_lo
	v_cmp_eq_u32_e32 vcc_lo, 0, v45
	v_add_nc_u32_e32 v45, 0xffffff89, v45
	v_cndmask_b32_e64 v56, v56, 0x77, vcc_lo
	v_cndmask_b32_e32 v46, v57, v46, vcc_lo
	s_delay_alu instid0(VALU_DEP_3) | instskip(NEXT) | instid1(VALU_DEP_3)
	v_cndmask_b32_e64 v45, v45, 0xffffff8a, vcc_lo
	v_lshl_add_u32 v57, 0x100000, v56, -1
	s_delay_alu instid0(VALU_DEP_3) | instskip(SKIP_1) | instid1(VALU_DEP_4)
	v_lshrrev_b32_e32 v58, v56, v46
	v_lshlrev_b32_e64 v60, v56, 0x80000
	v_add_nc_u32_e32 v56, v56, v45
	s_delay_alu instid0(VALU_DEP_4) | instskip(NEXT) | instid1(VALU_DEP_4)
	v_and_b32_e32 v46, v57, v46
	v_bfe_u32 v59, v58, 20, 1
	s_delay_alu instid0(VALU_DEP_2) | instskip(NEXT) | instid1(VALU_DEP_2)
	v_cmp_eq_u32_e64 s7, v46, v60
	v_add_nc_u32_e32 v57, -1, v59
	s_delay_alu instid0(VALU_DEP_1) | instskip(SKIP_2) | instid1(VALU_DEP_2)
	v_cndmask_b32_e64 v46, 0, v57, s7
	v_lshrrev_b32_e32 v57, 23, v58
	s_mov_b32 s7, exec_lo
	v_add_nc_u32_e32 v46, v46, v58
	s_delay_alu instid0(VALU_DEP_2) | instskip(NEXT) | instid1(VALU_DEP_2)
	v_xor_b32_e32 v57, 1, v57
	v_and_b32_e32 v45, 0xfffff, v46
	s_delay_alu instid0(VALU_DEP_1) | instskip(NEXT) | instid1(VALU_DEP_3)
	v_add_nc_u32_e32 v46, v45, v58
                                        ; implicit-def: $vgpr45
	v_cmpx_ne_u32_e64 v56, v57
	s_xor_b32 s7, exec_lo, s7
; %bb.7109:                             ;   in Loop: Header=BB6_5432 Depth=2
	s_delay_alu instid0(VALU_DEP_2) | instskip(SKIP_2) | instid1(VALU_DEP_2)
	v_cmp_lt_u32_e32 vcc_lo, 0xffffff, v46
	v_sub_nc_u32_e32 v45, v56, v57
	v_cndmask_b32_e64 v56, 0, 1, vcc_lo
	v_add_co_ci_u32_e32 v45, vcc_lo, 0, v45, vcc_lo
	s_delay_alu instid0(VALU_DEP_2)
	v_lshrrev_b32_e32 v46, v56, v46
; %bb.7110:                             ;   in Loop: Header=BB6_5432 Depth=2
	s_and_not1_saveexec_b32 s7, s7
; %bb.7111:                             ;   in Loop: Header=BB6_5432 Depth=2
	s_delay_alu instid0(VALU_DEP_1)
	v_bfe_u32 v45, v46, 23, 1
; %bb.7112:                             ;   in Loop: Header=BB6_5432 Depth=2
	s_or_b32 exec_lo, exec_lo, s7
	v_lshrrev_b32_e32 v46, 20, v46
	s_delay_alu instid0(VALU_DEP_2) | instskip(SKIP_2) | instid1(VALU_DEP_2)
	v_cmp_gt_i32_e32 vcc_lo, 16, v45
	v_lshrrev_b32_e32 v47, 24, v47
	v_min_i32_e32 v56, 15, v45
	v_dual_cndmask_b32 v46, 7, v46 :: v_dual_and_b32 v47, 0x80, v47
	s_delay_alu instid0(VALU_DEP_1) | instskip(SKIP_1) | instid1(VALU_DEP_2)
	v_or_b32_e32 v45, v45, v46
	v_and_b32_e32 v57, 7, v46
	v_cmp_ne_u32_e32 vcc_lo, 0, v45
	v_lshlrev_b32_e32 v56, 3, v56
	s_delay_alu instid0(VALU_DEP_1) | instskip(NEXT) | instid1(VALU_DEP_1)
	v_or3_b32 v46, v56, v47, v57
	v_cndmask_b32_e32 v45, 0, v46, vcc_lo
.LBB6_7113:                             ;   in Loop: Header=BB6_5432 Depth=2
	s_or_b32 exec_lo, exec_lo, s25
.LBB6_7114:                             ;   in Loop: Header=BB6_5432 Depth=2
	s_delay_alu instid0(SALU_CYCLE_1)
	s_or_b32 exec_lo, exec_lo, s24
	v_lshrrev_b32_e32 v47, 16, v16
	v_lshrrev_b32_e32 v46, 16, v12
	s_and_not1_b32 vcc_lo, exec_lo, s23
	s_cbranch_vccnz .LBB6_7124
; %bb.7115:                             ;   in Loop: Header=BB6_5432 Depth=2
	s_delay_alu instid0(VALU_DEP_2) | instskip(SKIP_2) | instid1(VALU_DEP_1)
	v_and_b32_e32 v57, 0xff, v47
	s_mov_b32 s7, 0
	s_mov_b32 s25, exec_lo
                                        ; implicit-def: $sgpr24
	v_cmpx_lt_i16_e32 0x7f, v57
	s_xor_b32 s25, exec_lo, s25
	s_cbranch_execnz .LBB6_8214
; %bb.7116:                             ;   in Loop: Header=BB6_5432 Depth=2
	s_or_saveexec_b32 s25, s25
	v_mov_b32_e32 v56, s24
	s_xor_b32 exec_lo, exec_lo, s25
	s_cbranch_execnz .LBB6_8217
.LBB6_7117:                             ;   in Loop: Header=BB6_5432 Depth=2
	s_or_b32 exec_lo, exec_lo, s25
	s_and_saveexec_b32 s24, s7
	s_cbranch_execz .LBB6_7119
.LBB6_7118:                             ;   in Loop: Header=BB6_5432 Depth=2
	v_bfe_u32 v56, v16, 16, 3
	v_bfe_u32 v59, v16, 19, 4
	v_lshlrev_b32_e32 v60, 24, v47
	s_delay_alu instid0(VALU_DEP_3) | instskip(NEXT) | instid1(VALU_DEP_3)
	v_clz_i32_u32_e32 v57, v56
	v_cmp_eq_u32_e32 vcc_lo, 0, v59
	s_delay_alu instid0(VALU_DEP_2) | instskip(NEXT) | instid1(VALU_DEP_1)
	v_min_u32_e32 v57, 32, v57
	v_subrev_nc_u32_e32 v58, 28, v57
	v_sub_nc_u32_e32 v57, 29, v57
	s_delay_alu instid0(VALU_DEP_1) | instskip(NEXT) | instid1(VALU_DEP_1)
	v_dual_cndmask_b32 v57, v59, v57 :: v_dual_lshlrev_b32 v58, v58, v47
	v_and_b32_e32 v58, 7, v58
	s_delay_alu instid0(VALU_DEP_2) | instskip(NEXT) | instid1(VALU_DEP_2)
	v_lshl_add_u32 v57, v57, 23, 0x3b800000
	v_cndmask_b32_e32 v56, v56, v58, vcc_lo
	v_and_b32_e32 v58, 0x80000000, v60
	s_delay_alu instid0(VALU_DEP_2) | instskip(NEXT) | instid1(VALU_DEP_1)
	v_lshlrev_b32_e32 v56, 20, v56
	v_or3_b32 v56, v58, v57, v56
.LBB6_7119:                             ;   in Loop: Header=BB6_5432 Depth=2
	s_or_b32 exec_lo, exec_lo, s24
	v_and_b32_e32 v58, 0xff, v46
	s_mov_b32 s7, 0
	s_mov_b32 s25, exec_lo
                                        ; implicit-def: $sgpr24
	s_delay_alu instid0(VALU_DEP_1)
	v_cmpx_lt_i16_e32 0x7f, v58
	s_xor_b32 s25, exec_lo, s25
	s_cbranch_execnz .LBB6_8218
; %bb.7120:                             ;   in Loop: Header=BB6_5432 Depth=2
	s_or_saveexec_b32 s25, s25
	v_mov_b32_e32 v57, s24
	s_xor_b32 exec_lo, exec_lo, s25
	s_cbranch_execnz .LBB6_8221
.LBB6_7121:                             ;   in Loop: Header=BB6_5432 Depth=2
	s_or_b32 exec_lo, exec_lo, s25
	s_and_saveexec_b32 s24, s7
	s_cbranch_execz .LBB6_7123
.LBB6_7122:                             ;   in Loop: Header=BB6_5432 Depth=2
	v_bfe_u32 v57, v12, 16, 3
	v_bfe_u32 v60, v12, 19, 4
	v_lshlrev_b32_e32 v61, 24, v46
	s_delay_alu instid0(VALU_DEP_3) | instskip(NEXT) | instid1(VALU_DEP_3)
	v_clz_i32_u32_e32 v58, v57
	v_cmp_eq_u32_e32 vcc_lo, 0, v60
	s_delay_alu instid0(VALU_DEP_2) | instskip(NEXT) | instid1(VALU_DEP_1)
	v_min_u32_e32 v58, 32, v58
	v_subrev_nc_u32_e32 v59, 28, v58
	v_sub_nc_u32_e32 v58, 29, v58
	s_delay_alu instid0(VALU_DEP_2) | instskip(NEXT) | instid1(VALU_DEP_1)
	v_lshlrev_b32_e32 v59, v59, v46
	v_dual_cndmask_b32 v58, v60, v58 :: v_dual_and_b32 v59, 7, v59
	s_delay_alu instid0(VALU_DEP_1) | instskip(NEXT) | instid1(VALU_DEP_2)
	v_lshl_add_u32 v58, v58, 23, 0x3b800000
	v_cndmask_b32_e32 v57, v57, v59, vcc_lo
	v_and_b32_e32 v59, 0x80000000, v61
	s_delay_alu instid0(VALU_DEP_2) | instskip(NEXT) | instid1(VALU_DEP_1)
	v_lshlrev_b32_e32 v57, 20, v57
	v_or3_b32 v57, v59, v58, v57
.LBB6_7123:                             ;   in Loop: Header=BB6_5432 Depth=2
	s_or_b32 exec_lo, exec_lo, s24
	s_delay_alu instid0(VALU_DEP_1) | instskip(SKIP_1) | instid1(VALU_DEP_1)
	v_dual_max_f32 v57, v57, v57 :: v_dual_max_f32 v56, v56, v56
	s_mov_b32 s7, 0
	v_max_f32_e32 v56, v56, v57
	s_branch .LBB6_7125
.LBB6_7124:                             ;   in Loop: Header=BB6_5432 Depth=2
	s_mov_b32 s7, -1
                                        ; implicit-def: $vgpr56
.LBB6_7125:                             ;   in Loop: Header=BB6_5432 Depth=2
	s_delay_alu instid0(SALU_CYCLE_1)
	s_and_b32 vcc_lo, exec_lo, s7
	s_cbranch_vccz .LBB6_7135
; %bb.7126:                             ;   in Loop: Header=BB6_5432 Depth=2
	v_and_b32_e32 v57, 0xff, v47
	s_mov_b32 s7, 0
	s_mov_b32 s25, exec_lo
                                        ; implicit-def: $sgpr24
	s_delay_alu instid0(VALU_DEP_1)
	v_cmpx_lt_i16_e32 0x7f, v57
	s_xor_b32 s25, exec_lo, s25
	s_cbranch_execnz .LBB6_8222
; %bb.7127:                             ;   in Loop: Header=BB6_5432 Depth=2
	s_or_saveexec_b32 s25, s25
	v_mov_b32_e32 v56, s24
	s_xor_b32 exec_lo, exec_lo, s25
	s_cbranch_execnz .LBB6_8225
.LBB6_7128:                             ;   in Loop: Header=BB6_5432 Depth=2
	s_or_b32 exec_lo, exec_lo, s25
	s_and_saveexec_b32 s24, s7
	s_cbranch_execz .LBB6_7130
.LBB6_7129:                             ;   in Loop: Header=BB6_5432 Depth=2
	v_bfe_u32 v56, v16, 16, 3
	v_bfe_u32 v59, v16, 19, 4
	s_delay_alu instid0(VALU_DEP_2) | instskip(NEXT) | instid1(VALU_DEP_2)
	v_clz_i32_u32_e32 v57, v56
	v_cmp_eq_u32_e32 vcc_lo, 0, v59
	s_delay_alu instid0(VALU_DEP_2) | instskip(NEXT) | instid1(VALU_DEP_1)
	v_min_u32_e32 v57, 32, v57
	v_subrev_nc_u32_e32 v58, 28, v57
	v_sub_nc_u32_e32 v57, 29, v57
	s_delay_alu instid0(VALU_DEP_1) | instskip(NEXT) | instid1(VALU_DEP_1)
	v_dual_cndmask_b32 v57, v59, v57 :: v_dual_lshlrev_b32 v58, v58, v47
	v_and_b32_e32 v58, 7, v58
	v_lshlrev_b32_e32 v47, 24, v47
	s_delay_alu instid0(VALU_DEP_3) | instskip(NEXT) | instid1(VALU_DEP_2)
	v_lshl_add_u32 v57, v57, 23, 0x3b800000
	v_dual_cndmask_b32 v56, v56, v58 :: v_dual_and_b32 v47, 0x80000000, v47
	s_delay_alu instid0(VALU_DEP_1) | instskip(NEXT) | instid1(VALU_DEP_1)
	v_lshlrev_b32_e32 v56, 20, v56
	v_or3_b32 v56, v47, v57, v56
.LBB6_7130:                             ;   in Loop: Header=BB6_5432 Depth=2
	s_or_b32 exec_lo, exec_lo, s24
	v_and_b32_e32 v57, 0xff, v46
	s_mov_b32 s7, 0
	s_mov_b32 s25, exec_lo
                                        ; implicit-def: $sgpr24
	s_delay_alu instid0(VALU_DEP_1)
	v_cmpx_lt_i16_e32 0x7f, v57
	s_xor_b32 s25, exec_lo, s25
	s_cbranch_execnz .LBB6_8226
; %bb.7131:                             ;   in Loop: Header=BB6_5432 Depth=2
	s_or_saveexec_b32 s25, s25
	v_mov_b32_e32 v47, s24
	s_xor_b32 exec_lo, exec_lo, s25
	s_cbranch_execnz .LBB6_8229
.LBB6_7132:                             ;   in Loop: Header=BB6_5432 Depth=2
	s_or_b32 exec_lo, exec_lo, s25
	s_and_saveexec_b32 s24, s7
	s_cbranch_execz .LBB6_7134
.LBB6_7133:                             ;   in Loop: Header=BB6_5432 Depth=2
	v_bfe_u32 v47, v12, 16, 3
	v_bfe_u32 v59, v12, 19, 4
	s_delay_alu instid0(VALU_DEP_2) | instskip(NEXT) | instid1(VALU_DEP_2)
	v_clz_i32_u32_e32 v57, v47
	v_cmp_eq_u32_e32 vcc_lo, 0, v59
	s_delay_alu instid0(VALU_DEP_2) | instskip(NEXT) | instid1(VALU_DEP_1)
	v_min_u32_e32 v57, 32, v57
	v_subrev_nc_u32_e32 v58, 28, v57
	v_sub_nc_u32_e32 v57, 29, v57
	s_delay_alu instid0(VALU_DEP_1) | instskip(SKIP_1) | instid1(VALU_DEP_2)
	v_dual_cndmask_b32 v57, v59, v57 :: v_dual_lshlrev_b32 v58, v58, v46
	v_lshlrev_b32_e32 v46, 24, v46
	v_and_b32_e32 v58, 7, v58
	s_delay_alu instid0(VALU_DEP_3) | instskip(NEXT) | instid1(VALU_DEP_3)
	v_lshl_add_u32 v57, v57, 23, 0x3b800000
	v_and_b32_e32 v46, 0x80000000, v46
	s_delay_alu instid0(VALU_DEP_3) | instskip(NEXT) | instid1(VALU_DEP_1)
	v_cndmask_b32_e32 v47, v47, v58, vcc_lo
	v_lshlrev_b32_e32 v47, 20, v47
	s_delay_alu instid0(VALU_DEP_1)
	v_or3_b32 v47, v46, v57, v47
.LBB6_7134:                             ;   in Loop: Header=BB6_5432 Depth=2
	s_or_b32 exec_lo, exec_lo, s24
	s_delay_alu instid0(VALU_DEP_1) | instskip(NEXT) | instid1(VALU_DEP_1)
	v_dual_max_f32 v46, v47, v47 :: v_dual_max_f32 v47, v56, v56
	v_min_f32_e32 v56, v47, v46
.LBB6_7135:                             ;   in Loop: Header=BB6_5432 Depth=2
	s_delay_alu instid0(VALU_DEP_1) | instskip(NEXT) | instid1(VALU_DEP_1)
	v_and_b32_e32 v46, 0x7f800000, v56
	v_cmp_ne_u32_e32 vcc_lo, 0x7f800000, v46
	v_mov_b32_e32 v46, 0x80
	s_and_saveexec_b32 s24, vcc_lo
	s_cbranch_execz .LBB6_7143
; %bb.7136:                             ;   in Loop: Header=BB6_5432 Depth=2
	v_mov_b32_e32 v46, 0
	s_mov_b32 s25, exec_lo
	v_cmpx_ne_u32_e32 0, v56
	s_cbranch_execz .LBB6_7142
; %bb.7137:                             ;   in Loop: Header=BB6_5432 Depth=2
	v_bfe_u32 v46, v56, 23, 8
	v_and_b32_e32 v47, 0x7fffff, v56
	s_delay_alu instid0(VALU_DEP_2) | instskip(SKIP_1) | instid1(VALU_DEP_3)
	v_sub_nc_u32_e32 v57, 0x78, v46
	v_cmp_gt_u32_e32 vcc_lo, 0x79, v46
	v_or_b32_e32 v58, 0x800000, v47
	s_delay_alu instid0(VALU_DEP_3) | instskip(SKIP_2) | instid1(VALU_DEP_3)
	v_cndmask_b32_e32 v57, 0, v57, vcc_lo
	v_cmp_eq_u32_e32 vcc_lo, 0, v46
	v_add_nc_u32_e32 v46, 0xffffff89, v46
	v_cndmask_b32_e64 v57, v57, 0x77, vcc_lo
	v_cndmask_b32_e32 v47, v58, v47, vcc_lo
	s_delay_alu instid0(VALU_DEP_3) | instskip(NEXT) | instid1(VALU_DEP_3)
	v_cndmask_b32_e64 v46, v46, 0xffffff8a, vcc_lo
	v_lshl_add_u32 v58, 0x100000, v57, -1
	s_delay_alu instid0(VALU_DEP_3) | instskip(SKIP_1) | instid1(VALU_DEP_4)
	v_lshrrev_b32_e32 v59, v57, v47
	v_lshlrev_b32_e64 v61, v57, 0x80000
	v_add_nc_u32_e32 v57, v57, v46
	s_delay_alu instid0(VALU_DEP_4) | instskip(NEXT) | instid1(VALU_DEP_4)
	v_and_b32_e32 v47, v58, v47
	v_bfe_u32 v60, v59, 20, 1
	s_delay_alu instid0(VALU_DEP_2) | instskip(NEXT) | instid1(VALU_DEP_2)
	v_cmp_eq_u32_e64 s7, v47, v61
	v_add_nc_u32_e32 v58, -1, v60
	s_delay_alu instid0(VALU_DEP_1) | instskip(SKIP_2) | instid1(VALU_DEP_2)
	v_cndmask_b32_e64 v47, 0, v58, s7
	v_lshrrev_b32_e32 v58, 23, v59
	s_mov_b32 s7, exec_lo
	v_add_nc_u32_e32 v47, v47, v59
	s_delay_alu instid0(VALU_DEP_2) | instskip(NEXT) | instid1(VALU_DEP_2)
	v_xor_b32_e32 v58, 1, v58
	v_and_b32_e32 v46, 0xfffff, v47
	s_delay_alu instid0(VALU_DEP_1) | instskip(NEXT) | instid1(VALU_DEP_3)
	v_add_nc_u32_e32 v47, v46, v59
                                        ; implicit-def: $vgpr46
	v_cmpx_ne_u32_e64 v57, v58
	s_xor_b32 s7, exec_lo, s7
; %bb.7138:                             ;   in Loop: Header=BB6_5432 Depth=2
	s_delay_alu instid0(VALU_DEP_2) | instskip(SKIP_2) | instid1(VALU_DEP_2)
	v_cmp_lt_u32_e32 vcc_lo, 0xffffff, v47
	v_sub_nc_u32_e32 v46, v57, v58
	v_cndmask_b32_e64 v57, 0, 1, vcc_lo
	v_add_co_ci_u32_e32 v46, vcc_lo, 0, v46, vcc_lo
	s_delay_alu instid0(VALU_DEP_2)
	v_lshrrev_b32_e32 v47, v57, v47
; %bb.7139:                             ;   in Loop: Header=BB6_5432 Depth=2
	s_and_not1_saveexec_b32 s7, s7
; %bb.7140:                             ;   in Loop: Header=BB6_5432 Depth=2
	s_delay_alu instid0(VALU_DEP_1)
	v_bfe_u32 v46, v47, 23, 1
; %bb.7141:                             ;   in Loop: Header=BB6_5432 Depth=2
	s_or_b32 exec_lo, exec_lo, s7
	v_lshrrev_b32_e32 v47, 20, v47
	s_delay_alu instid0(VALU_DEP_2) | instskip(SKIP_2) | instid1(VALU_DEP_2)
	v_cmp_gt_i32_e32 vcc_lo, 16, v46
	v_lshrrev_b32_e32 v56, 24, v56
	v_min_i32_e32 v57, 15, v46
	v_dual_cndmask_b32 v47, 7, v47 :: v_dual_and_b32 v56, 0x80, v56
	s_delay_alu instid0(VALU_DEP_1) | instskip(SKIP_1) | instid1(VALU_DEP_2)
	v_or_b32_e32 v46, v46, v47
	v_and_b32_e32 v58, 7, v47
	v_cmp_ne_u32_e32 vcc_lo, 0, v46
	v_lshlrev_b32_e32 v57, 3, v57
	s_delay_alu instid0(VALU_DEP_1) | instskip(NEXT) | instid1(VALU_DEP_1)
	v_or3_b32 v47, v57, v56, v58
	v_cndmask_b32_e32 v46, 0, v47, vcc_lo
.LBB6_7142:                             ;   in Loop: Header=BB6_5432 Depth=2
	s_or_b32 exec_lo, exec_lo, s25
.LBB6_7143:                             ;   in Loop: Header=BB6_5432 Depth=2
	s_delay_alu instid0(SALU_CYCLE_1)
	s_or_b32 exec_lo, exec_lo, s24
	v_lshrrev_b32_e32 v56, 24, v16
	v_lshrrev_b32_e32 v47, 24, v12
	s_and_not1_b32 vcc_lo, exec_lo, s23
	s_cbranch_vccnz .LBB6_7153
; %bb.7144:                             ;   in Loop: Header=BB6_5432 Depth=2
	s_mov_b32 s7, 0
	s_mov_b32 s25, exec_lo
                                        ; implicit-def: $sgpr24
	v_cmpx_lt_i16_e32 0x7f, v56
	s_xor_b32 s25, exec_lo, s25
	s_cbranch_execnz .LBB6_8230
; %bb.7145:                             ;   in Loop: Header=BB6_5432 Depth=2
	s_or_saveexec_b32 s25, s25
	v_mov_b32_e32 v57, s24
	s_xor_b32 exec_lo, exec_lo, s25
	s_cbranch_execnz .LBB6_8233
.LBB6_7146:                             ;   in Loop: Header=BB6_5432 Depth=2
	s_or_b32 exec_lo, exec_lo, s25
	s_and_saveexec_b32 s24, s7
	s_cbranch_execz .LBB6_7148
.LBB6_7147:                             ;   in Loop: Header=BB6_5432 Depth=2
	v_bfe_u32 v57, v16, 24, 3
	v_bfe_u32 v60, v16, 27, 4
	s_delay_alu instid0(VALU_DEP_2) | instskip(NEXT) | instid1(VALU_DEP_2)
	v_clz_i32_u32_e32 v58, v57
	v_cmp_eq_u32_e32 vcc_lo, 0, v60
	s_delay_alu instid0(VALU_DEP_2) | instskip(NEXT) | instid1(VALU_DEP_1)
	v_min_u32_e32 v58, 32, v58
	v_subrev_nc_u32_e32 v59, 28, v58
	v_sub_nc_u32_e32 v58, 29, v58
	s_delay_alu instid0(VALU_DEP_1) | instskip(NEXT) | instid1(VALU_DEP_1)
	v_dual_cndmask_b32 v58, v60, v58 :: v_dual_lshlrev_b32 v59, v59, v56
	v_and_b32_e32 v59, 7, v59
	s_delay_alu instid0(VALU_DEP_2) | instskip(NEXT) | instid1(VALU_DEP_2)
	v_lshl_add_u32 v58, v58, 23, 0x3b800000
	v_cndmask_b32_e32 v57, v57, v59, vcc_lo
	v_and_b32_e32 v59, 0x80000000, v16
	s_delay_alu instid0(VALU_DEP_2) | instskip(NEXT) | instid1(VALU_DEP_1)
	v_lshlrev_b32_e32 v57, 20, v57
	v_or3_b32 v57, v59, v58, v57
.LBB6_7148:                             ;   in Loop: Header=BB6_5432 Depth=2
	s_or_b32 exec_lo, exec_lo, s24
	s_mov_b32 s7, 0
	s_mov_b32 s25, exec_lo
                                        ; implicit-def: $sgpr24
	v_cmpx_lt_i16_e32 0x7f, v47
	s_xor_b32 s25, exec_lo, s25
	s_cbranch_execnz .LBB6_8234
; %bb.7149:                             ;   in Loop: Header=BB6_5432 Depth=2
	s_or_saveexec_b32 s25, s25
	v_mov_b32_e32 v58, s24
	s_xor_b32 exec_lo, exec_lo, s25
	s_cbranch_execnz .LBB6_8237
.LBB6_7150:                             ;   in Loop: Header=BB6_5432 Depth=2
	s_or_b32 exec_lo, exec_lo, s25
	s_and_saveexec_b32 s24, s7
	s_cbranch_execz .LBB6_7152
.LBB6_7151:                             ;   in Loop: Header=BB6_5432 Depth=2
	v_bfe_u32 v58, v12, 24, 3
	v_bfe_u32 v61, v12, 27, 4
	s_delay_alu instid0(VALU_DEP_2) | instskip(NEXT) | instid1(VALU_DEP_2)
	v_clz_i32_u32_e32 v59, v58
	v_cmp_eq_u32_e32 vcc_lo, 0, v61
	s_delay_alu instid0(VALU_DEP_2) | instskip(NEXT) | instid1(VALU_DEP_1)
	v_min_u32_e32 v59, 32, v59
	v_subrev_nc_u32_e32 v60, 28, v59
	v_sub_nc_u32_e32 v59, 29, v59
	s_delay_alu instid0(VALU_DEP_2) | instskip(NEXT) | instid1(VALU_DEP_1)
	v_lshlrev_b32_e32 v60, v60, v47
	v_dual_cndmask_b32 v59, v61, v59 :: v_dual_and_b32 v60, 7, v60
	s_delay_alu instid0(VALU_DEP_1) | instskip(NEXT) | instid1(VALU_DEP_2)
	v_lshl_add_u32 v59, v59, 23, 0x3b800000
	v_cndmask_b32_e32 v58, v58, v60, vcc_lo
	v_and_b32_e32 v60, 0x80000000, v12
	s_delay_alu instid0(VALU_DEP_2) | instskip(NEXT) | instid1(VALU_DEP_1)
	v_lshlrev_b32_e32 v58, 20, v58
	v_or3_b32 v58, v60, v59, v58
.LBB6_7152:                             ;   in Loop: Header=BB6_5432 Depth=2
	s_or_b32 exec_lo, exec_lo, s24
	s_delay_alu instid0(VALU_DEP_1) | instskip(SKIP_1) | instid1(VALU_DEP_1)
	v_dual_max_f32 v58, v58, v58 :: v_dual_max_f32 v57, v57, v57
	s_mov_b32 s7, 0
	v_max_f32_e32 v57, v57, v58
	s_branch .LBB6_7154
.LBB6_7153:                             ;   in Loop: Header=BB6_5432 Depth=2
	s_mov_b32 s7, -1
                                        ; implicit-def: $vgpr57
.LBB6_7154:                             ;   in Loop: Header=BB6_5432 Depth=2
	s_delay_alu instid0(SALU_CYCLE_1)
	s_and_b32 vcc_lo, exec_lo, s7
	s_cbranch_vccz .LBB6_7164
; %bb.7155:                             ;   in Loop: Header=BB6_5432 Depth=2
	s_mov_b32 s7, 0
	s_mov_b32 s25, exec_lo
                                        ; implicit-def: $sgpr24
	v_cmpx_lt_i16_e32 0x7f, v56
	s_xor_b32 s25, exec_lo, s25
	s_cbranch_execnz .LBB6_8238
; %bb.7156:                             ;   in Loop: Header=BB6_5432 Depth=2
	s_or_saveexec_b32 s25, s25
	v_mov_b32_e32 v57, s24
	s_xor_b32 exec_lo, exec_lo, s25
	s_cbranch_execnz .LBB6_8241
.LBB6_7157:                             ;   in Loop: Header=BB6_5432 Depth=2
	s_or_b32 exec_lo, exec_lo, s25
	s_and_saveexec_b32 s24, s7
	s_cbranch_execz .LBB6_7159
.LBB6_7158:                             ;   in Loop: Header=BB6_5432 Depth=2
	v_bfe_u32 v57, v16, 24, 3
	s_delay_alu instid0(VALU_DEP_1) | instskip(NEXT) | instid1(VALU_DEP_1)
	v_clz_i32_u32_e32 v58, v57
	v_min_u32_e32 v58, 32, v58
	s_delay_alu instid0(VALU_DEP_1) | instskip(SKIP_1) | instid1(VALU_DEP_2)
	v_subrev_nc_u32_e32 v59, 28, v58
	v_sub_nc_u32_e32 v58, 29, v58
	v_lshlrev_b32_e32 v56, v59, v56
	v_bfe_u32 v59, v16, 27, 4
	v_and_b32_e32 v16, 0x80000000, v16
	s_delay_alu instid0(VALU_DEP_3) | instskip(NEXT) | instid1(VALU_DEP_3)
	v_and_b32_e32 v56, 7, v56
	v_cmp_eq_u32_e32 vcc_lo, 0, v59
	v_cndmask_b32_e32 v58, v59, v58, vcc_lo
	s_delay_alu instid0(VALU_DEP_3) | instskip(NEXT) | instid1(VALU_DEP_2)
	v_cndmask_b32_e32 v56, v57, v56, vcc_lo
	v_lshl_add_u32 v57, v58, 23, 0x3b800000
	s_delay_alu instid0(VALU_DEP_2) | instskip(NEXT) | instid1(VALU_DEP_1)
	v_lshlrev_b32_e32 v56, 20, v56
	v_or3_b32 v57, v16, v57, v56
.LBB6_7159:                             ;   in Loop: Header=BB6_5432 Depth=2
	s_or_b32 exec_lo, exec_lo, s24
	s_mov_b32 s7, 0
	s_mov_b32 s25, exec_lo
                                        ; implicit-def: $sgpr24
	v_cmpx_lt_i16_e32 0x7f, v47
	s_xor_b32 s25, exec_lo, s25
	s_cbranch_execnz .LBB6_8242
; %bb.7160:                             ;   in Loop: Header=BB6_5432 Depth=2
	s_or_saveexec_b32 s25, s25
	v_mov_b32_e32 v16, s24
	s_xor_b32 exec_lo, exec_lo, s25
	s_cbranch_execnz .LBB6_8245
.LBB6_7161:                             ;   in Loop: Header=BB6_5432 Depth=2
	s_or_b32 exec_lo, exec_lo, s25
	s_and_saveexec_b32 s24, s7
	s_cbranch_execz .LBB6_7163
.LBB6_7162:                             ;   in Loop: Header=BB6_5432 Depth=2
	v_bfe_u32 v16, v12, 24, 3
	s_delay_alu instid0(VALU_DEP_1) | instskip(NEXT) | instid1(VALU_DEP_1)
	v_clz_i32_u32_e32 v56, v16
	v_min_u32_e32 v56, 32, v56
	s_delay_alu instid0(VALU_DEP_1) | instskip(SKIP_1) | instid1(VALU_DEP_2)
	v_subrev_nc_u32_e32 v58, 28, v56
	v_sub_nc_u32_e32 v56, 29, v56
	v_lshlrev_b32_e32 v47, v58, v47
	v_bfe_u32 v58, v12, 27, 4
	v_and_b32_e32 v12, 0x80000000, v12
	s_delay_alu instid0(VALU_DEP_2) | instskip(NEXT) | instid1(VALU_DEP_4)
	v_cmp_eq_u32_e32 vcc_lo, 0, v58
	v_dual_cndmask_b32 v56, v58, v56 :: v_dual_and_b32 v47, 7, v47
	s_delay_alu instid0(VALU_DEP_1) | instskip(NEXT) | instid1(VALU_DEP_2)
	v_cndmask_b32_e32 v16, v16, v47, vcc_lo
	v_lshl_add_u32 v47, v56, 23, 0x3b800000
	s_delay_alu instid0(VALU_DEP_2) | instskip(NEXT) | instid1(VALU_DEP_1)
	v_lshlrev_b32_e32 v16, 20, v16
	v_or3_b32 v16, v12, v47, v16
.LBB6_7163:                             ;   in Loop: Header=BB6_5432 Depth=2
	s_or_b32 exec_lo, exec_lo, s24
	s_delay_alu instid0(VALU_DEP_1) | instskip(SKIP_1) | instid1(VALU_DEP_1)
	v_max_f32_e32 v12, v16, v16
	v_max_f32_e32 v16, v57, v57
	v_min_f32_e32 v57, v16, v12
.LBB6_7164:                             ;   in Loop: Header=BB6_5432 Depth=2
	s_delay_alu instid0(VALU_DEP_1) | instskip(NEXT) | instid1(VALU_DEP_1)
	v_and_b32_e32 v12, 0x7f800000, v57
	v_cmp_ne_u32_e32 vcc_lo, 0x7f800000, v12
	v_mov_b32_e32 v12, 0x80
	s_and_saveexec_b32 s24, vcc_lo
	s_cbranch_execz .LBB6_7172
; %bb.7165:                             ;   in Loop: Header=BB6_5432 Depth=2
	v_mov_b32_e32 v12, 0
	s_mov_b32 s25, exec_lo
	v_cmpx_ne_u32_e32 0, v57
	s_cbranch_execz .LBB6_7171
; %bb.7166:                             ;   in Loop: Header=BB6_5432 Depth=2
	v_bfe_u32 v12, v57, 23, 8
	s_delay_alu instid0(VALU_DEP_1) | instskip(SKIP_1) | instid1(VALU_DEP_2)
	v_sub_nc_u32_e32 v47, 0x78, v12
	v_cmp_gt_u32_e32 vcc_lo, 0x79, v12
	v_dual_cndmask_b32 v47, 0, v47 :: v_dual_and_b32 v16, 0x7fffff, v57
	s_delay_alu instid0(VALU_DEP_1) | instskip(SKIP_2) | instid1(VALU_DEP_4)
	v_or_b32_e32 v56, 0x800000, v16
	v_cmp_eq_u32_e32 vcc_lo, 0, v12
	v_add_nc_u32_e32 v12, 0xffffff89, v12
	v_cndmask_b32_e64 v47, v47, 0x77, vcc_lo
	s_delay_alu instid0(VALU_DEP_4) | instskip(NEXT) | instid1(VALU_DEP_3)
	v_cndmask_b32_e32 v16, v56, v16, vcc_lo
	v_cndmask_b32_e64 v12, v12, 0xffffff8a, vcc_lo
	s_delay_alu instid0(VALU_DEP_3) | instskip(NEXT) | instid1(VALU_DEP_3)
	v_lshl_add_u32 v56, 0x100000, v47, -1
	v_lshrrev_b32_e32 v58, v47, v16
	v_lshlrev_b32_e64 v60, v47, 0x80000
	s_delay_alu instid0(VALU_DEP_4) | instskip(NEXT) | instid1(VALU_DEP_4)
	v_add_nc_u32_e32 v47, v47, v12
	v_and_b32_e32 v16, v56, v16
	s_delay_alu instid0(VALU_DEP_4) | instskip(NEXT) | instid1(VALU_DEP_2)
	v_bfe_u32 v59, v58, 20, 1
	v_cmp_eq_u32_e64 s7, v16, v60
	s_delay_alu instid0(VALU_DEP_2) | instskip(NEXT) | instid1(VALU_DEP_1)
	v_add_nc_u32_e32 v56, -1, v59
	v_cndmask_b32_e64 v16, 0, v56, s7
	v_lshrrev_b32_e32 v56, 23, v58
	s_mov_b32 s7, exec_lo
	s_delay_alu instid0(VALU_DEP_2) | instskip(NEXT) | instid1(VALU_DEP_2)
	v_add_nc_u32_e32 v16, v16, v58
	v_xor_b32_e32 v56, 1, v56
	s_delay_alu instid0(VALU_DEP_2) | instskip(NEXT) | instid1(VALU_DEP_1)
	v_and_b32_e32 v12, 0xfffff, v16
	v_add_nc_u32_e32 v16, v12, v58
                                        ; implicit-def: $vgpr12
	s_delay_alu instid0(VALU_DEP_3)
	v_cmpx_ne_u32_e64 v47, v56
	s_xor_b32 s7, exec_lo, s7
; %bb.7167:                             ;   in Loop: Header=BB6_5432 Depth=2
	s_delay_alu instid0(VALU_DEP_2) | instskip(SKIP_2) | instid1(VALU_DEP_2)
	v_cmp_lt_u32_e32 vcc_lo, 0xffffff, v16
	v_sub_nc_u32_e32 v12, v47, v56
	v_cndmask_b32_e64 v47, 0, 1, vcc_lo
	v_add_co_ci_u32_e32 v12, vcc_lo, 0, v12, vcc_lo
	s_delay_alu instid0(VALU_DEP_2)
	v_lshrrev_b32_e32 v16, v47, v16
; %bb.7168:                             ;   in Loop: Header=BB6_5432 Depth=2
	s_and_not1_saveexec_b32 s7, s7
; %bb.7169:                             ;   in Loop: Header=BB6_5432 Depth=2
	s_delay_alu instid0(VALU_DEP_1)
	v_bfe_u32 v12, v16, 23, 1
; %bb.7170:                             ;   in Loop: Header=BB6_5432 Depth=2
	s_or_b32 exec_lo, exec_lo, s7
	v_lshrrev_b32_e32 v16, 20, v16
	s_delay_alu instid0(VALU_DEP_2) | instskip(SKIP_2) | instid1(VALU_DEP_2)
	v_cmp_gt_i32_e32 vcc_lo, 16, v12
	v_lshrrev_b32_e32 v47, 24, v57
	v_min_i32_e32 v56, 15, v12
	v_dual_cndmask_b32 v16, 7, v16 :: v_dual_and_b32 v47, 0x80, v47
	s_delay_alu instid0(VALU_DEP_2) | instskip(NEXT) | instid1(VALU_DEP_2)
	v_lshlrev_b32_e32 v56, 3, v56
	v_and_b32_e32 v57, 7, v16
	v_or_b32_e32 v12, v12, v16
	s_delay_alu instid0(VALU_DEP_2) | instskip(NEXT) | instid1(VALU_DEP_2)
	v_or3_b32 v16, v56, v47, v57
	v_cmp_ne_u32_e32 vcc_lo, 0, v12
	s_delay_alu instid0(VALU_DEP_2)
	v_cndmask_b32_e32 v12, 0, v16, vcc_lo
.LBB6_7171:                             ;   in Loop: Header=BB6_5432 Depth=2
	s_or_b32 exec_lo, exec_lo, s25
.LBB6_7172:                             ;   in Loop: Header=BB6_5432 Depth=2
	s_delay_alu instid0(SALU_CYCLE_1) | instskip(NEXT) | instid1(SALU_CYCLE_1)
	s_or_b32 exec_lo, exec_lo, s24
	s_and_not1_b32 vcc_lo, exec_lo, s23
	s_cbranch_vccnz .LBB6_7182
; %bb.7173:                             ;   in Loop: Header=BB6_5432 Depth=2
	v_and_b32_e32 v47, 0xff, v17
	s_mov_b32 s7, 0
	s_mov_b32 s25, exec_lo
                                        ; implicit-def: $sgpr24
	s_delay_alu instid0(VALU_DEP_1)
	v_cmpx_lt_i16_e32 0x7f, v47
	s_xor_b32 s25, exec_lo, s25
	s_cbranch_execnz .LBB6_8246
; %bb.7174:                             ;   in Loop: Header=BB6_5432 Depth=2
	s_or_saveexec_b32 s25, s25
	v_mov_b32_e32 v16, s24
	s_xor_b32 exec_lo, exec_lo, s25
	s_cbranch_execnz .LBB6_8249
.LBB6_7175:                             ;   in Loop: Header=BB6_5432 Depth=2
	s_or_b32 exec_lo, exec_lo, s25
	s_and_saveexec_b32 s24, s7
	s_cbranch_execz .LBB6_7177
.LBB6_7176:                             ;   in Loop: Header=BB6_5432 Depth=2
	v_bfe_u32 v57, v17, 3, 4
	v_lshlrev_b32_e32 v58, 24, v17
	s_delay_alu instid0(VALU_DEP_2) | instskip(SKIP_1) | instid1(VALU_DEP_1)
	v_cmp_eq_u32_e32 vcc_lo, 0, v57
	v_and_b32_e32 v16, 7, v17
	v_clz_i32_u32_e32 v47, v16
	s_delay_alu instid0(VALU_DEP_1) | instskip(NEXT) | instid1(VALU_DEP_1)
	v_min_u32_e32 v47, 32, v47
	v_subrev_nc_u32_e32 v56, 28, v47
	v_sub_nc_u32_e32 v47, 29, v47
	s_delay_alu instid0(VALU_DEP_1) | instskip(NEXT) | instid1(VALU_DEP_1)
	v_dual_cndmask_b32 v47, v57, v47 :: v_dual_lshlrev_b32 v56, v56, v17
	v_and_b32_e32 v56, 7, v56
	s_delay_alu instid0(VALU_DEP_2) | instskip(NEXT) | instid1(VALU_DEP_2)
	v_lshl_add_u32 v47, v47, 23, 0x3b800000
	v_cndmask_b32_e32 v16, v16, v56, vcc_lo
	v_and_b32_e32 v56, 0x80000000, v58
	s_delay_alu instid0(VALU_DEP_2) | instskip(NEXT) | instid1(VALU_DEP_1)
	v_lshlrev_b32_e32 v16, 20, v16
	v_or3_b32 v16, v56, v47, v16
.LBB6_7177:                             ;   in Loop: Header=BB6_5432 Depth=2
	s_or_b32 exec_lo, exec_lo, s24
	v_and_b32_e32 v56, 0xff, v13
	s_mov_b32 s7, 0
	s_mov_b32 s25, exec_lo
                                        ; implicit-def: $sgpr24
	s_delay_alu instid0(VALU_DEP_1)
	v_cmpx_lt_i16_e32 0x7f, v56
	s_xor_b32 s25, exec_lo, s25
	s_cbranch_execnz .LBB6_8250
; %bb.7178:                             ;   in Loop: Header=BB6_5432 Depth=2
	s_or_saveexec_b32 s25, s25
	v_mov_b32_e32 v47, s24
	s_xor_b32 exec_lo, exec_lo, s25
	s_cbranch_execnz .LBB6_8253
.LBB6_7179:                             ;   in Loop: Header=BB6_5432 Depth=2
	s_or_b32 exec_lo, exec_lo, s25
	s_and_saveexec_b32 s24, s7
	s_cbranch_execz .LBB6_7181
.LBB6_7180:                             ;   in Loop: Header=BB6_5432 Depth=2
	v_bfe_u32 v58, v13, 3, 4
	v_lshlrev_b32_e32 v59, 24, v13
	s_delay_alu instid0(VALU_DEP_2) | instskip(SKIP_1) | instid1(VALU_DEP_1)
	v_cmp_eq_u32_e32 vcc_lo, 0, v58
	v_and_b32_e32 v47, 7, v13
	v_clz_i32_u32_e32 v56, v47
	s_delay_alu instid0(VALU_DEP_1) | instskip(NEXT) | instid1(VALU_DEP_1)
	v_min_u32_e32 v56, 32, v56
	v_subrev_nc_u32_e32 v57, 28, v56
	v_sub_nc_u32_e32 v56, 29, v56
	s_delay_alu instid0(VALU_DEP_1) | instskip(NEXT) | instid1(VALU_DEP_1)
	v_dual_cndmask_b32 v56, v58, v56 :: v_dual_lshlrev_b32 v57, v57, v13
	v_and_b32_e32 v57, 7, v57
	s_delay_alu instid0(VALU_DEP_2) | instskip(NEXT) | instid1(VALU_DEP_2)
	v_lshl_add_u32 v56, v56, 23, 0x3b800000
	v_cndmask_b32_e32 v47, v47, v57, vcc_lo
	v_and_b32_e32 v57, 0x80000000, v59
	s_delay_alu instid0(VALU_DEP_2) | instskip(NEXT) | instid1(VALU_DEP_1)
	v_lshlrev_b32_e32 v47, 20, v47
	v_or3_b32 v47, v57, v56, v47
.LBB6_7181:                             ;   in Loop: Header=BB6_5432 Depth=2
	s_or_b32 exec_lo, exec_lo, s24
	s_delay_alu instid0(VALU_DEP_1) | instskip(SKIP_1) | instid1(VALU_DEP_1)
	v_dual_max_f32 v47, v47, v47 :: v_dual_max_f32 v16, v16, v16
	s_mov_b32 s7, 0
	v_max_f32_e32 v47, v16, v47
	s_branch .LBB6_7183
.LBB6_7182:                             ;   in Loop: Header=BB6_5432 Depth=2
	s_mov_b32 s7, -1
                                        ; implicit-def: $vgpr47
.LBB6_7183:                             ;   in Loop: Header=BB6_5432 Depth=2
	s_delay_alu instid0(SALU_CYCLE_1)
	s_and_b32 vcc_lo, exec_lo, s7
	s_cbranch_vccz .LBB6_7193
; %bb.7184:                             ;   in Loop: Header=BB6_5432 Depth=2
	v_and_b32_e32 v47, 0xff, v17
	s_mov_b32 s7, 0
	s_mov_b32 s25, exec_lo
                                        ; implicit-def: $sgpr24
	s_delay_alu instid0(VALU_DEP_1)
	v_cmpx_lt_i16_e32 0x7f, v47
	s_xor_b32 s25, exec_lo, s25
	s_cbranch_execnz .LBB6_8254
; %bb.7185:                             ;   in Loop: Header=BB6_5432 Depth=2
	s_or_saveexec_b32 s25, s25
	v_mov_b32_e32 v16, s24
	s_xor_b32 exec_lo, exec_lo, s25
	s_cbranch_execnz .LBB6_8257
.LBB6_7186:                             ;   in Loop: Header=BB6_5432 Depth=2
	s_or_b32 exec_lo, exec_lo, s25
	s_and_saveexec_b32 s24, s7
	s_cbranch_execz .LBB6_7188
.LBB6_7187:                             ;   in Loop: Header=BB6_5432 Depth=2
	v_bfe_u32 v57, v17, 3, 4
	v_lshlrev_b32_e32 v58, 24, v17
	s_delay_alu instid0(VALU_DEP_2) | instskip(SKIP_1) | instid1(VALU_DEP_1)
	v_cmp_eq_u32_e32 vcc_lo, 0, v57
	v_and_b32_e32 v16, 7, v17
	v_clz_i32_u32_e32 v47, v16
	s_delay_alu instid0(VALU_DEP_1) | instskip(NEXT) | instid1(VALU_DEP_1)
	v_min_u32_e32 v47, 32, v47
	v_subrev_nc_u32_e32 v56, 28, v47
	v_sub_nc_u32_e32 v47, 29, v47
	s_delay_alu instid0(VALU_DEP_1) | instskip(NEXT) | instid1(VALU_DEP_1)
	v_dual_cndmask_b32 v47, v57, v47 :: v_dual_lshlrev_b32 v56, v56, v17
	v_and_b32_e32 v56, 7, v56
	s_delay_alu instid0(VALU_DEP_2) | instskip(NEXT) | instid1(VALU_DEP_2)
	v_lshl_add_u32 v47, v47, 23, 0x3b800000
	v_cndmask_b32_e32 v16, v16, v56, vcc_lo
	v_and_b32_e32 v56, 0x80000000, v58
	s_delay_alu instid0(VALU_DEP_2) | instskip(NEXT) | instid1(VALU_DEP_1)
	v_lshlrev_b32_e32 v16, 20, v16
	v_or3_b32 v16, v56, v47, v16
.LBB6_7188:                             ;   in Loop: Header=BB6_5432 Depth=2
	s_or_b32 exec_lo, exec_lo, s24
	v_and_b32_e32 v56, 0xff, v13
	s_mov_b32 s7, 0
	s_mov_b32 s25, exec_lo
                                        ; implicit-def: $sgpr24
	s_delay_alu instid0(VALU_DEP_1)
	v_cmpx_lt_i16_e32 0x7f, v56
	s_xor_b32 s25, exec_lo, s25
	s_cbranch_execnz .LBB6_8258
; %bb.7189:                             ;   in Loop: Header=BB6_5432 Depth=2
	s_or_saveexec_b32 s25, s25
	v_mov_b32_e32 v47, s24
	s_xor_b32 exec_lo, exec_lo, s25
	s_cbranch_execnz .LBB6_8261
.LBB6_7190:                             ;   in Loop: Header=BB6_5432 Depth=2
	s_or_b32 exec_lo, exec_lo, s25
	s_and_saveexec_b32 s24, s7
	s_cbranch_execz .LBB6_7192
.LBB6_7191:                             ;   in Loop: Header=BB6_5432 Depth=2
	v_bfe_u32 v58, v13, 3, 4
	v_lshlrev_b32_e32 v59, 24, v13
	s_delay_alu instid0(VALU_DEP_2) | instskip(SKIP_1) | instid1(VALU_DEP_1)
	v_cmp_eq_u32_e32 vcc_lo, 0, v58
	v_and_b32_e32 v47, 7, v13
	v_clz_i32_u32_e32 v56, v47
	s_delay_alu instid0(VALU_DEP_1) | instskip(NEXT) | instid1(VALU_DEP_1)
	v_min_u32_e32 v56, 32, v56
	v_subrev_nc_u32_e32 v57, 28, v56
	v_sub_nc_u32_e32 v56, 29, v56
	s_delay_alu instid0(VALU_DEP_1) | instskip(NEXT) | instid1(VALU_DEP_1)
	v_dual_cndmask_b32 v56, v58, v56 :: v_dual_lshlrev_b32 v57, v57, v13
	v_and_b32_e32 v57, 7, v57
	s_delay_alu instid0(VALU_DEP_2) | instskip(NEXT) | instid1(VALU_DEP_2)
	v_lshl_add_u32 v56, v56, 23, 0x3b800000
	v_cndmask_b32_e32 v47, v47, v57, vcc_lo
	v_and_b32_e32 v57, 0x80000000, v59
	s_delay_alu instid0(VALU_DEP_2) | instskip(NEXT) | instid1(VALU_DEP_1)
	v_lshlrev_b32_e32 v47, 20, v47
	v_or3_b32 v47, v57, v56, v47
.LBB6_7192:                             ;   in Loop: Header=BB6_5432 Depth=2
	s_or_b32 exec_lo, exec_lo, s24
	s_delay_alu instid0(VALU_DEP_1) | instskip(NEXT) | instid1(VALU_DEP_1)
	v_dual_max_f32 v47, v47, v47 :: v_dual_max_f32 v16, v16, v16
	v_min_f32_e32 v47, v16, v47
.LBB6_7193:                             ;   in Loop: Header=BB6_5432 Depth=2
	s_delay_alu instid0(VALU_DEP_1) | instskip(NEXT) | instid1(VALU_DEP_1)
	v_and_b32_e32 v16, 0x7f800000, v47
	v_cmp_ne_u32_e32 vcc_lo, 0x7f800000, v16
	v_mov_b32_e32 v16, 0x80
	s_and_saveexec_b32 s24, vcc_lo
	s_cbranch_execz .LBB6_7201
; %bb.7194:                             ;   in Loop: Header=BB6_5432 Depth=2
	v_mov_b32_e32 v16, 0
	s_mov_b32 s25, exec_lo
	v_cmpx_ne_u32_e32 0, v47
	s_cbranch_execz .LBB6_7200
; %bb.7195:                             ;   in Loop: Header=BB6_5432 Depth=2
	v_bfe_u32 v16, v47, 23, 8
	s_delay_alu instid0(VALU_DEP_1) | instskip(SKIP_1) | instid1(VALU_DEP_2)
	v_sub_nc_u32_e32 v57, 0x78, v16
	v_cmp_gt_u32_e32 vcc_lo, 0x79, v16
	v_dual_cndmask_b32 v57, 0, v57 :: v_dual_and_b32 v56, 0x7fffff, v47
	s_delay_alu instid0(VALU_DEP_1) | instskip(SKIP_2) | instid1(VALU_DEP_4)
	v_or_b32_e32 v58, 0x800000, v56
	v_cmp_eq_u32_e32 vcc_lo, 0, v16
	v_add_nc_u32_e32 v16, 0xffffff89, v16
	v_cndmask_b32_e64 v57, v57, 0x77, vcc_lo
	s_delay_alu instid0(VALU_DEP_4) | instskip(NEXT) | instid1(VALU_DEP_3)
	v_cndmask_b32_e32 v56, v58, v56, vcc_lo
	v_cndmask_b32_e64 v16, v16, 0xffffff8a, vcc_lo
	s_delay_alu instid0(VALU_DEP_3) | instskip(NEXT) | instid1(VALU_DEP_3)
	v_lshl_add_u32 v58, 0x100000, v57, -1
	v_lshrrev_b32_e32 v59, v57, v56
	v_lshlrev_b32_e64 v61, v57, 0x80000
	s_delay_alu instid0(VALU_DEP_4) | instskip(NEXT) | instid1(VALU_DEP_4)
	v_add_nc_u32_e32 v57, v57, v16
	v_and_b32_e32 v56, v58, v56
	s_delay_alu instid0(VALU_DEP_4) | instskip(NEXT) | instid1(VALU_DEP_2)
	v_bfe_u32 v60, v59, 20, 1
	v_cmp_eq_u32_e64 s7, v56, v61
	s_delay_alu instid0(VALU_DEP_2) | instskip(NEXT) | instid1(VALU_DEP_1)
	v_add_nc_u32_e32 v58, -1, v60
	v_cndmask_b32_e64 v56, 0, v58, s7
	v_lshrrev_b32_e32 v58, 23, v59
	s_mov_b32 s7, exec_lo
	s_delay_alu instid0(VALU_DEP_2) | instskip(NEXT) | instid1(VALU_DEP_2)
	v_add_nc_u32_e32 v56, v56, v59
	v_xor_b32_e32 v58, 1, v58
	s_delay_alu instid0(VALU_DEP_2) | instskip(NEXT) | instid1(VALU_DEP_1)
	v_and_b32_e32 v16, 0xfffff, v56
	v_add_nc_u32_e32 v56, v16, v59
                                        ; implicit-def: $vgpr16
	s_delay_alu instid0(VALU_DEP_3)
	v_cmpx_ne_u32_e64 v57, v58
	s_xor_b32 s7, exec_lo, s7
; %bb.7196:                             ;   in Loop: Header=BB6_5432 Depth=2
	s_delay_alu instid0(VALU_DEP_2) | instskip(SKIP_2) | instid1(VALU_DEP_2)
	v_cmp_lt_u32_e32 vcc_lo, 0xffffff, v56
	v_sub_nc_u32_e32 v16, v57, v58
	v_cndmask_b32_e64 v57, 0, 1, vcc_lo
	v_add_co_ci_u32_e32 v16, vcc_lo, 0, v16, vcc_lo
	s_delay_alu instid0(VALU_DEP_2)
	v_lshrrev_b32_e32 v56, v57, v56
; %bb.7197:                             ;   in Loop: Header=BB6_5432 Depth=2
	s_and_not1_saveexec_b32 s7, s7
; %bb.7198:                             ;   in Loop: Header=BB6_5432 Depth=2
	s_delay_alu instid0(VALU_DEP_1)
	v_bfe_u32 v16, v56, 23, 1
; %bb.7199:                             ;   in Loop: Header=BB6_5432 Depth=2
	s_or_b32 exec_lo, exec_lo, s7
	v_lshrrev_b32_e32 v56, 20, v56
	s_delay_alu instid0(VALU_DEP_2) | instskip(SKIP_2) | instid1(VALU_DEP_2)
	v_cmp_gt_i32_e32 vcc_lo, 16, v16
	v_lshrrev_b32_e32 v47, 24, v47
	v_min_i32_e32 v57, 15, v16
	v_dual_cndmask_b32 v56, 7, v56 :: v_dual_and_b32 v47, 0x80, v47
	s_delay_alu instid0(VALU_DEP_1) | instskip(SKIP_1) | instid1(VALU_DEP_2)
	v_or_b32_e32 v16, v16, v56
	v_and_b32_e32 v58, 7, v56
	v_cmp_ne_u32_e32 vcc_lo, 0, v16
	v_lshlrev_b32_e32 v57, 3, v57
	s_delay_alu instid0(VALU_DEP_1) | instskip(NEXT) | instid1(VALU_DEP_1)
	v_or3_b32 v47, v57, v47, v58
	v_cndmask_b32_e32 v16, 0, v47, vcc_lo
.LBB6_7200:                             ;   in Loop: Header=BB6_5432 Depth=2
	s_or_b32 exec_lo, exec_lo, s25
.LBB6_7201:                             ;   in Loop: Header=BB6_5432 Depth=2
	s_delay_alu instid0(SALU_CYCLE_1)
	s_or_b32 exec_lo, exec_lo, s24
	v_lshrrev_b16 v56, 8, v17
	v_lshrrev_b16 v47, 8, v13
	s_and_not1_b32 vcc_lo, exec_lo, s23
	s_cbranch_vccnz .LBB6_7211
; %bb.7202:                             ;   in Loop: Header=BB6_5432 Depth=2
	s_mov_b32 s7, 0
	s_mov_b32 s25, exec_lo
                                        ; implicit-def: $sgpr24
	v_cmpx_lt_i16_e32 0x7f, v56
	s_xor_b32 s25, exec_lo, s25
	s_cbranch_execnz .LBB6_8262
; %bb.7203:                             ;   in Loop: Header=BB6_5432 Depth=2
	s_or_saveexec_b32 s25, s25
	v_mov_b32_e32 v57, s24
	s_xor_b32 exec_lo, exec_lo, s25
	s_cbranch_execnz .LBB6_8265
.LBB6_7204:                             ;   in Loop: Header=BB6_5432 Depth=2
	s_or_b32 exec_lo, exec_lo, s25
	s_and_saveexec_b32 s24, s7
	s_cbranch_execz .LBB6_7206
.LBB6_7205:                             ;   in Loop: Header=BB6_5432 Depth=2
	v_and_b32_e32 v57, 0xffff, v56
	s_delay_alu instid0(VALU_DEP_1) | instskip(NEXT) | instid1(VALU_DEP_1)
	v_and_b32_e32 v58, 7, v57
	v_clz_i32_u32_e32 v59, v58
	s_delay_alu instid0(VALU_DEP_1) | instskip(NEXT) | instid1(VALU_DEP_1)
	v_min_u32_e32 v59, 32, v59
	v_subrev_nc_u32_e32 v60, 28, v59
	v_sub_nc_u32_e32 v59, 29, v59
	s_delay_alu instid0(VALU_DEP_2) | instskip(SKIP_1) | instid1(VALU_DEP_2)
	v_lshlrev_b32_e32 v60, v60, v57
	v_bfe_u32 v57, v57, 3, 4
	v_and_b32_e32 v60, 7, v60
	s_delay_alu instid0(VALU_DEP_2) | instskip(SKIP_1) | instid1(VALU_DEP_3)
	v_cmp_eq_u32_e32 vcc_lo, 0, v57
	v_cndmask_b32_e32 v57, v57, v59, vcc_lo
	v_dual_cndmask_b32 v58, v58, v60 :: v_dual_lshlrev_b32 v61, 16, v17
	s_delay_alu instid0(VALU_DEP_2) | instskip(NEXT) | instid1(VALU_DEP_2)
	v_lshl_add_u32 v57, v57, 23, 0x3b800000
	v_and_b32_e32 v59, 0x80000000, v61
	s_delay_alu instid0(VALU_DEP_3) | instskip(NEXT) | instid1(VALU_DEP_1)
	v_lshlrev_b32_e32 v58, 20, v58
	v_or3_b32 v57, v59, v57, v58
.LBB6_7206:                             ;   in Loop: Header=BB6_5432 Depth=2
	s_or_b32 exec_lo, exec_lo, s24
	s_mov_b32 s7, 0
	s_mov_b32 s25, exec_lo
                                        ; implicit-def: $sgpr24
	v_cmpx_lt_i16_e32 0x7f, v47
	s_xor_b32 s25, exec_lo, s25
	s_cbranch_execnz .LBB6_8266
; %bb.7207:                             ;   in Loop: Header=BB6_5432 Depth=2
	s_or_saveexec_b32 s25, s25
	v_mov_b32_e32 v58, s24
	s_xor_b32 exec_lo, exec_lo, s25
	s_cbranch_execnz .LBB6_8269
.LBB6_7208:                             ;   in Loop: Header=BB6_5432 Depth=2
	s_or_b32 exec_lo, exec_lo, s25
	s_and_saveexec_b32 s24, s7
	s_cbranch_execz .LBB6_7210
.LBB6_7209:                             ;   in Loop: Header=BB6_5432 Depth=2
	v_and_b32_e32 v58, 0xffff, v47
	v_lshlrev_b32_e32 v62, 16, v13
	s_delay_alu instid0(VALU_DEP_2) | instskip(NEXT) | instid1(VALU_DEP_1)
	v_and_b32_e32 v59, 7, v58
	v_clz_i32_u32_e32 v60, v59
	s_delay_alu instid0(VALU_DEP_1) | instskip(NEXT) | instid1(VALU_DEP_1)
	v_min_u32_e32 v60, 32, v60
	v_subrev_nc_u32_e32 v61, 28, v60
	v_sub_nc_u32_e32 v60, 29, v60
	s_delay_alu instid0(VALU_DEP_2) | instskip(SKIP_1) | instid1(VALU_DEP_2)
	v_lshlrev_b32_e32 v61, v61, v58
	v_bfe_u32 v58, v58, 3, 4
	v_and_b32_e32 v61, 7, v61
	s_delay_alu instid0(VALU_DEP_2) | instskip(NEXT) | instid1(VALU_DEP_2)
	v_cmp_eq_u32_e32 vcc_lo, 0, v58
	v_dual_cndmask_b32 v58, v58, v60 :: v_dual_cndmask_b32 v59, v59, v61
	v_and_b32_e32 v60, 0x80000000, v62
	s_delay_alu instid0(VALU_DEP_2) | instskip(NEXT) | instid1(VALU_DEP_3)
	v_lshl_add_u32 v58, v58, 23, 0x3b800000
	v_lshlrev_b32_e32 v59, 20, v59
	s_delay_alu instid0(VALU_DEP_1)
	v_or3_b32 v58, v60, v58, v59
.LBB6_7210:                             ;   in Loop: Header=BB6_5432 Depth=2
	s_or_b32 exec_lo, exec_lo, s24
	s_delay_alu instid0(VALU_DEP_1) | instskip(SKIP_1) | instid1(VALU_DEP_1)
	v_dual_max_f32 v58, v58, v58 :: v_dual_max_f32 v57, v57, v57
	s_mov_b32 s7, 0
	v_max_f32_e32 v57, v57, v58
	s_branch .LBB6_7212
.LBB6_7211:                             ;   in Loop: Header=BB6_5432 Depth=2
	s_mov_b32 s7, -1
                                        ; implicit-def: $vgpr57
.LBB6_7212:                             ;   in Loop: Header=BB6_5432 Depth=2
	s_delay_alu instid0(SALU_CYCLE_1)
	s_and_b32 vcc_lo, exec_lo, s7
	s_cbranch_vccz .LBB6_7222
; %bb.7213:                             ;   in Loop: Header=BB6_5432 Depth=2
	s_mov_b32 s7, 0
	s_mov_b32 s25, exec_lo
                                        ; implicit-def: $sgpr24
	v_cmpx_lt_i16_e32 0x7f, v56
	s_xor_b32 s25, exec_lo, s25
	s_cbranch_execnz .LBB6_8270
; %bb.7214:                             ;   in Loop: Header=BB6_5432 Depth=2
	s_or_saveexec_b32 s25, s25
	v_mov_b32_e32 v57, s24
	s_xor_b32 exec_lo, exec_lo, s25
	s_cbranch_execnz .LBB6_8273
.LBB6_7215:                             ;   in Loop: Header=BB6_5432 Depth=2
	s_or_b32 exec_lo, exec_lo, s25
	s_and_saveexec_b32 s24, s7
	s_cbranch_execz .LBB6_7217
.LBB6_7216:                             ;   in Loop: Header=BB6_5432 Depth=2
	v_and_b32_e32 v56, 0xffff, v56
	v_lshlrev_b32_e32 v60, 16, v17
	s_delay_alu instid0(VALU_DEP_2) | instskip(NEXT) | instid1(VALU_DEP_1)
	v_and_b32_e32 v57, 7, v56
	v_clz_i32_u32_e32 v58, v57
	s_delay_alu instid0(VALU_DEP_1) | instskip(NEXT) | instid1(VALU_DEP_1)
	v_min_u32_e32 v58, 32, v58
	v_subrev_nc_u32_e32 v59, 28, v58
	v_sub_nc_u32_e32 v58, 29, v58
	s_delay_alu instid0(VALU_DEP_2) | instskip(SKIP_1) | instid1(VALU_DEP_2)
	v_lshlrev_b32_e32 v59, v59, v56
	v_bfe_u32 v56, v56, 3, 4
	v_and_b32_e32 v59, 7, v59
	s_delay_alu instid0(VALU_DEP_2) | instskip(NEXT) | instid1(VALU_DEP_2)
	v_cmp_eq_u32_e32 vcc_lo, 0, v56
	v_dual_cndmask_b32 v56, v56, v58 :: v_dual_cndmask_b32 v57, v57, v59
	v_and_b32_e32 v58, 0x80000000, v60
	s_delay_alu instid0(VALU_DEP_2) | instskip(NEXT) | instid1(VALU_DEP_3)
	v_lshl_add_u32 v56, v56, 23, 0x3b800000
	v_lshlrev_b32_e32 v57, 20, v57
	s_delay_alu instid0(VALU_DEP_1)
	v_or3_b32 v57, v58, v56, v57
.LBB6_7217:                             ;   in Loop: Header=BB6_5432 Depth=2
	s_or_b32 exec_lo, exec_lo, s24
	s_mov_b32 s7, 0
	s_mov_b32 s25, exec_lo
                                        ; implicit-def: $sgpr24
	v_cmpx_lt_i16_e32 0x7f, v47
	s_xor_b32 s25, exec_lo, s25
	s_cbranch_execnz .LBB6_8274
; %bb.7218:                             ;   in Loop: Header=BB6_5432 Depth=2
	s_or_saveexec_b32 s25, s25
	v_mov_b32_e32 v56, s24
	s_xor_b32 exec_lo, exec_lo, s25
	s_cbranch_execnz .LBB6_8277
.LBB6_7219:                             ;   in Loop: Header=BB6_5432 Depth=2
	s_or_b32 exec_lo, exec_lo, s25
	s_and_saveexec_b32 s24, s7
	s_cbranch_execz .LBB6_7221
.LBB6_7220:                             ;   in Loop: Header=BB6_5432 Depth=2
	v_and_b32_e32 v47, 0xffff, v47
	v_lshlrev_b32_e32 v60, 16, v13
	s_delay_alu instid0(VALU_DEP_2) | instskip(NEXT) | instid1(VALU_DEP_1)
	v_and_b32_e32 v56, 7, v47
	v_clz_i32_u32_e32 v58, v56
	s_delay_alu instid0(VALU_DEP_1) | instskip(NEXT) | instid1(VALU_DEP_1)
	v_min_u32_e32 v58, 32, v58
	v_subrev_nc_u32_e32 v59, 28, v58
	v_sub_nc_u32_e32 v58, 29, v58
	s_delay_alu instid0(VALU_DEP_2) | instskip(SKIP_1) | instid1(VALU_DEP_2)
	v_lshlrev_b32_e32 v59, v59, v47
	v_bfe_u32 v47, v47, 3, 4
	v_and_b32_e32 v59, 7, v59
	s_delay_alu instid0(VALU_DEP_2) | instskip(NEXT) | instid1(VALU_DEP_2)
	v_cmp_eq_u32_e32 vcc_lo, 0, v47
	v_dual_cndmask_b32 v47, v47, v58 :: v_dual_cndmask_b32 v56, v56, v59
	v_and_b32_e32 v58, 0x80000000, v60
	s_delay_alu instid0(VALU_DEP_2) | instskip(NEXT) | instid1(VALU_DEP_3)
	v_lshl_add_u32 v47, v47, 23, 0x3b800000
	v_lshlrev_b32_e32 v56, 20, v56
	s_delay_alu instid0(VALU_DEP_1)
	v_or3_b32 v56, v58, v47, v56
.LBB6_7221:                             ;   in Loop: Header=BB6_5432 Depth=2
	s_or_b32 exec_lo, exec_lo, s24
	s_delay_alu instid0(VALU_DEP_1) | instskip(NEXT) | instid1(VALU_DEP_1)
	v_dual_max_f32 v47, v56, v56 :: v_dual_max_f32 v56, v57, v57
	v_min_f32_e32 v57, v56, v47
.LBB6_7222:                             ;   in Loop: Header=BB6_5432 Depth=2
	s_delay_alu instid0(VALU_DEP_1) | instskip(NEXT) | instid1(VALU_DEP_1)
	v_and_b32_e32 v47, 0x7f800000, v57
	v_cmp_ne_u32_e32 vcc_lo, 0x7f800000, v47
	v_mov_b32_e32 v47, 0x80
	s_and_saveexec_b32 s24, vcc_lo
	s_cbranch_execz .LBB6_7230
; %bb.7223:                             ;   in Loop: Header=BB6_5432 Depth=2
	v_mov_b32_e32 v47, 0
	s_mov_b32 s25, exec_lo
	v_cmpx_ne_u32_e32 0, v57
	s_cbranch_execz .LBB6_7229
; %bb.7224:                             ;   in Loop: Header=BB6_5432 Depth=2
	v_bfe_u32 v47, v57, 23, 8
	v_and_b32_e32 v56, 0x7fffff, v57
	s_delay_alu instid0(VALU_DEP_2) | instskip(SKIP_1) | instid1(VALU_DEP_3)
	v_sub_nc_u32_e32 v58, 0x78, v47
	v_cmp_gt_u32_e32 vcc_lo, 0x79, v47
	v_or_b32_e32 v59, 0x800000, v56
	s_delay_alu instid0(VALU_DEP_3) | instskip(SKIP_2) | instid1(VALU_DEP_3)
	v_cndmask_b32_e32 v58, 0, v58, vcc_lo
	v_cmp_eq_u32_e32 vcc_lo, 0, v47
	v_add_nc_u32_e32 v47, 0xffffff89, v47
	v_cndmask_b32_e64 v58, v58, 0x77, vcc_lo
	v_cndmask_b32_e32 v56, v59, v56, vcc_lo
	s_delay_alu instid0(VALU_DEP_3) | instskip(NEXT) | instid1(VALU_DEP_3)
	v_cndmask_b32_e64 v47, v47, 0xffffff8a, vcc_lo
	v_lshl_add_u32 v59, 0x100000, v58, -1
	s_delay_alu instid0(VALU_DEP_3) | instskip(SKIP_1) | instid1(VALU_DEP_4)
	v_lshrrev_b32_e32 v60, v58, v56
	v_lshlrev_b32_e64 v62, v58, 0x80000
	v_add_nc_u32_e32 v58, v58, v47
	s_delay_alu instid0(VALU_DEP_4) | instskip(NEXT) | instid1(VALU_DEP_4)
	v_and_b32_e32 v56, v59, v56
	v_bfe_u32 v61, v60, 20, 1
	s_delay_alu instid0(VALU_DEP_2) | instskip(NEXT) | instid1(VALU_DEP_2)
	v_cmp_eq_u32_e64 s7, v56, v62
	v_add_nc_u32_e32 v59, -1, v61
	s_delay_alu instid0(VALU_DEP_1) | instskip(SKIP_2) | instid1(VALU_DEP_2)
	v_cndmask_b32_e64 v56, 0, v59, s7
	v_lshrrev_b32_e32 v59, 23, v60
	s_mov_b32 s7, exec_lo
	v_add_nc_u32_e32 v56, v56, v60
	s_delay_alu instid0(VALU_DEP_2) | instskip(NEXT) | instid1(VALU_DEP_2)
	v_xor_b32_e32 v59, 1, v59
	v_and_b32_e32 v47, 0xfffff, v56
	s_delay_alu instid0(VALU_DEP_1) | instskip(NEXT) | instid1(VALU_DEP_3)
	v_add_nc_u32_e32 v56, v47, v60
                                        ; implicit-def: $vgpr47
	v_cmpx_ne_u32_e64 v58, v59
	s_xor_b32 s7, exec_lo, s7
; %bb.7225:                             ;   in Loop: Header=BB6_5432 Depth=2
	s_delay_alu instid0(VALU_DEP_2) | instskip(SKIP_2) | instid1(VALU_DEP_2)
	v_cmp_lt_u32_e32 vcc_lo, 0xffffff, v56
	v_sub_nc_u32_e32 v47, v58, v59
	v_cndmask_b32_e64 v58, 0, 1, vcc_lo
	v_add_co_ci_u32_e32 v47, vcc_lo, 0, v47, vcc_lo
	s_delay_alu instid0(VALU_DEP_2)
	v_lshrrev_b32_e32 v56, v58, v56
; %bb.7226:                             ;   in Loop: Header=BB6_5432 Depth=2
	s_and_not1_saveexec_b32 s7, s7
; %bb.7227:                             ;   in Loop: Header=BB6_5432 Depth=2
	s_delay_alu instid0(VALU_DEP_1)
	v_bfe_u32 v47, v56, 23, 1
; %bb.7228:                             ;   in Loop: Header=BB6_5432 Depth=2
	s_or_b32 exec_lo, exec_lo, s7
	v_lshrrev_b32_e32 v56, 20, v56
	s_delay_alu instid0(VALU_DEP_2) | instskip(SKIP_2) | instid1(VALU_DEP_2)
	v_cmp_gt_i32_e32 vcc_lo, 16, v47
	v_lshrrev_b32_e32 v57, 24, v57
	v_min_i32_e32 v58, 15, v47
	v_dual_cndmask_b32 v56, 7, v56 :: v_dual_and_b32 v57, 0x80, v57
	s_delay_alu instid0(VALU_DEP_1) | instskip(SKIP_1) | instid1(VALU_DEP_2)
	v_or_b32_e32 v47, v47, v56
	v_and_b32_e32 v59, 7, v56
	v_cmp_ne_u32_e32 vcc_lo, 0, v47
	v_lshlrev_b32_e32 v58, 3, v58
	s_delay_alu instid0(VALU_DEP_1) | instskip(NEXT) | instid1(VALU_DEP_1)
	v_or3_b32 v56, v58, v57, v59
	v_cndmask_b32_e32 v47, 0, v56, vcc_lo
.LBB6_7229:                             ;   in Loop: Header=BB6_5432 Depth=2
	s_or_b32 exec_lo, exec_lo, s25
.LBB6_7230:                             ;   in Loop: Header=BB6_5432 Depth=2
	s_delay_alu instid0(SALU_CYCLE_1)
	s_or_b32 exec_lo, exec_lo, s24
	v_lshrrev_b32_e32 v57, 16, v17
	v_lshrrev_b32_e32 v56, 16, v13
	s_and_not1_b32 vcc_lo, exec_lo, s23
	s_cbranch_vccnz .LBB6_7240
; %bb.7231:                             ;   in Loop: Header=BB6_5432 Depth=2
	s_delay_alu instid0(VALU_DEP_2) | instskip(SKIP_2) | instid1(VALU_DEP_1)
	v_and_b32_e32 v59, 0xff, v57
	s_mov_b32 s7, 0
	s_mov_b32 s25, exec_lo
                                        ; implicit-def: $sgpr24
	v_cmpx_lt_i16_e32 0x7f, v59
	s_xor_b32 s25, exec_lo, s25
	s_cbranch_execnz .LBB6_8278
; %bb.7232:                             ;   in Loop: Header=BB6_5432 Depth=2
	s_or_saveexec_b32 s25, s25
	v_mov_b32_e32 v58, s24
	s_xor_b32 exec_lo, exec_lo, s25
	s_cbranch_execnz .LBB6_8281
.LBB6_7233:                             ;   in Loop: Header=BB6_5432 Depth=2
	s_or_b32 exec_lo, exec_lo, s25
	s_and_saveexec_b32 s24, s7
	s_cbranch_execz .LBB6_7235
.LBB6_7234:                             ;   in Loop: Header=BB6_5432 Depth=2
	v_bfe_u32 v58, v17, 16, 3
	v_bfe_u32 v61, v17, 19, 4
	v_lshlrev_b32_e32 v62, 24, v57
	s_delay_alu instid0(VALU_DEP_3) | instskip(NEXT) | instid1(VALU_DEP_3)
	v_clz_i32_u32_e32 v59, v58
	v_cmp_eq_u32_e32 vcc_lo, 0, v61
	s_delay_alu instid0(VALU_DEP_2) | instskip(NEXT) | instid1(VALU_DEP_1)
	v_min_u32_e32 v59, 32, v59
	v_subrev_nc_u32_e32 v60, 28, v59
	v_sub_nc_u32_e32 v59, 29, v59
	s_delay_alu instid0(VALU_DEP_1) | instskip(NEXT) | instid1(VALU_DEP_1)
	v_dual_cndmask_b32 v59, v61, v59 :: v_dual_lshlrev_b32 v60, v60, v57
	v_and_b32_e32 v60, 7, v60
	s_delay_alu instid0(VALU_DEP_2) | instskip(NEXT) | instid1(VALU_DEP_2)
	v_lshl_add_u32 v59, v59, 23, 0x3b800000
	v_cndmask_b32_e32 v58, v58, v60, vcc_lo
	v_and_b32_e32 v60, 0x80000000, v62
	s_delay_alu instid0(VALU_DEP_2) | instskip(NEXT) | instid1(VALU_DEP_1)
	v_lshlrev_b32_e32 v58, 20, v58
	v_or3_b32 v58, v60, v59, v58
.LBB6_7235:                             ;   in Loop: Header=BB6_5432 Depth=2
	s_or_b32 exec_lo, exec_lo, s24
	v_and_b32_e32 v60, 0xff, v56
	s_mov_b32 s7, 0
	s_mov_b32 s25, exec_lo
                                        ; implicit-def: $sgpr24
	s_delay_alu instid0(VALU_DEP_1)
	v_cmpx_lt_i16_e32 0x7f, v60
	s_xor_b32 s25, exec_lo, s25
	s_cbranch_execnz .LBB6_8282
; %bb.7236:                             ;   in Loop: Header=BB6_5432 Depth=2
	s_or_saveexec_b32 s25, s25
	v_mov_b32_e32 v59, s24
	s_xor_b32 exec_lo, exec_lo, s25
	s_cbranch_execnz .LBB6_8285
.LBB6_7237:                             ;   in Loop: Header=BB6_5432 Depth=2
	s_or_b32 exec_lo, exec_lo, s25
	s_and_saveexec_b32 s24, s7
	s_cbranch_execz .LBB6_7239
.LBB6_7238:                             ;   in Loop: Header=BB6_5432 Depth=2
	v_bfe_u32 v59, v13, 16, 3
	v_bfe_u32 v62, v13, 19, 4
	v_lshlrev_b32_e32 v63, 24, v56
	s_delay_alu instid0(VALU_DEP_3) | instskip(NEXT) | instid1(VALU_DEP_3)
	v_clz_i32_u32_e32 v60, v59
	v_cmp_eq_u32_e32 vcc_lo, 0, v62
	s_delay_alu instid0(VALU_DEP_2) | instskip(NEXT) | instid1(VALU_DEP_1)
	v_min_u32_e32 v60, 32, v60
	v_subrev_nc_u32_e32 v61, 28, v60
	v_sub_nc_u32_e32 v60, 29, v60
	s_delay_alu instid0(VALU_DEP_2) | instskip(NEXT) | instid1(VALU_DEP_1)
	v_lshlrev_b32_e32 v61, v61, v56
	v_dual_cndmask_b32 v60, v62, v60 :: v_dual_and_b32 v61, 7, v61
	s_delay_alu instid0(VALU_DEP_1) | instskip(NEXT) | instid1(VALU_DEP_2)
	v_lshl_add_u32 v60, v60, 23, 0x3b800000
	v_cndmask_b32_e32 v59, v59, v61, vcc_lo
	v_and_b32_e32 v61, 0x80000000, v63
	s_delay_alu instid0(VALU_DEP_2) | instskip(NEXT) | instid1(VALU_DEP_1)
	v_lshlrev_b32_e32 v59, 20, v59
	v_or3_b32 v59, v61, v60, v59
.LBB6_7239:                             ;   in Loop: Header=BB6_5432 Depth=2
	s_or_b32 exec_lo, exec_lo, s24
	s_delay_alu instid0(VALU_DEP_1) | instskip(SKIP_1) | instid1(VALU_DEP_1)
	v_dual_max_f32 v59, v59, v59 :: v_dual_max_f32 v58, v58, v58
	s_mov_b32 s7, 0
	v_max_f32_e32 v58, v58, v59
	s_branch .LBB6_7241
.LBB6_7240:                             ;   in Loop: Header=BB6_5432 Depth=2
	s_mov_b32 s7, -1
                                        ; implicit-def: $vgpr58
.LBB6_7241:                             ;   in Loop: Header=BB6_5432 Depth=2
	s_delay_alu instid0(SALU_CYCLE_1)
	s_and_b32 vcc_lo, exec_lo, s7
	s_cbranch_vccz .LBB6_7251
; %bb.7242:                             ;   in Loop: Header=BB6_5432 Depth=2
	v_and_b32_e32 v59, 0xff, v57
	s_mov_b32 s7, 0
	s_mov_b32 s25, exec_lo
                                        ; implicit-def: $sgpr24
	s_delay_alu instid0(VALU_DEP_1)
	v_cmpx_lt_i16_e32 0x7f, v59
	s_xor_b32 s25, exec_lo, s25
	s_cbranch_execnz .LBB6_8286
; %bb.7243:                             ;   in Loop: Header=BB6_5432 Depth=2
	s_or_saveexec_b32 s25, s25
	v_mov_b32_e32 v58, s24
	s_xor_b32 exec_lo, exec_lo, s25
	s_cbranch_execnz .LBB6_8289
.LBB6_7244:                             ;   in Loop: Header=BB6_5432 Depth=2
	s_or_b32 exec_lo, exec_lo, s25
	s_and_saveexec_b32 s24, s7
	s_cbranch_execz .LBB6_7246
.LBB6_7245:                             ;   in Loop: Header=BB6_5432 Depth=2
	v_bfe_u32 v58, v17, 16, 3
	v_bfe_u32 v61, v17, 19, 4
	s_delay_alu instid0(VALU_DEP_2) | instskip(NEXT) | instid1(VALU_DEP_2)
	v_clz_i32_u32_e32 v59, v58
	v_cmp_eq_u32_e32 vcc_lo, 0, v61
	s_delay_alu instid0(VALU_DEP_2) | instskip(NEXT) | instid1(VALU_DEP_1)
	v_min_u32_e32 v59, 32, v59
	v_subrev_nc_u32_e32 v60, 28, v59
	v_sub_nc_u32_e32 v59, 29, v59
	s_delay_alu instid0(VALU_DEP_1) | instskip(NEXT) | instid1(VALU_DEP_1)
	v_dual_cndmask_b32 v59, v61, v59 :: v_dual_lshlrev_b32 v60, v60, v57
	v_and_b32_e32 v60, 7, v60
	v_lshlrev_b32_e32 v57, 24, v57
	s_delay_alu instid0(VALU_DEP_3) | instskip(NEXT) | instid1(VALU_DEP_2)
	v_lshl_add_u32 v59, v59, 23, 0x3b800000
	v_dual_cndmask_b32 v58, v58, v60 :: v_dual_and_b32 v57, 0x80000000, v57
	s_delay_alu instid0(VALU_DEP_1) | instskip(NEXT) | instid1(VALU_DEP_1)
	v_lshlrev_b32_e32 v58, 20, v58
	v_or3_b32 v58, v57, v59, v58
.LBB6_7246:                             ;   in Loop: Header=BB6_5432 Depth=2
	s_or_b32 exec_lo, exec_lo, s24
	v_and_b32_e32 v59, 0xff, v56
	s_mov_b32 s7, 0
	s_mov_b32 s25, exec_lo
                                        ; implicit-def: $sgpr24
	s_delay_alu instid0(VALU_DEP_1)
	v_cmpx_lt_i16_e32 0x7f, v59
	s_xor_b32 s25, exec_lo, s25
	s_cbranch_execnz .LBB6_8290
; %bb.7247:                             ;   in Loop: Header=BB6_5432 Depth=2
	s_or_saveexec_b32 s25, s25
	v_mov_b32_e32 v57, s24
	s_xor_b32 exec_lo, exec_lo, s25
	s_cbranch_execnz .LBB6_8293
.LBB6_7248:                             ;   in Loop: Header=BB6_5432 Depth=2
	s_or_b32 exec_lo, exec_lo, s25
	s_and_saveexec_b32 s24, s7
	s_cbranch_execz .LBB6_7250
.LBB6_7249:                             ;   in Loop: Header=BB6_5432 Depth=2
	v_bfe_u32 v57, v13, 16, 3
	v_bfe_u32 v61, v13, 19, 4
	s_delay_alu instid0(VALU_DEP_2) | instskip(NEXT) | instid1(VALU_DEP_2)
	v_clz_i32_u32_e32 v59, v57
	v_cmp_eq_u32_e32 vcc_lo, 0, v61
	s_delay_alu instid0(VALU_DEP_2) | instskip(NEXT) | instid1(VALU_DEP_1)
	v_min_u32_e32 v59, 32, v59
	v_subrev_nc_u32_e32 v60, 28, v59
	v_sub_nc_u32_e32 v59, 29, v59
	s_delay_alu instid0(VALU_DEP_1) | instskip(SKIP_1) | instid1(VALU_DEP_2)
	v_dual_cndmask_b32 v59, v61, v59 :: v_dual_lshlrev_b32 v60, v60, v56
	v_lshlrev_b32_e32 v56, 24, v56
	v_and_b32_e32 v60, 7, v60
	s_delay_alu instid0(VALU_DEP_3) | instskip(NEXT) | instid1(VALU_DEP_3)
	v_lshl_add_u32 v59, v59, 23, 0x3b800000
	v_and_b32_e32 v56, 0x80000000, v56
	s_delay_alu instid0(VALU_DEP_3) | instskip(NEXT) | instid1(VALU_DEP_1)
	v_cndmask_b32_e32 v57, v57, v60, vcc_lo
	v_lshlrev_b32_e32 v57, 20, v57
	s_delay_alu instid0(VALU_DEP_1)
	v_or3_b32 v57, v56, v59, v57
.LBB6_7250:                             ;   in Loop: Header=BB6_5432 Depth=2
	s_or_b32 exec_lo, exec_lo, s24
	s_delay_alu instid0(VALU_DEP_1) | instskip(NEXT) | instid1(VALU_DEP_1)
	v_dual_max_f32 v56, v57, v57 :: v_dual_max_f32 v57, v58, v58
	v_min_f32_e32 v58, v57, v56
.LBB6_7251:                             ;   in Loop: Header=BB6_5432 Depth=2
	s_delay_alu instid0(VALU_DEP_1) | instskip(NEXT) | instid1(VALU_DEP_1)
	v_and_b32_e32 v56, 0x7f800000, v58
	v_cmp_ne_u32_e32 vcc_lo, 0x7f800000, v56
	v_mov_b32_e32 v56, 0x80
	s_and_saveexec_b32 s24, vcc_lo
	s_cbranch_execz .LBB6_7259
; %bb.7252:                             ;   in Loop: Header=BB6_5432 Depth=2
	v_mov_b32_e32 v56, 0
	s_mov_b32 s25, exec_lo
	v_cmpx_ne_u32_e32 0, v58
	s_cbranch_execz .LBB6_7258
; %bb.7253:                             ;   in Loop: Header=BB6_5432 Depth=2
	v_bfe_u32 v56, v58, 23, 8
	v_and_b32_e32 v57, 0x7fffff, v58
	s_delay_alu instid0(VALU_DEP_2) | instskip(SKIP_1) | instid1(VALU_DEP_3)
	v_sub_nc_u32_e32 v59, 0x78, v56
	v_cmp_gt_u32_e32 vcc_lo, 0x79, v56
	v_or_b32_e32 v60, 0x800000, v57
	s_delay_alu instid0(VALU_DEP_3) | instskip(SKIP_2) | instid1(VALU_DEP_3)
	v_cndmask_b32_e32 v59, 0, v59, vcc_lo
	v_cmp_eq_u32_e32 vcc_lo, 0, v56
	v_add_nc_u32_e32 v56, 0xffffff89, v56
	v_cndmask_b32_e64 v59, v59, 0x77, vcc_lo
	v_cndmask_b32_e32 v57, v60, v57, vcc_lo
	s_delay_alu instid0(VALU_DEP_3) | instskip(NEXT) | instid1(VALU_DEP_3)
	v_cndmask_b32_e64 v56, v56, 0xffffff8a, vcc_lo
	v_lshl_add_u32 v60, 0x100000, v59, -1
	s_delay_alu instid0(VALU_DEP_3) | instskip(SKIP_1) | instid1(VALU_DEP_4)
	v_lshrrev_b32_e32 v61, v59, v57
	v_lshlrev_b32_e64 v63, v59, 0x80000
	v_add_nc_u32_e32 v59, v59, v56
	s_delay_alu instid0(VALU_DEP_4) | instskip(NEXT) | instid1(VALU_DEP_4)
	v_and_b32_e32 v57, v60, v57
	v_bfe_u32 v62, v61, 20, 1
	s_delay_alu instid0(VALU_DEP_2) | instskip(NEXT) | instid1(VALU_DEP_2)
	v_cmp_eq_u32_e64 s7, v57, v63
	v_add_nc_u32_e32 v60, -1, v62
	s_delay_alu instid0(VALU_DEP_1) | instskip(SKIP_2) | instid1(VALU_DEP_2)
	v_cndmask_b32_e64 v57, 0, v60, s7
	v_lshrrev_b32_e32 v60, 23, v61
	s_mov_b32 s7, exec_lo
	v_add_nc_u32_e32 v57, v57, v61
	s_delay_alu instid0(VALU_DEP_2) | instskip(NEXT) | instid1(VALU_DEP_2)
	v_xor_b32_e32 v60, 1, v60
	v_and_b32_e32 v56, 0xfffff, v57
	s_delay_alu instid0(VALU_DEP_1) | instskip(NEXT) | instid1(VALU_DEP_3)
	v_add_nc_u32_e32 v57, v56, v61
                                        ; implicit-def: $vgpr56
	v_cmpx_ne_u32_e64 v59, v60
	s_xor_b32 s7, exec_lo, s7
; %bb.7254:                             ;   in Loop: Header=BB6_5432 Depth=2
	s_delay_alu instid0(VALU_DEP_2) | instskip(SKIP_2) | instid1(VALU_DEP_2)
	v_cmp_lt_u32_e32 vcc_lo, 0xffffff, v57
	v_sub_nc_u32_e32 v56, v59, v60
	v_cndmask_b32_e64 v59, 0, 1, vcc_lo
	v_add_co_ci_u32_e32 v56, vcc_lo, 0, v56, vcc_lo
	s_delay_alu instid0(VALU_DEP_2)
	v_lshrrev_b32_e32 v57, v59, v57
; %bb.7255:                             ;   in Loop: Header=BB6_5432 Depth=2
	s_and_not1_saveexec_b32 s7, s7
; %bb.7256:                             ;   in Loop: Header=BB6_5432 Depth=2
	s_delay_alu instid0(VALU_DEP_1)
	v_bfe_u32 v56, v57, 23, 1
; %bb.7257:                             ;   in Loop: Header=BB6_5432 Depth=2
	s_or_b32 exec_lo, exec_lo, s7
	v_lshrrev_b32_e32 v57, 20, v57
	s_delay_alu instid0(VALU_DEP_2) | instskip(SKIP_2) | instid1(VALU_DEP_2)
	v_cmp_gt_i32_e32 vcc_lo, 16, v56
	v_lshrrev_b32_e32 v58, 24, v58
	v_min_i32_e32 v59, 15, v56
	v_dual_cndmask_b32 v57, 7, v57 :: v_dual_and_b32 v58, 0x80, v58
	s_delay_alu instid0(VALU_DEP_1) | instskip(SKIP_1) | instid1(VALU_DEP_2)
	v_or_b32_e32 v56, v56, v57
	v_and_b32_e32 v60, 7, v57
	v_cmp_ne_u32_e32 vcc_lo, 0, v56
	v_lshlrev_b32_e32 v59, 3, v59
	s_delay_alu instid0(VALU_DEP_1) | instskip(NEXT) | instid1(VALU_DEP_1)
	v_and_b32_e32 v59, 0xf8, v59
	v_or3_b32 v57, v59, v58, v60
	s_delay_alu instid0(VALU_DEP_1)
	v_cndmask_b32_e32 v56, 0, v57, vcc_lo
.LBB6_7258:                             ;   in Loop: Header=BB6_5432 Depth=2
	s_or_b32 exec_lo, exec_lo, s25
.LBB6_7259:                             ;   in Loop: Header=BB6_5432 Depth=2
	s_delay_alu instid0(SALU_CYCLE_1)
	s_or_b32 exec_lo, exec_lo, s24
	v_lshrrev_b32_e32 v58, 24, v17
	v_lshrrev_b32_e32 v57, 24, v13
	s_and_not1_b32 vcc_lo, exec_lo, s23
	s_cbranch_vccnz .LBB6_7269
; %bb.7260:                             ;   in Loop: Header=BB6_5432 Depth=2
	s_mov_b32 s7, 0
	s_mov_b32 s25, exec_lo
                                        ; implicit-def: $sgpr24
	v_cmpx_lt_i16_e32 0x7f, v58
	s_xor_b32 s25, exec_lo, s25
	s_cbranch_execnz .LBB6_8294
; %bb.7261:                             ;   in Loop: Header=BB6_5432 Depth=2
	s_or_saveexec_b32 s25, s25
	v_mov_b32_e32 v59, s24
	s_xor_b32 exec_lo, exec_lo, s25
	s_cbranch_execnz .LBB6_8297
.LBB6_7262:                             ;   in Loop: Header=BB6_5432 Depth=2
	s_or_b32 exec_lo, exec_lo, s25
	s_and_saveexec_b32 s24, s7
	s_cbranch_execz .LBB6_7264
.LBB6_7263:                             ;   in Loop: Header=BB6_5432 Depth=2
	v_bfe_u32 v59, v17, 24, 3
	v_bfe_u32 v62, v17, 27, 4
	s_delay_alu instid0(VALU_DEP_2) | instskip(NEXT) | instid1(VALU_DEP_2)
	v_clz_i32_u32_e32 v60, v59
	v_cmp_eq_u32_e32 vcc_lo, 0, v62
	s_delay_alu instid0(VALU_DEP_2) | instskip(NEXT) | instid1(VALU_DEP_1)
	v_min_u32_e32 v60, 32, v60
	v_subrev_nc_u32_e32 v61, 28, v60
	v_sub_nc_u32_e32 v60, 29, v60
	s_delay_alu instid0(VALU_DEP_1) | instskip(NEXT) | instid1(VALU_DEP_1)
	v_dual_cndmask_b32 v60, v62, v60 :: v_dual_lshlrev_b32 v61, v61, v58
	v_and_b32_e32 v61, 7, v61
	s_delay_alu instid0(VALU_DEP_2) | instskip(NEXT) | instid1(VALU_DEP_2)
	v_lshl_add_u32 v60, v60, 23, 0x3b800000
	v_cndmask_b32_e32 v59, v59, v61, vcc_lo
	v_and_b32_e32 v61, 0x80000000, v17
	s_delay_alu instid0(VALU_DEP_2) | instskip(NEXT) | instid1(VALU_DEP_1)
	v_lshlrev_b32_e32 v59, 20, v59
	v_or3_b32 v59, v61, v60, v59
.LBB6_7264:                             ;   in Loop: Header=BB6_5432 Depth=2
	s_or_b32 exec_lo, exec_lo, s24
	s_mov_b32 s7, 0
	s_mov_b32 s25, exec_lo
                                        ; implicit-def: $sgpr24
	v_cmpx_lt_i16_e32 0x7f, v57
	s_xor_b32 s25, exec_lo, s25
	s_cbranch_execnz .LBB6_8298
; %bb.7265:                             ;   in Loop: Header=BB6_5432 Depth=2
	s_or_saveexec_b32 s25, s25
	v_mov_b32_e32 v60, s24
	s_xor_b32 exec_lo, exec_lo, s25
	s_cbranch_execnz .LBB6_8301
.LBB6_7266:                             ;   in Loop: Header=BB6_5432 Depth=2
	s_or_b32 exec_lo, exec_lo, s25
	s_and_saveexec_b32 s24, s7
	s_cbranch_execz .LBB6_7268
.LBB6_7267:                             ;   in Loop: Header=BB6_5432 Depth=2
	v_bfe_u32 v60, v13, 24, 3
	v_bfe_u32 v63, v13, 27, 4
	s_delay_alu instid0(VALU_DEP_2) | instskip(NEXT) | instid1(VALU_DEP_2)
	v_clz_i32_u32_e32 v61, v60
	v_cmp_eq_u32_e32 vcc_lo, 0, v63
	s_delay_alu instid0(VALU_DEP_2) | instskip(NEXT) | instid1(VALU_DEP_1)
	v_min_u32_e32 v61, 32, v61
	v_subrev_nc_u32_e32 v62, 28, v61
	v_sub_nc_u32_e32 v61, 29, v61
	s_delay_alu instid0(VALU_DEP_2) | instskip(NEXT) | instid1(VALU_DEP_1)
	v_lshlrev_b32_e32 v62, v62, v57
	v_dual_cndmask_b32 v61, v63, v61 :: v_dual_and_b32 v62, 7, v62
	s_delay_alu instid0(VALU_DEP_1) | instskip(NEXT) | instid1(VALU_DEP_2)
	v_lshl_add_u32 v61, v61, 23, 0x3b800000
	v_cndmask_b32_e32 v60, v60, v62, vcc_lo
	v_and_b32_e32 v62, 0x80000000, v13
	s_delay_alu instid0(VALU_DEP_2) | instskip(NEXT) | instid1(VALU_DEP_1)
	v_lshlrev_b32_e32 v60, 20, v60
	v_or3_b32 v60, v62, v61, v60
.LBB6_7268:                             ;   in Loop: Header=BB6_5432 Depth=2
	s_or_b32 exec_lo, exec_lo, s24
	s_delay_alu instid0(VALU_DEP_1) | instskip(SKIP_1) | instid1(VALU_DEP_1)
	v_dual_max_f32 v60, v60, v60 :: v_dual_max_f32 v59, v59, v59
	s_mov_b32 s7, 0
	v_max_f32_e32 v59, v59, v60
	s_branch .LBB6_7270
.LBB6_7269:                             ;   in Loop: Header=BB6_5432 Depth=2
	s_mov_b32 s7, -1
                                        ; implicit-def: $vgpr59
.LBB6_7270:                             ;   in Loop: Header=BB6_5432 Depth=2
	s_delay_alu instid0(SALU_CYCLE_1)
	s_and_b32 vcc_lo, exec_lo, s7
	s_cbranch_vccz .LBB6_7280
; %bb.7271:                             ;   in Loop: Header=BB6_5432 Depth=2
	s_mov_b32 s7, 0
	s_mov_b32 s25, exec_lo
                                        ; implicit-def: $sgpr24
	v_cmpx_lt_i16_e32 0x7f, v58
	s_xor_b32 s25, exec_lo, s25
	s_cbranch_execnz .LBB6_8302
; %bb.7272:                             ;   in Loop: Header=BB6_5432 Depth=2
	s_or_saveexec_b32 s25, s25
	v_mov_b32_e32 v59, s24
	s_xor_b32 exec_lo, exec_lo, s25
	s_cbranch_execnz .LBB6_8305
.LBB6_7273:                             ;   in Loop: Header=BB6_5432 Depth=2
	s_or_b32 exec_lo, exec_lo, s25
	s_and_saveexec_b32 s24, s7
	s_cbranch_execz .LBB6_7275
.LBB6_7274:                             ;   in Loop: Header=BB6_5432 Depth=2
	v_bfe_u32 v59, v17, 24, 3
	s_delay_alu instid0(VALU_DEP_1) | instskip(NEXT) | instid1(VALU_DEP_1)
	v_clz_i32_u32_e32 v60, v59
	v_min_u32_e32 v60, 32, v60
	s_delay_alu instid0(VALU_DEP_1) | instskip(SKIP_1) | instid1(VALU_DEP_2)
	v_subrev_nc_u32_e32 v61, 28, v60
	v_sub_nc_u32_e32 v60, 29, v60
	v_lshlrev_b32_e32 v58, v61, v58
	v_bfe_u32 v61, v17, 27, 4
	v_and_b32_e32 v17, 0x80000000, v17
	s_delay_alu instid0(VALU_DEP_3) | instskip(NEXT) | instid1(VALU_DEP_3)
	v_and_b32_e32 v58, 7, v58
	v_cmp_eq_u32_e32 vcc_lo, 0, v61
	v_cndmask_b32_e32 v60, v61, v60, vcc_lo
	s_delay_alu instid0(VALU_DEP_3) | instskip(NEXT) | instid1(VALU_DEP_2)
	v_cndmask_b32_e32 v58, v59, v58, vcc_lo
	v_lshl_add_u32 v59, v60, 23, 0x3b800000
	s_delay_alu instid0(VALU_DEP_2) | instskip(NEXT) | instid1(VALU_DEP_1)
	v_lshlrev_b32_e32 v58, 20, v58
	v_or3_b32 v59, v17, v59, v58
.LBB6_7275:                             ;   in Loop: Header=BB6_5432 Depth=2
	s_or_b32 exec_lo, exec_lo, s24
	s_mov_b32 s7, 0
	s_mov_b32 s25, exec_lo
                                        ; implicit-def: $sgpr24
	v_cmpx_lt_i16_e32 0x7f, v57
	s_xor_b32 s25, exec_lo, s25
	s_cbranch_execnz .LBB6_8306
; %bb.7276:                             ;   in Loop: Header=BB6_5432 Depth=2
	s_or_saveexec_b32 s25, s25
	v_mov_b32_e32 v17, s24
	s_xor_b32 exec_lo, exec_lo, s25
	s_cbranch_execnz .LBB6_8309
.LBB6_7277:                             ;   in Loop: Header=BB6_5432 Depth=2
	s_or_b32 exec_lo, exec_lo, s25
	s_and_saveexec_b32 s24, s7
	s_cbranch_execz .LBB6_7279
.LBB6_7278:                             ;   in Loop: Header=BB6_5432 Depth=2
	v_bfe_u32 v17, v13, 24, 3
	s_delay_alu instid0(VALU_DEP_1) | instskip(NEXT) | instid1(VALU_DEP_1)
	v_clz_i32_u32_e32 v58, v17
	v_min_u32_e32 v58, 32, v58
	s_delay_alu instid0(VALU_DEP_1) | instskip(SKIP_1) | instid1(VALU_DEP_2)
	v_subrev_nc_u32_e32 v60, 28, v58
	v_sub_nc_u32_e32 v58, 29, v58
	v_lshlrev_b32_e32 v57, v60, v57
	v_bfe_u32 v60, v13, 27, 4
	v_and_b32_e32 v13, 0x80000000, v13
	s_delay_alu instid0(VALU_DEP_2) | instskip(NEXT) | instid1(VALU_DEP_4)
	v_cmp_eq_u32_e32 vcc_lo, 0, v60
	v_dual_cndmask_b32 v58, v60, v58 :: v_dual_and_b32 v57, 7, v57
	s_delay_alu instid0(VALU_DEP_1) | instskip(NEXT) | instid1(VALU_DEP_2)
	v_cndmask_b32_e32 v17, v17, v57, vcc_lo
	v_lshl_add_u32 v57, v58, 23, 0x3b800000
	s_delay_alu instid0(VALU_DEP_2) | instskip(NEXT) | instid1(VALU_DEP_1)
	v_lshlrev_b32_e32 v17, 20, v17
	v_or3_b32 v17, v13, v57, v17
.LBB6_7279:                             ;   in Loop: Header=BB6_5432 Depth=2
	s_or_b32 exec_lo, exec_lo, s24
	s_delay_alu instid0(VALU_DEP_1) | instskip(SKIP_1) | instid1(VALU_DEP_1)
	v_max_f32_e32 v13, v17, v17
	v_max_f32_e32 v17, v59, v59
	v_min_f32_e32 v59, v17, v13
.LBB6_7280:                             ;   in Loop: Header=BB6_5432 Depth=2
	s_delay_alu instid0(VALU_DEP_1) | instskip(NEXT) | instid1(VALU_DEP_1)
	v_and_b32_e32 v13, 0x7f800000, v59
	v_cmp_ne_u32_e32 vcc_lo, 0x7f800000, v13
	v_mov_b32_e32 v13, 0x8000
	s_and_saveexec_b32 s24, vcc_lo
	s_cbranch_execz .LBB6_5431
; %bb.7281:                             ;   in Loop: Header=BB6_5432 Depth=2
	v_mov_b32_e32 v13, 0
	s_mov_b32 s25, exec_lo
	v_cmpx_ne_u32_e32 0, v59
	s_cbranch_execz .LBB6_5430
; %bb.7282:                             ;   in Loop: Header=BB6_5432 Depth=2
	v_bfe_u32 v13, v59, 23, 8
	v_and_b32_e32 v17, 0x7fffff, v59
	s_delay_alu instid0(VALU_DEP_2) | instskip(SKIP_1) | instid1(VALU_DEP_3)
	v_sub_nc_u32_e32 v57, 0x78, v13
	v_cmp_gt_u32_e32 vcc_lo, 0x79, v13
	v_or_b32_e32 v58, 0x800000, v17
	s_delay_alu instid0(VALU_DEP_3) | instskip(SKIP_2) | instid1(VALU_DEP_3)
	v_cndmask_b32_e32 v57, 0, v57, vcc_lo
	v_cmp_eq_u32_e32 vcc_lo, 0, v13
	v_add_nc_u32_e32 v13, 0xffffff89, v13
	v_cndmask_b32_e64 v57, v57, 0x77, vcc_lo
	v_cndmask_b32_e32 v17, v58, v17, vcc_lo
	s_delay_alu instid0(VALU_DEP_3) | instskip(NEXT) | instid1(VALU_DEP_3)
	v_cndmask_b32_e64 v13, v13, 0xffffff8a, vcc_lo
	v_lshl_add_u32 v58, 0x100000, v57, -1
	s_delay_alu instid0(VALU_DEP_3) | instskip(SKIP_1) | instid1(VALU_DEP_4)
	v_lshrrev_b32_e32 v60, v57, v17
	v_lshlrev_b32_e64 v62, v57, 0x80000
	v_add_nc_u32_e32 v57, v57, v13
	s_delay_alu instid0(VALU_DEP_4) | instskip(NEXT) | instid1(VALU_DEP_4)
	v_and_b32_e32 v17, v58, v17
	v_bfe_u32 v61, v60, 20, 1
	s_delay_alu instid0(VALU_DEP_2) | instskip(NEXT) | instid1(VALU_DEP_2)
	v_cmp_eq_u32_e64 s7, v17, v62
	v_add_nc_u32_e32 v58, -1, v61
	s_delay_alu instid0(VALU_DEP_1) | instskip(SKIP_2) | instid1(VALU_DEP_2)
	v_cndmask_b32_e64 v17, 0, v58, s7
	v_lshrrev_b32_e32 v58, 23, v60
	s_mov_b32 s7, exec_lo
	v_add_nc_u32_e32 v17, v17, v60
	s_delay_alu instid0(VALU_DEP_2) | instskip(NEXT) | instid1(VALU_DEP_2)
	v_xor_b32_e32 v58, 1, v58
	v_and_b32_e32 v13, 0xfffff, v17
	s_delay_alu instid0(VALU_DEP_1) | instskip(NEXT) | instid1(VALU_DEP_3)
	v_add_nc_u32_e32 v17, v13, v60
                                        ; implicit-def: $vgpr13
	v_cmpx_ne_u32_e64 v57, v58
	s_xor_b32 s7, exec_lo, s7
; %bb.7283:                             ;   in Loop: Header=BB6_5432 Depth=2
	s_delay_alu instid0(VALU_DEP_2) | instskip(SKIP_2) | instid1(VALU_DEP_2)
	v_cmp_lt_u32_e32 vcc_lo, 0xffffff, v17
	v_sub_nc_u32_e32 v13, v57, v58
	v_cndmask_b32_e64 v57, 0, 1, vcc_lo
	v_add_co_ci_u32_e32 v13, vcc_lo, 0, v13, vcc_lo
	s_delay_alu instid0(VALU_DEP_2)
	v_lshrrev_b32_e32 v17, v57, v17
; %bb.7284:                             ;   in Loop: Header=BB6_5432 Depth=2
	s_and_not1_saveexec_b32 s7, s7
	s_cbranch_execz .LBB6_5429
; %bb.7285:                             ;   in Loop: Header=BB6_5432 Depth=2
	s_delay_alu instid0(VALU_DEP_1)
	v_bfe_u32 v13, v17, 23, 1
	s_branch .LBB6_5429
.LBB6_7286:                             ;   in Loop: Header=BB6_5432 Depth=2
	s_mov_b32 s7, -1
	s_mov_b32 s26, exec_lo
                                        ; implicit-def: $sgpr24
	v_cmpx_eq_u16_e64 0x80, v145
; %bb.7287:                             ;   in Loop: Header=BB6_5432 Depth=2
	s_mov_b32 s24, 0x7f800001
	s_xor_b32 s7, exec_lo, -1
; %bb.7288:                             ;   in Loop: Header=BB6_5432 Depth=2
	s_or_b32 exec_lo, exec_lo, s26
	s_delay_alu instid0(SALU_CYCLE_1)
	s_and_b32 s7, s7, exec_lo
                                        ; implicit-def: $vgpr145
	s_or_saveexec_b32 s25, s25
	v_mov_b32_e32 v144, s24
	s_xor_b32 exec_lo, exec_lo, s25
	s_cbranch_execz .LBB6_5435
.LBB6_7289:                             ;   in Loop: Header=BB6_5432 Depth=2
	v_cmp_ne_u16_e64 vcc_lo, 0, v145
	v_mov_b32_e32 v144, 0
	s_and_not1_b32 s7, s7, exec_lo
	s_delay_alu instid0(VALU_DEP_2) | instskip(NEXT) | instid1(SALU_CYCLE_1)
	s_and_b32 s24, vcc_lo, exec_lo
	s_or_b32 s7, s7, s24
	s_or_b32 exec_lo, exec_lo, s25
	s_and_saveexec_b32 s24, s7
	s_cbranch_execnz .LBB6_5436
	s_branch .LBB6_5437
.LBB6_7290:                             ;   in Loop: Header=BB6_5432 Depth=2
	s_mov_b32 s7, -1
	s_mov_b32 s26, exec_lo
                                        ; implicit-def: $sgpr24
	v_cmpx_eq_u16_e64 0x80, v146
; %bb.7291:                             ;   in Loop: Header=BB6_5432 Depth=2
	s_mov_b32 s24, 0x7f800001
	s_xor_b32 s7, exec_lo, -1
; %bb.7292:                             ;   in Loop: Header=BB6_5432 Depth=2
	s_or_b32 exec_lo, exec_lo, s26
	s_delay_alu instid0(SALU_CYCLE_1)
	s_and_b32 s7, s7, exec_lo
                                        ; implicit-def: $vgpr146
	s_or_saveexec_b32 s25, s25
	v_mov_b32_e32 v145, s24
	s_xor_b32 exec_lo, exec_lo, s25
	s_cbranch_execz .LBB6_5439
.LBB6_7293:                             ;   in Loop: Header=BB6_5432 Depth=2
	v_cmp_ne_u16_e64 vcc_lo, 0, v146
	v_mov_b32_e32 v145, 0
	s_and_not1_b32 s7, s7, exec_lo
	s_delay_alu instid0(VALU_DEP_2) | instskip(NEXT) | instid1(SALU_CYCLE_1)
	s_and_b32 s24, vcc_lo, exec_lo
	s_or_b32 s7, s7, s24
	s_or_b32 exec_lo, exec_lo, s25
	s_and_saveexec_b32 s24, s7
	s_cbranch_execnz .LBB6_5440
	s_branch .LBB6_5441
.LBB6_7294:                             ;   in Loop: Header=BB6_5432 Depth=2
	s_mov_b32 s7, -1
	s_mov_b32 s26, exec_lo
                                        ; implicit-def: $sgpr24
	v_cmpx_eq_u16_e64 0x80, v145
; %bb.7295:                             ;   in Loop: Header=BB6_5432 Depth=2
	s_mov_b32 s24, 0x7f800001
	s_xor_b32 s7, exec_lo, -1
; %bb.7296:                             ;   in Loop: Header=BB6_5432 Depth=2
	s_or_b32 exec_lo, exec_lo, s26
	s_delay_alu instid0(SALU_CYCLE_1)
	s_and_b32 s7, s7, exec_lo
                                        ; implicit-def: $vgpr145
	s_or_saveexec_b32 s25, s25
	v_mov_b32_e32 v144, s24
	s_xor_b32 exec_lo, exec_lo, s25
	s_cbranch_execz .LBB6_5446
.LBB6_7297:                             ;   in Loop: Header=BB6_5432 Depth=2
	v_cmp_ne_u16_e64 vcc_lo, 0, v145
	v_mov_b32_e32 v144, 0
	s_and_not1_b32 s7, s7, exec_lo
	s_delay_alu instid0(VALU_DEP_2) | instskip(NEXT) | instid1(SALU_CYCLE_1)
	s_and_b32 s24, vcc_lo, exec_lo
	s_or_b32 s7, s7, s24
	s_or_b32 exec_lo, exec_lo, s25
	s_and_saveexec_b32 s24, s7
	s_cbranch_execnz .LBB6_5447
	s_branch .LBB6_5448
.LBB6_7298:                             ;   in Loop: Header=BB6_5432 Depth=2
	s_mov_b32 s7, -1
	s_mov_b32 s26, exec_lo
                                        ; implicit-def: $sgpr24
	v_cmpx_eq_u16_e64 0x80, v146
; %bb.7299:                             ;   in Loop: Header=BB6_5432 Depth=2
	s_mov_b32 s24, 0x7f800001
	s_xor_b32 s7, exec_lo, -1
; %bb.7300:                             ;   in Loop: Header=BB6_5432 Depth=2
	s_or_b32 exec_lo, exec_lo, s26
	s_delay_alu instid0(SALU_CYCLE_1)
	s_and_b32 s7, s7, exec_lo
                                        ; implicit-def: $vgpr146
	s_or_saveexec_b32 s25, s25
	v_mov_b32_e32 v145, s24
	s_xor_b32 exec_lo, exec_lo, s25
	s_cbranch_execz .LBB6_5450
.LBB6_7301:                             ;   in Loop: Header=BB6_5432 Depth=2
	v_cmp_ne_u16_e64 vcc_lo, 0, v146
	v_mov_b32_e32 v145, 0
	s_and_not1_b32 s7, s7, exec_lo
	s_delay_alu instid0(VALU_DEP_2) | instskip(NEXT) | instid1(SALU_CYCLE_1)
	s_and_b32 s24, vcc_lo, exec_lo
	s_or_b32 s7, s7, s24
	s_or_b32 exec_lo, exec_lo, s25
	s_and_saveexec_b32 s24, s7
	s_cbranch_execnz .LBB6_5451
	s_branch .LBB6_5452
.LBB6_7302:                             ;   in Loop: Header=BB6_5432 Depth=2
	s_mov_b32 s7, -1
	s_mov_b32 s26, exec_lo
                                        ; implicit-def: $sgpr24
	v_cmpx_eq_u16_e64 0x80, v146
; %bb.7303:                             ;   in Loop: Header=BB6_5432 Depth=2
	s_mov_b32 s24, 0x7f800001
	s_xor_b32 s7, exec_lo, -1
; %bb.7304:                             ;   in Loop: Header=BB6_5432 Depth=2
	s_or_b32 exec_lo, exec_lo, s26
	s_delay_alu instid0(SALU_CYCLE_1)
	s_and_b32 s7, s7, exec_lo
	s_or_saveexec_b32 s25, s25
	v_mov_b32_e32 v147, s24
	s_xor_b32 exec_lo, exec_lo, s25
	s_cbranch_execz .LBB6_5464
.LBB6_7305:                             ;   in Loop: Header=BB6_5432 Depth=2
	v_cmp_ne_u16_e64 vcc_lo, 0, v146
	v_mov_b32_e32 v147, 0
	s_and_not1_b32 s7, s7, exec_lo
	s_delay_alu instid0(VALU_DEP_2) | instskip(NEXT) | instid1(SALU_CYCLE_1)
	s_and_b32 s24, vcc_lo, exec_lo
	s_or_b32 s7, s7, s24
	s_or_b32 exec_lo, exec_lo, s25
	s_and_saveexec_b32 s24, s7
	s_cbranch_execnz .LBB6_5465
	s_branch .LBB6_5466
.LBB6_7306:                             ;   in Loop: Header=BB6_5432 Depth=2
	s_mov_b32 s7, -1
	s_mov_b32 s26, exec_lo
                                        ; implicit-def: $sgpr24
	v_cmpx_eq_u16_e64 0x80, v145
; %bb.7307:                             ;   in Loop: Header=BB6_5432 Depth=2
	s_mov_b32 s24, 0x7f800001
	s_xor_b32 s7, exec_lo, -1
; %bb.7308:                             ;   in Loop: Header=BB6_5432 Depth=2
	s_or_b32 exec_lo, exec_lo, s26
	s_delay_alu instid0(SALU_CYCLE_1)
	s_and_b32 s7, s7, exec_lo
	s_or_saveexec_b32 s25, s25
	v_mov_b32_e32 v148, s24
	s_xor_b32 exec_lo, exec_lo, s25
	s_cbranch_execz .LBB6_5468
.LBB6_7309:                             ;   in Loop: Header=BB6_5432 Depth=2
	v_cmp_ne_u16_e64 vcc_lo, 0, v145
	v_mov_b32_e32 v148, 0
	s_and_not1_b32 s7, s7, exec_lo
	s_delay_alu instid0(VALU_DEP_2) | instskip(NEXT) | instid1(SALU_CYCLE_1)
	s_and_b32 s24, vcc_lo, exec_lo
	s_or_b32 s7, s7, s24
	s_or_b32 exec_lo, exec_lo, s25
	s_and_saveexec_b32 s24, s7
	s_cbranch_execnz .LBB6_5469
	s_branch .LBB6_5470
.LBB6_7310:                             ;   in Loop: Header=BB6_5432 Depth=2
	s_mov_b32 s7, -1
	s_mov_b32 s26, exec_lo
                                        ; implicit-def: $sgpr24
	v_cmpx_eq_u16_e64 0x80, v146
; %bb.7311:                             ;   in Loop: Header=BB6_5432 Depth=2
	s_mov_b32 s24, 0x7f800001
	s_xor_b32 s7, exec_lo, -1
; %bb.7312:                             ;   in Loop: Header=BB6_5432 Depth=2
	s_or_b32 exec_lo, exec_lo, s26
	s_delay_alu instid0(SALU_CYCLE_1)
	s_and_b32 s7, s7, exec_lo
	s_or_saveexec_b32 s25, s25
	v_mov_b32_e32 v147, s24
	s_xor_b32 exec_lo, exec_lo, s25
	s_cbranch_execz .LBB6_5475
.LBB6_7313:                             ;   in Loop: Header=BB6_5432 Depth=2
	v_cmp_ne_u16_e64 vcc_lo, 0, v146
	v_mov_b32_e32 v147, 0
	s_and_not1_b32 s7, s7, exec_lo
	s_delay_alu instid0(VALU_DEP_2) | instskip(NEXT) | instid1(SALU_CYCLE_1)
	s_and_b32 s24, vcc_lo, exec_lo
	s_or_b32 s7, s7, s24
	s_or_b32 exec_lo, exec_lo, s25
	s_and_saveexec_b32 s24, s7
	s_cbranch_execnz .LBB6_5476
	s_branch .LBB6_5477
.LBB6_7314:                             ;   in Loop: Header=BB6_5432 Depth=2
	s_mov_b32 s7, -1
	s_mov_b32 s26, exec_lo
                                        ; implicit-def: $sgpr24
	v_cmpx_eq_u16_e64 0x80, v145
; %bb.7315:                             ;   in Loop: Header=BB6_5432 Depth=2
	s_mov_b32 s24, 0x7f800001
	s_xor_b32 s7, exec_lo, -1
; %bb.7316:                             ;   in Loop: Header=BB6_5432 Depth=2
	s_or_b32 exec_lo, exec_lo, s26
	s_delay_alu instid0(SALU_CYCLE_1)
	s_and_b32 s7, s7, exec_lo
	s_or_saveexec_b32 s25, s25
	v_mov_b32_e32 v146, s24
	s_xor_b32 exec_lo, exec_lo, s25
	s_cbranch_execz .LBB6_5479
.LBB6_7317:                             ;   in Loop: Header=BB6_5432 Depth=2
	v_cmp_ne_u16_e64 vcc_lo, 0, v145
	v_mov_b32_e32 v146, 0
	s_and_not1_b32 s7, s7, exec_lo
	s_delay_alu instid0(VALU_DEP_2) | instskip(NEXT) | instid1(SALU_CYCLE_1)
	s_and_b32 s24, vcc_lo, exec_lo
	s_or_b32 s7, s7, s24
	s_or_b32 exec_lo, exec_lo, s25
	s_and_saveexec_b32 s24, s7
	s_cbranch_execnz .LBB6_5480
	s_branch .LBB6_5481
.LBB6_7318:                             ;   in Loop: Header=BB6_5432 Depth=2
	s_mov_b32 s7, -1
	s_mov_b32 s26, exec_lo
                                        ; implicit-def: $sgpr24
	v_cmpx_eq_u16_e64 0x80, v149
; %bb.7319:                             ;   in Loop: Header=BB6_5432 Depth=2
	s_mov_b32 s24, 0x7f800001
	s_xor_b32 s7, exec_lo, -1
; %bb.7320:                             ;   in Loop: Header=BB6_5432 Depth=2
	s_or_b32 exec_lo, exec_lo, s26
	s_delay_alu instid0(SALU_CYCLE_1)
	s_and_b32 s7, s7, exec_lo
                                        ; implicit-def: $vgpr149
	s_or_saveexec_b32 s25, s25
	v_mov_b32_e32 v148, s24
	s_xor_b32 exec_lo, exec_lo, s25
	s_cbranch_execz .LBB6_5493
.LBB6_7321:                             ;   in Loop: Header=BB6_5432 Depth=2
	v_cmp_ne_u16_e64 vcc_lo, 0, v149
	v_mov_b32_e32 v148, 0
	s_and_not1_b32 s7, s7, exec_lo
	s_delay_alu instid0(VALU_DEP_2) | instskip(NEXT) | instid1(SALU_CYCLE_1)
	s_and_b32 s24, vcc_lo, exec_lo
	s_or_b32 s7, s7, s24
	s_or_b32 exec_lo, exec_lo, s25
	s_and_saveexec_b32 s24, s7
	s_cbranch_execnz .LBB6_5494
	s_branch .LBB6_5495
.LBB6_7322:                             ;   in Loop: Header=BB6_5432 Depth=2
	s_mov_b32 s7, -1
	s_mov_b32 s26, exec_lo
                                        ; implicit-def: $sgpr24
	v_cmpx_eq_u16_e64 0x80, v150
; %bb.7323:                             ;   in Loop: Header=BB6_5432 Depth=2
	s_mov_b32 s24, 0x7f800001
	s_xor_b32 s7, exec_lo, -1
; %bb.7324:                             ;   in Loop: Header=BB6_5432 Depth=2
	s_or_b32 exec_lo, exec_lo, s26
	s_delay_alu instid0(SALU_CYCLE_1)
	s_and_b32 s7, s7, exec_lo
                                        ; implicit-def: $vgpr150
	s_or_saveexec_b32 s25, s25
	v_mov_b32_e32 v149, s24
	s_xor_b32 exec_lo, exec_lo, s25
	s_cbranch_execz .LBB6_5497
.LBB6_7325:                             ;   in Loop: Header=BB6_5432 Depth=2
	v_cmp_ne_u16_e64 vcc_lo, 0, v150
	v_mov_b32_e32 v149, 0
	s_and_not1_b32 s7, s7, exec_lo
	s_delay_alu instid0(VALU_DEP_2) | instskip(NEXT) | instid1(SALU_CYCLE_1)
	s_and_b32 s24, vcc_lo, exec_lo
	s_or_b32 s7, s7, s24
	s_or_b32 exec_lo, exec_lo, s25
	s_and_saveexec_b32 s24, s7
	s_cbranch_execnz .LBB6_5498
	s_branch .LBB6_5499
.LBB6_7326:                             ;   in Loop: Header=BB6_5432 Depth=2
	s_mov_b32 s7, -1
	s_mov_b32 s26, exec_lo
                                        ; implicit-def: $sgpr24
	v_cmpx_eq_u16_e64 0x80, v149
; %bb.7327:                             ;   in Loop: Header=BB6_5432 Depth=2
	s_mov_b32 s24, 0x7f800001
	s_xor_b32 s7, exec_lo, -1
; %bb.7328:                             ;   in Loop: Header=BB6_5432 Depth=2
	s_or_b32 exec_lo, exec_lo, s26
	s_delay_alu instid0(SALU_CYCLE_1)
	s_and_b32 s7, s7, exec_lo
                                        ; implicit-def: $vgpr149
	s_or_saveexec_b32 s25, s25
	v_mov_b32_e32 v148, s24
	s_xor_b32 exec_lo, exec_lo, s25
	s_cbranch_execz .LBB6_5504
.LBB6_7329:                             ;   in Loop: Header=BB6_5432 Depth=2
	v_cmp_ne_u16_e64 vcc_lo, 0, v149
	v_mov_b32_e32 v148, 0
	s_and_not1_b32 s7, s7, exec_lo
	s_delay_alu instid0(VALU_DEP_2) | instskip(NEXT) | instid1(SALU_CYCLE_1)
	s_and_b32 s24, vcc_lo, exec_lo
	s_or_b32 s7, s7, s24
	s_or_b32 exec_lo, exec_lo, s25
	s_and_saveexec_b32 s24, s7
	s_cbranch_execnz .LBB6_5505
	s_branch .LBB6_5506
.LBB6_7330:                             ;   in Loop: Header=BB6_5432 Depth=2
	s_mov_b32 s7, -1
	s_mov_b32 s26, exec_lo
                                        ; implicit-def: $sgpr24
	v_cmpx_eq_u16_e64 0x80, v149
; %bb.7331:                             ;   in Loop: Header=BB6_5432 Depth=2
	s_mov_b32 s24, 0x7f800001
	s_xor_b32 s7, exec_lo, -1
; %bb.7332:                             ;   in Loop: Header=BB6_5432 Depth=2
	s_or_b32 exec_lo, exec_lo, s26
	s_delay_alu instid0(SALU_CYCLE_1)
	s_and_b32 s7, s7, exec_lo
                                        ; implicit-def: $vgpr149
	s_or_saveexec_b32 s25, s25
	v_mov_b32_e32 v147, s24
	s_xor_b32 exec_lo, exec_lo, s25
	s_cbranch_execz .LBB6_5508
.LBB6_7333:                             ;   in Loop: Header=BB6_5432 Depth=2
	v_cmp_ne_u16_e64 vcc_lo, 0, v149
	v_mov_b32_e32 v147, 0
	s_and_not1_b32 s7, s7, exec_lo
	s_delay_alu instid0(VALU_DEP_2) | instskip(NEXT) | instid1(SALU_CYCLE_1)
	s_and_b32 s24, vcc_lo, exec_lo
	s_or_b32 s7, s7, s24
	s_or_b32 exec_lo, exec_lo, s25
	s_and_saveexec_b32 s24, s7
	s_cbranch_execnz .LBB6_5509
	s_branch .LBB6_5510
.LBB6_7334:                             ;   in Loop: Header=BB6_5432 Depth=2
	s_mov_b32 s7, -1
	s_mov_b32 s26, exec_lo
                                        ; implicit-def: $sgpr24
	v_cmpx_eq_u16_e64 0x80, v148
; %bb.7335:                             ;   in Loop: Header=BB6_5432 Depth=2
	s_mov_b32 s24, 0x7f800001
	s_xor_b32 s7, exec_lo, -1
; %bb.7336:                             ;   in Loop: Header=BB6_5432 Depth=2
	s_or_b32 exec_lo, exec_lo, s26
	s_delay_alu instid0(SALU_CYCLE_1)
	s_and_b32 s7, s7, exec_lo
	s_or_saveexec_b32 s25, s25
	v_mov_b32_e32 v149, s24
	s_xor_b32 exec_lo, exec_lo, s25
	s_cbranch_execz .LBB6_5522
.LBB6_7337:                             ;   in Loop: Header=BB6_5432 Depth=2
	v_cmp_ne_u16_e64 vcc_lo, 0, v148
	v_mov_b32_e32 v149, 0
	s_and_not1_b32 s7, s7, exec_lo
	s_delay_alu instid0(VALU_DEP_2) | instskip(NEXT) | instid1(SALU_CYCLE_1)
	s_and_b32 s24, vcc_lo, exec_lo
	s_or_b32 s7, s7, s24
	s_or_b32 exec_lo, exec_lo, s25
	s_and_saveexec_b32 s24, s7
	s_cbranch_execnz .LBB6_5523
	s_branch .LBB6_5524
.LBB6_7338:                             ;   in Loop: Header=BB6_5432 Depth=2
	s_mov_b32 s7, -1
	s_mov_b32 s26, exec_lo
                                        ; implicit-def: $sgpr24
	v_cmpx_eq_u16_e64 0x80, v147
; %bb.7339:                             ;   in Loop: Header=BB6_5432 Depth=2
	s_mov_b32 s24, 0x7f800001
	s_xor_b32 s7, exec_lo, -1
; %bb.7340:                             ;   in Loop: Header=BB6_5432 Depth=2
	s_or_b32 exec_lo, exec_lo, s26
	s_delay_alu instid0(SALU_CYCLE_1)
	s_and_b32 s7, s7, exec_lo
	s_or_saveexec_b32 s25, s25
	v_mov_b32_e32 v150, s24
	s_xor_b32 exec_lo, exec_lo, s25
	s_cbranch_execz .LBB6_5526
.LBB6_7341:                             ;   in Loop: Header=BB6_5432 Depth=2
	v_cmp_ne_u16_e64 vcc_lo, 0, v147
	v_mov_b32_e32 v150, 0
	s_and_not1_b32 s7, s7, exec_lo
	s_delay_alu instid0(VALU_DEP_2) | instskip(NEXT) | instid1(SALU_CYCLE_1)
	s_and_b32 s24, vcc_lo, exec_lo
	s_or_b32 s7, s7, s24
	s_or_b32 exec_lo, exec_lo, s25
	s_and_saveexec_b32 s24, s7
	s_cbranch_execnz .LBB6_5527
	s_branch .LBB6_5528
.LBB6_7342:                             ;   in Loop: Header=BB6_5432 Depth=2
	s_mov_b32 s7, -1
	s_mov_b32 s26, exec_lo
                                        ; implicit-def: $sgpr24
	v_cmpx_eq_u16_e64 0x80, v148
; %bb.7343:                             ;   in Loop: Header=BB6_5432 Depth=2
	s_mov_b32 s24, 0x7f800001
	s_xor_b32 s7, exec_lo, -1
; %bb.7344:                             ;   in Loop: Header=BB6_5432 Depth=2
	s_or_b32 exec_lo, exec_lo, s26
	s_delay_alu instid0(SALU_CYCLE_1)
	s_and_b32 s7, s7, exec_lo
	s_or_saveexec_b32 s25, s25
	v_mov_b32_e32 v149, s24
	s_xor_b32 exec_lo, exec_lo, s25
	s_cbranch_execz .LBB6_5533
.LBB6_7345:                             ;   in Loop: Header=BB6_5432 Depth=2
	v_cmp_ne_u16_e64 vcc_lo, 0, v148
	v_mov_b32_e32 v149, 0
	s_and_not1_b32 s7, s7, exec_lo
	s_delay_alu instid0(VALU_DEP_2) | instskip(NEXT) | instid1(SALU_CYCLE_1)
	s_and_b32 s24, vcc_lo, exec_lo
	s_or_b32 s7, s7, s24
	s_or_b32 exec_lo, exec_lo, s25
	s_and_saveexec_b32 s24, s7
	s_cbranch_execnz .LBB6_5534
	s_branch .LBB6_5535
.LBB6_7346:                             ;   in Loop: Header=BB6_5432 Depth=2
	s_mov_b32 s7, -1
	s_mov_b32 s26, exec_lo
                                        ; implicit-def: $sgpr24
	v_cmpx_eq_u16_e64 0x80, v147
; %bb.7347:                             ;   in Loop: Header=BB6_5432 Depth=2
	s_mov_b32 s24, 0x7f800001
	s_xor_b32 s7, exec_lo, -1
; %bb.7348:                             ;   in Loop: Header=BB6_5432 Depth=2
	s_or_b32 exec_lo, exec_lo, s26
	s_delay_alu instid0(SALU_CYCLE_1)
	s_and_b32 s7, s7, exec_lo
	s_or_saveexec_b32 s25, s25
	v_mov_b32_e32 v48, s24
	s_xor_b32 exec_lo, exec_lo, s25
	s_cbranch_execz .LBB6_5537
.LBB6_7349:                             ;   in Loop: Header=BB6_5432 Depth=2
	v_cmp_ne_u16_e64 vcc_lo, 0, v147
	v_mov_b32_e32 v48, 0
	s_and_not1_b32 s7, s7, exec_lo
	s_delay_alu instid0(VALU_DEP_2) | instskip(NEXT) | instid1(SALU_CYCLE_1)
	s_and_b32 s24, vcc_lo, exec_lo
	s_or_b32 s7, s7, s24
	s_or_b32 exec_lo, exec_lo, s25
	s_and_saveexec_b32 s24, s7
	s_cbranch_execnz .LBB6_5538
	s_branch .LBB6_5539
.LBB6_7350:                             ;   in Loop: Header=BB6_5432 Depth=2
	s_mov_b32 s7, -1
	s_mov_b32 s26, exec_lo
                                        ; implicit-def: $sgpr24
	v_cmpx_eq_u16_e64 0x80, v147
; %bb.7351:                             ;   in Loop: Header=BB6_5432 Depth=2
	s_mov_b32 s24, 0x7f800001
	s_xor_b32 s7, exec_lo, -1
; %bb.7352:                             ;   in Loop: Header=BB6_5432 Depth=2
	s_or_b32 exec_lo, exec_lo, s26
	s_delay_alu instid0(SALU_CYCLE_1)
	s_and_b32 s7, s7, exec_lo
                                        ; implicit-def: $vgpr147
	s_or_saveexec_b32 s25, s25
	v_mov_b32_e32 v48, s24
	s_xor_b32 exec_lo, exec_lo, s25
	s_cbranch_execz .LBB6_5551
.LBB6_7353:                             ;   in Loop: Header=BB6_5432 Depth=2
	v_cmp_ne_u16_e64 vcc_lo, 0, v147
	v_mov_b32_e32 v48, 0
	s_and_not1_b32 s7, s7, exec_lo
	s_delay_alu instid0(VALU_DEP_2) | instskip(NEXT) | instid1(SALU_CYCLE_1)
	s_and_b32 s24, vcc_lo, exec_lo
	s_or_b32 s7, s7, s24
	s_or_b32 exec_lo, exec_lo, s25
	s_and_saveexec_b32 s24, s7
	s_cbranch_execnz .LBB6_5552
	s_branch .LBB6_5553
.LBB6_7354:                             ;   in Loop: Header=BB6_5432 Depth=2
	s_mov_b32 s7, -1
	s_mov_b32 s26, exec_lo
                                        ; implicit-def: $sgpr24
	v_cmpx_eq_u16_e64 0x80, v148
; %bb.7355:                             ;   in Loop: Header=BB6_5432 Depth=2
	s_mov_b32 s24, 0x7f800001
	s_xor_b32 s7, exec_lo, -1
; %bb.7356:                             ;   in Loop: Header=BB6_5432 Depth=2
	s_or_b32 exec_lo, exec_lo, s26
	s_delay_alu instid0(SALU_CYCLE_1)
	s_and_b32 s7, s7, exec_lo
                                        ; implicit-def: $vgpr148
	s_or_saveexec_b32 s25, s25
	v_mov_b32_e32 v147, s24
	s_xor_b32 exec_lo, exec_lo, s25
	s_cbranch_execz .LBB6_5555
.LBB6_7357:                             ;   in Loop: Header=BB6_5432 Depth=2
	v_cmp_ne_u16_e64 vcc_lo, 0, v148
	v_mov_b32_e32 v147, 0
	s_and_not1_b32 s7, s7, exec_lo
	s_delay_alu instid0(VALU_DEP_2) | instskip(NEXT) | instid1(SALU_CYCLE_1)
	s_and_b32 s24, vcc_lo, exec_lo
	s_or_b32 s7, s7, s24
	s_or_b32 exec_lo, exec_lo, s25
	s_and_saveexec_b32 s24, s7
	s_cbranch_execnz .LBB6_5556
	s_branch .LBB6_5557
.LBB6_7358:                             ;   in Loop: Header=BB6_5432 Depth=2
	s_mov_b32 s7, -1
	s_mov_b32 s26, exec_lo
                                        ; implicit-def: $sgpr24
	v_cmpx_eq_u16_e64 0x80, v147
; %bb.7359:                             ;   in Loop: Header=BB6_5432 Depth=2
	s_mov_b32 s24, 0x7f800001
	s_xor_b32 s7, exec_lo, -1
; %bb.7360:                             ;   in Loop: Header=BB6_5432 Depth=2
	s_or_b32 exec_lo, exec_lo, s26
	s_delay_alu instid0(SALU_CYCLE_1)
	s_and_b32 s7, s7, exec_lo
                                        ; implicit-def: $vgpr147
	s_or_saveexec_b32 s25, s25
	v_mov_b32_e32 v48, s24
	s_xor_b32 exec_lo, exec_lo, s25
	s_cbranch_execz .LBB6_5562
.LBB6_7361:                             ;   in Loop: Header=BB6_5432 Depth=2
	v_cmp_ne_u16_e64 vcc_lo, 0, v147
	v_mov_b32_e32 v48, 0
	s_and_not1_b32 s7, s7, exec_lo
	s_delay_alu instid0(VALU_DEP_2) | instskip(NEXT) | instid1(SALU_CYCLE_1)
	s_and_b32 s24, vcc_lo, exec_lo
	s_or_b32 s7, s7, s24
	s_or_b32 exec_lo, exec_lo, s25
	s_and_saveexec_b32 s24, s7
	s_cbranch_execnz .LBB6_5563
	s_branch .LBB6_5564
.LBB6_7362:                             ;   in Loop: Header=BB6_5432 Depth=2
	s_mov_b32 s7, -1
	s_mov_b32 s26, exec_lo
                                        ; implicit-def: $sgpr24
	v_cmpx_eq_u16_e64 0x80, v148
; %bb.7363:                             ;   in Loop: Header=BB6_5432 Depth=2
	s_mov_b32 s24, 0x7f800001
	s_xor_b32 s7, exec_lo, -1
; %bb.7364:                             ;   in Loop: Header=BB6_5432 Depth=2
	s_or_b32 exec_lo, exec_lo, s26
	s_delay_alu instid0(SALU_CYCLE_1)
	s_and_b32 s7, s7, exec_lo
                                        ; implicit-def: $vgpr148
	s_or_saveexec_b32 s25, s25
	v_mov_b32_e32 v147, s24
	s_xor_b32 exec_lo, exec_lo, s25
	s_cbranch_execz .LBB6_5566
.LBB6_7365:                             ;   in Loop: Header=BB6_5432 Depth=2
	v_cmp_ne_u16_e64 vcc_lo, 0, v148
	v_mov_b32_e32 v147, 0
	s_and_not1_b32 s7, s7, exec_lo
	s_delay_alu instid0(VALU_DEP_2) | instskip(NEXT) | instid1(SALU_CYCLE_1)
	s_and_b32 s24, vcc_lo, exec_lo
	s_or_b32 s7, s7, s24
	s_or_b32 exec_lo, exec_lo, s25
	s_and_saveexec_b32 s24, s7
	s_cbranch_execnz .LBB6_5567
	s_branch .LBB6_5568
.LBB6_7366:                             ;   in Loop: Header=BB6_5432 Depth=2
	s_mov_b32 s7, -1
	s_mov_b32 s26, exec_lo
                                        ; implicit-def: $sgpr24
	v_cmpx_eq_u16_e64 0x80, v148
; %bb.7367:                             ;   in Loop: Header=BB6_5432 Depth=2
	s_mov_b32 s24, 0x7f800001
	s_xor_b32 s7, exec_lo, -1
; %bb.7368:                             ;   in Loop: Header=BB6_5432 Depth=2
	s_or_b32 exec_lo, exec_lo, s26
	s_delay_alu instid0(SALU_CYCLE_1)
	s_and_b32 s7, s7, exec_lo
	s_or_saveexec_b32 s25, s25
	v_mov_b32_e32 v149, s24
	s_xor_b32 exec_lo, exec_lo, s25
	s_cbranch_execz .LBB6_5580
.LBB6_7369:                             ;   in Loop: Header=BB6_5432 Depth=2
	v_cmp_ne_u16_e64 vcc_lo, 0, v148
	v_mov_b32_e32 v149, 0
	s_and_not1_b32 s7, s7, exec_lo
	s_delay_alu instid0(VALU_DEP_2) | instskip(NEXT) | instid1(SALU_CYCLE_1)
	s_and_b32 s24, vcc_lo, exec_lo
	s_or_b32 s7, s7, s24
	s_or_b32 exec_lo, exec_lo, s25
	s_and_saveexec_b32 s24, s7
	s_cbranch_execnz .LBB6_5581
	s_branch .LBB6_5582
.LBB6_7370:                             ;   in Loop: Header=BB6_5432 Depth=2
	s_mov_b32 s7, -1
	s_mov_b32 s26, exec_lo
                                        ; implicit-def: $sgpr24
	v_cmpx_eq_u16_e64 0x80, v147
; %bb.7371:                             ;   in Loop: Header=BB6_5432 Depth=2
	s_mov_b32 s24, 0x7f800001
	s_xor_b32 s7, exec_lo, -1
; %bb.7372:                             ;   in Loop: Header=BB6_5432 Depth=2
	s_or_b32 exec_lo, exec_lo, s26
	s_delay_alu instid0(SALU_CYCLE_1)
	s_and_b32 s7, s7, exec_lo
	s_or_saveexec_b32 s25, s25
	v_mov_b32_e32 v150, s24
	s_xor_b32 exec_lo, exec_lo, s25
	s_cbranch_execz .LBB6_5584
.LBB6_7373:                             ;   in Loop: Header=BB6_5432 Depth=2
	v_cmp_ne_u16_e64 vcc_lo, 0, v147
	v_mov_b32_e32 v150, 0
	s_and_not1_b32 s7, s7, exec_lo
	s_delay_alu instid0(VALU_DEP_2) | instskip(NEXT) | instid1(SALU_CYCLE_1)
	s_and_b32 s24, vcc_lo, exec_lo
	s_or_b32 s7, s7, s24
	s_or_b32 exec_lo, exec_lo, s25
	s_and_saveexec_b32 s24, s7
	s_cbranch_execnz .LBB6_5585
	s_branch .LBB6_5586
.LBB6_7374:                             ;   in Loop: Header=BB6_5432 Depth=2
	s_mov_b32 s7, -1
	s_mov_b32 s26, exec_lo
                                        ; implicit-def: $sgpr24
	v_cmpx_eq_u16_e64 0x80, v148
; %bb.7375:                             ;   in Loop: Header=BB6_5432 Depth=2
	s_mov_b32 s24, 0x7f800001
	s_xor_b32 s7, exec_lo, -1
; %bb.7376:                             ;   in Loop: Header=BB6_5432 Depth=2
	s_or_b32 exec_lo, exec_lo, s26
	s_delay_alu instid0(SALU_CYCLE_1)
	s_and_b32 s7, s7, exec_lo
	s_or_saveexec_b32 s25, s25
	v_mov_b32_e32 v149, s24
	s_xor_b32 exec_lo, exec_lo, s25
	s_cbranch_execz .LBB6_5591
.LBB6_7377:                             ;   in Loop: Header=BB6_5432 Depth=2
	v_cmp_ne_u16_e64 vcc_lo, 0, v148
	v_mov_b32_e32 v149, 0
	s_and_not1_b32 s7, s7, exec_lo
	s_delay_alu instid0(VALU_DEP_2) | instskip(NEXT) | instid1(SALU_CYCLE_1)
	s_and_b32 s24, vcc_lo, exec_lo
	s_or_b32 s7, s7, s24
	s_or_b32 exec_lo, exec_lo, s25
	s_and_saveexec_b32 s24, s7
	s_cbranch_execnz .LBB6_5592
	s_branch .LBB6_5593
.LBB6_7378:                             ;   in Loop: Header=BB6_5432 Depth=2
	s_mov_b32 s7, -1
	s_mov_b32 s26, exec_lo
                                        ; implicit-def: $sgpr24
	v_cmpx_eq_u16_e64 0x80, v147
; %bb.7379:                             ;   in Loop: Header=BB6_5432 Depth=2
	s_mov_b32 s24, 0x7f800001
	s_xor_b32 s7, exec_lo, -1
; %bb.7380:                             ;   in Loop: Header=BB6_5432 Depth=2
	s_or_b32 exec_lo, exec_lo, s26
	s_delay_alu instid0(SALU_CYCLE_1)
	s_and_b32 s7, s7, exec_lo
	s_or_saveexec_b32 s25, s25
	v_mov_b32_e32 v148, s24
	s_xor_b32 exec_lo, exec_lo, s25
	s_cbranch_execz .LBB6_5595
.LBB6_7381:                             ;   in Loop: Header=BB6_5432 Depth=2
	v_cmp_ne_u16_e64 vcc_lo, 0, v147
	v_mov_b32_e32 v148, 0
	s_and_not1_b32 s7, s7, exec_lo
	s_delay_alu instid0(VALU_DEP_2) | instskip(NEXT) | instid1(SALU_CYCLE_1)
	s_and_b32 s24, vcc_lo, exec_lo
	s_or_b32 s7, s7, s24
	s_or_b32 exec_lo, exec_lo, s25
	s_and_saveexec_b32 s24, s7
	s_cbranch_execnz .LBB6_5596
	s_branch .LBB6_5597
.LBB6_7382:                             ;   in Loop: Header=BB6_5432 Depth=2
	s_mov_b32 s7, -1
	s_mov_b32 s26, exec_lo
                                        ; implicit-def: $sgpr24
	v_cmpx_eq_u16_e64 0x80, v151
; %bb.7383:                             ;   in Loop: Header=BB6_5432 Depth=2
	s_mov_b32 s24, 0x7f800001
	s_xor_b32 s7, exec_lo, -1
; %bb.7384:                             ;   in Loop: Header=BB6_5432 Depth=2
	s_or_b32 exec_lo, exec_lo, s26
	s_delay_alu instid0(SALU_CYCLE_1)
	s_and_b32 s7, s7, exec_lo
                                        ; implicit-def: $vgpr151
	s_or_saveexec_b32 s25, s25
	v_mov_b32_e32 v150, s24
	s_xor_b32 exec_lo, exec_lo, s25
	s_cbranch_execz .LBB6_5609
.LBB6_7385:                             ;   in Loop: Header=BB6_5432 Depth=2
	v_cmp_ne_u16_e64 vcc_lo, 0, v151
	v_mov_b32_e32 v150, 0
	s_and_not1_b32 s7, s7, exec_lo
	s_delay_alu instid0(VALU_DEP_2) | instskip(NEXT) | instid1(SALU_CYCLE_1)
	s_and_b32 s24, vcc_lo, exec_lo
	s_or_b32 s7, s7, s24
	s_or_b32 exec_lo, exec_lo, s25
	s_and_saveexec_b32 s24, s7
	s_cbranch_execnz .LBB6_5610
	s_branch .LBB6_5611
.LBB6_7386:                             ;   in Loop: Header=BB6_5432 Depth=2
	s_mov_b32 s7, -1
	s_mov_b32 s26, exec_lo
                                        ; implicit-def: $sgpr24
	v_cmpx_eq_u16_e64 0x80, v160
; %bb.7387:                             ;   in Loop: Header=BB6_5432 Depth=2
	s_mov_b32 s24, 0x7f800001
	s_xor_b32 s7, exec_lo, -1
; %bb.7388:                             ;   in Loop: Header=BB6_5432 Depth=2
	s_or_b32 exec_lo, exec_lo, s26
	s_delay_alu instid0(SALU_CYCLE_1)
	s_and_b32 s7, s7, exec_lo
                                        ; implicit-def: $vgpr160
	s_or_saveexec_b32 s25, s25
	v_mov_b32_e32 v151, s24
	s_xor_b32 exec_lo, exec_lo, s25
	s_cbranch_execz .LBB6_5613
.LBB6_7389:                             ;   in Loop: Header=BB6_5432 Depth=2
	v_cmp_ne_u16_e64 vcc_lo, 0, v160
	v_mov_b32_e32 v151, 0
	s_and_not1_b32 s7, s7, exec_lo
	s_delay_alu instid0(VALU_DEP_2) | instskip(NEXT) | instid1(SALU_CYCLE_1)
	s_and_b32 s24, vcc_lo, exec_lo
	s_or_b32 s7, s7, s24
	s_or_b32 exec_lo, exec_lo, s25
	s_and_saveexec_b32 s24, s7
	s_cbranch_execnz .LBB6_5614
	s_branch .LBB6_5615
.LBB6_7390:                             ;   in Loop: Header=BB6_5432 Depth=2
	s_mov_b32 s7, -1
	s_mov_b32 s26, exec_lo
                                        ; implicit-def: $sgpr24
	v_cmpx_eq_u16_e64 0x80, v151
; %bb.7391:                             ;   in Loop: Header=BB6_5432 Depth=2
	s_mov_b32 s24, 0x7f800001
	s_xor_b32 s7, exec_lo, -1
; %bb.7392:                             ;   in Loop: Header=BB6_5432 Depth=2
	s_or_b32 exec_lo, exec_lo, s26
	s_delay_alu instid0(SALU_CYCLE_1)
	s_and_b32 s7, s7, exec_lo
                                        ; implicit-def: $vgpr151
	s_or_saveexec_b32 s25, s25
	v_mov_b32_e32 v150, s24
	s_xor_b32 exec_lo, exec_lo, s25
	s_cbranch_execz .LBB6_5620
.LBB6_7393:                             ;   in Loop: Header=BB6_5432 Depth=2
	v_cmp_ne_u16_e64 vcc_lo, 0, v151
	v_mov_b32_e32 v150, 0
	s_and_not1_b32 s7, s7, exec_lo
	s_delay_alu instid0(VALU_DEP_2) | instskip(NEXT) | instid1(SALU_CYCLE_1)
	s_and_b32 s24, vcc_lo, exec_lo
	s_or_b32 s7, s7, s24
	s_or_b32 exec_lo, exec_lo, s25
	s_and_saveexec_b32 s24, s7
	s_cbranch_execnz .LBB6_5621
	s_branch .LBB6_5622
.LBB6_7394:                             ;   in Loop: Header=BB6_5432 Depth=2
	s_mov_b32 s7, -1
	s_mov_b32 s26, exec_lo
                                        ; implicit-def: $sgpr24
	v_cmpx_eq_u16_e64 0x80, v151
; %bb.7395:                             ;   in Loop: Header=BB6_5432 Depth=2
	s_mov_b32 s24, 0x7f800001
	s_xor_b32 s7, exec_lo, -1
; %bb.7396:                             ;   in Loop: Header=BB6_5432 Depth=2
	s_or_b32 exec_lo, exec_lo, s26
	s_delay_alu instid0(SALU_CYCLE_1)
	s_and_b32 s7, s7, exec_lo
                                        ; implicit-def: $vgpr151
	s_or_saveexec_b32 s25, s25
	v_mov_b32_e32 v149, s24
	s_xor_b32 exec_lo, exec_lo, s25
	s_cbranch_execz .LBB6_5624
.LBB6_7397:                             ;   in Loop: Header=BB6_5432 Depth=2
	v_cmp_ne_u16_e64 vcc_lo, 0, v151
	v_mov_b32_e32 v149, 0
	s_and_not1_b32 s7, s7, exec_lo
	s_delay_alu instid0(VALU_DEP_2) | instskip(NEXT) | instid1(SALU_CYCLE_1)
	s_and_b32 s24, vcc_lo, exec_lo
	s_or_b32 s7, s7, s24
	s_or_b32 exec_lo, exec_lo, s25
	s_and_saveexec_b32 s24, s7
	s_cbranch_execnz .LBB6_5625
	s_branch .LBB6_5626
.LBB6_7398:                             ;   in Loop: Header=BB6_5432 Depth=2
	s_mov_b32 s7, -1
	s_mov_b32 s26, exec_lo
                                        ; implicit-def: $sgpr24
	v_cmpx_eq_u16_e64 0x80, v150
; %bb.7399:                             ;   in Loop: Header=BB6_5432 Depth=2
	s_mov_b32 s24, 0x7f800001
	s_xor_b32 s7, exec_lo, -1
; %bb.7400:                             ;   in Loop: Header=BB6_5432 Depth=2
	s_or_b32 exec_lo, exec_lo, s26
	s_delay_alu instid0(SALU_CYCLE_1)
	s_and_b32 s7, s7, exec_lo
	s_or_saveexec_b32 s25, s25
	v_mov_b32_e32 v151, s24
	s_xor_b32 exec_lo, exec_lo, s25
	s_cbranch_execz .LBB6_5638
.LBB6_7401:                             ;   in Loop: Header=BB6_5432 Depth=2
	v_cmp_ne_u16_e64 vcc_lo, 0, v150
	v_mov_b32_e32 v151, 0
	s_and_not1_b32 s7, s7, exec_lo
	s_delay_alu instid0(VALU_DEP_2) | instskip(NEXT) | instid1(SALU_CYCLE_1)
	s_and_b32 s24, vcc_lo, exec_lo
	s_or_b32 s7, s7, s24
	s_or_b32 exec_lo, exec_lo, s25
	s_and_saveexec_b32 s24, s7
	s_cbranch_execnz .LBB6_5639
	s_branch .LBB6_5640
.LBB6_7402:                             ;   in Loop: Header=BB6_5432 Depth=2
	s_mov_b32 s7, -1
	s_mov_b32 s26, exec_lo
                                        ; implicit-def: $sgpr24
	v_cmpx_eq_u16_e64 0x80, v149
; %bb.7403:                             ;   in Loop: Header=BB6_5432 Depth=2
	s_mov_b32 s24, 0x7f800001
	s_xor_b32 s7, exec_lo, -1
; %bb.7404:                             ;   in Loop: Header=BB6_5432 Depth=2
	s_or_b32 exec_lo, exec_lo, s26
	s_delay_alu instid0(SALU_CYCLE_1)
	s_and_b32 s7, s7, exec_lo
	s_or_saveexec_b32 s25, s25
	v_mov_b32_e32 v160, s24
	s_xor_b32 exec_lo, exec_lo, s25
	s_cbranch_execz .LBB6_5642
.LBB6_7405:                             ;   in Loop: Header=BB6_5432 Depth=2
	v_cmp_ne_u16_e64 vcc_lo, 0, v149
	v_mov_b32_e32 v160, 0
	s_and_not1_b32 s7, s7, exec_lo
	s_delay_alu instid0(VALU_DEP_2) | instskip(NEXT) | instid1(SALU_CYCLE_1)
	s_and_b32 s24, vcc_lo, exec_lo
	s_or_b32 s7, s7, s24
	s_or_b32 exec_lo, exec_lo, s25
	s_and_saveexec_b32 s24, s7
	s_cbranch_execnz .LBB6_5643
	s_branch .LBB6_5644
.LBB6_7406:                             ;   in Loop: Header=BB6_5432 Depth=2
	s_mov_b32 s7, -1
	s_mov_b32 s26, exec_lo
                                        ; implicit-def: $sgpr24
	v_cmpx_eq_u16_e64 0x80, v150
; %bb.7407:                             ;   in Loop: Header=BB6_5432 Depth=2
	s_mov_b32 s24, 0x7f800001
	s_xor_b32 s7, exec_lo, -1
; %bb.7408:                             ;   in Loop: Header=BB6_5432 Depth=2
	s_or_b32 exec_lo, exec_lo, s26
	s_delay_alu instid0(SALU_CYCLE_1)
	s_and_b32 s7, s7, exec_lo
	s_or_saveexec_b32 s25, s25
	v_mov_b32_e32 v151, s24
	s_xor_b32 exec_lo, exec_lo, s25
	s_cbranch_execz .LBB6_5649
.LBB6_7409:                             ;   in Loop: Header=BB6_5432 Depth=2
	v_cmp_ne_u16_e64 vcc_lo, 0, v150
	v_mov_b32_e32 v151, 0
	s_and_not1_b32 s7, s7, exec_lo
	s_delay_alu instid0(VALU_DEP_2) | instskip(NEXT) | instid1(SALU_CYCLE_1)
	s_and_b32 s24, vcc_lo, exec_lo
	s_or_b32 s7, s7, s24
	s_or_b32 exec_lo, exec_lo, s25
	s_and_saveexec_b32 s24, s7
	s_cbranch_execnz .LBB6_5650
	s_branch .LBB6_5651
.LBB6_7410:                             ;   in Loop: Header=BB6_5432 Depth=2
	s_mov_b32 s7, -1
	s_mov_b32 s26, exec_lo
                                        ; implicit-def: $sgpr24
	v_cmpx_eq_u16_e64 0x80, v149
; %bb.7411:                             ;   in Loop: Header=BB6_5432 Depth=2
	s_mov_b32 s24, 0x7f800001
	s_xor_b32 s7, exec_lo, -1
; %bb.7412:                             ;   in Loop: Header=BB6_5432 Depth=2
	s_or_b32 exec_lo, exec_lo, s26
	s_delay_alu instid0(SALU_CYCLE_1)
	s_and_b32 s7, s7, exec_lo
	s_or_saveexec_b32 s25, s25
	v_mov_b32_e32 v49, s24
	s_xor_b32 exec_lo, exec_lo, s25
	s_cbranch_execz .LBB6_5653
.LBB6_7413:                             ;   in Loop: Header=BB6_5432 Depth=2
	v_cmp_ne_u16_e64 vcc_lo, 0, v149
	v_mov_b32_e32 v49, 0
	s_and_not1_b32 s7, s7, exec_lo
	s_delay_alu instid0(VALU_DEP_2) | instskip(NEXT) | instid1(SALU_CYCLE_1)
	s_and_b32 s24, vcc_lo, exec_lo
	s_or_b32 s7, s7, s24
	s_or_b32 exec_lo, exec_lo, s25
	s_and_saveexec_b32 s24, s7
	s_cbranch_execnz .LBB6_5654
	s_branch .LBB6_5655
.LBB6_7414:                             ;   in Loop: Header=BB6_5432 Depth=2
	s_mov_b32 s7, -1
	s_mov_b32 s26, exec_lo
                                        ; implicit-def: $sgpr24
	v_cmpx_eq_u16_e64 0x80, v149
; %bb.7415:                             ;   in Loop: Header=BB6_5432 Depth=2
	s_mov_b32 s24, 0x7f800001
	s_xor_b32 s7, exec_lo, -1
; %bb.7416:                             ;   in Loop: Header=BB6_5432 Depth=2
	s_or_b32 exec_lo, exec_lo, s26
	s_delay_alu instid0(SALU_CYCLE_1)
	s_and_b32 s7, s7, exec_lo
                                        ; implicit-def: $vgpr149
	s_or_saveexec_b32 s25, s25
	v_mov_b32_e32 v49, s24
	s_xor_b32 exec_lo, exec_lo, s25
	s_cbranch_execz .LBB6_5667
.LBB6_7417:                             ;   in Loop: Header=BB6_5432 Depth=2
	v_cmp_ne_u16_e64 vcc_lo, 0, v149
	v_mov_b32_e32 v49, 0
	s_and_not1_b32 s7, s7, exec_lo
	s_delay_alu instid0(VALU_DEP_2) | instskip(NEXT) | instid1(SALU_CYCLE_1)
	s_and_b32 s24, vcc_lo, exec_lo
	s_or_b32 s7, s7, s24
	s_or_b32 exec_lo, exec_lo, s25
	s_and_saveexec_b32 s24, s7
	s_cbranch_execnz .LBB6_5668
	s_branch .LBB6_5669
.LBB6_7418:                             ;   in Loop: Header=BB6_5432 Depth=2
	s_mov_b32 s7, -1
	s_mov_b32 s26, exec_lo
                                        ; implicit-def: $sgpr24
	v_cmpx_eq_u16_e64 0x80, v150
; %bb.7419:                             ;   in Loop: Header=BB6_5432 Depth=2
	s_mov_b32 s24, 0x7f800001
	s_xor_b32 s7, exec_lo, -1
; %bb.7420:                             ;   in Loop: Header=BB6_5432 Depth=2
	s_or_b32 exec_lo, exec_lo, s26
	s_delay_alu instid0(SALU_CYCLE_1)
	s_and_b32 s7, s7, exec_lo
                                        ; implicit-def: $vgpr150
	s_or_saveexec_b32 s25, s25
	v_mov_b32_e32 v149, s24
	s_xor_b32 exec_lo, exec_lo, s25
	s_cbranch_execz .LBB6_5671
.LBB6_7421:                             ;   in Loop: Header=BB6_5432 Depth=2
	v_cmp_ne_u16_e64 vcc_lo, 0, v150
	v_mov_b32_e32 v149, 0
	s_and_not1_b32 s7, s7, exec_lo
	s_delay_alu instid0(VALU_DEP_2) | instskip(NEXT) | instid1(SALU_CYCLE_1)
	s_and_b32 s24, vcc_lo, exec_lo
	s_or_b32 s7, s7, s24
	s_or_b32 exec_lo, exec_lo, s25
	s_and_saveexec_b32 s24, s7
	s_cbranch_execnz .LBB6_5672
	s_branch .LBB6_5673
.LBB6_7422:                             ;   in Loop: Header=BB6_5432 Depth=2
	s_mov_b32 s7, -1
	s_mov_b32 s26, exec_lo
                                        ; implicit-def: $sgpr24
	v_cmpx_eq_u16_e64 0x80, v149
; %bb.7423:                             ;   in Loop: Header=BB6_5432 Depth=2
	s_mov_b32 s24, 0x7f800001
	s_xor_b32 s7, exec_lo, -1
; %bb.7424:                             ;   in Loop: Header=BB6_5432 Depth=2
	s_or_b32 exec_lo, exec_lo, s26
	s_delay_alu instid0(SALU_CYCLE_1)
	s_and_b32 s7, s7, exec_lo
                                        ; implicit-def: $vgpr149
	s_or_saveexec_b32 s25, s25
	v_mov_b32_e32 v49, s24
	s_xor_b32 exec_lo, exec_lo, s25
	s_cbranch_execz .LBB6_5678
.LBB6_7425:                             ;   in Loop: Header=BB6_5432 Depth=2
	v_cmp_ne_u16_e64 vcc_lo, 0, v149
	v_mov_b32_e32 v49, 0
	s_and_not1_b32 s7, s7, exec_lo
	s_delay_alu instid0(VALU_DEP_2) | instskip(NEXT) | instid1(SALU_CYCLE_1)
	s_and_b32 s24, vcc_lo, exec_lo
	s_or_b32 s7, s7, s24
	s_or_b32 exec_lo, exec_lo, s25
	s_and_saveexec_b32 s24, s7
	s_cbranch_execnz .LBB6_5679
	s_branch .LBB6_5680
.LBB6_7426:                             ;   in Loop: Header=BB6_5432 Depth=2
	s_mov_b32 s7, -1
	s_mov_b32 s26, exec_lo
                                        ; implicit-def: $sgpr24
	v_cmpx_eq_u16_e64 0x80, v150
; %bb.7427:                             ;   in Loop: Header=BB6_5432 Depth=2
	s_mov_b32 s24, 0x7f800001
	s_xor_b32 s7, exec_lo, -1
; %bb.7428:                             ;   in Loop: Header=BB6_5432 Depth=2
	s_or_b32 exec_lo, exec_lo, s26
	s_delay_alu instid0(SALU_CYCLE_1)
	s_and_b32 s7, s7, exec_lo
                                        ; implicit-def: $vgpr150
	s_or_saveexec_b32 s25, s25
	v_mov_b32_e32 v149, s24
	s_xor_b32 exec_lo, exec_lo, s25
	s_cbranch_execz .LBB6_5682
.LBB6_7429:                             ;   in Loop: Header=BB6_5432 Depth=2
	v_cmp_ne_u16_e64 vcc_lo, 0, v150
	v_mov_b32_e32 v149, 0
	s_and_not1_b32 s7, s7, exec_lo
	s_delay_alu instid0(VALU_DEP_2) | instskip(NEXT) | instid1(SALU_CYCLE_1)
	s_and_b32 s24, vcc_lo, exec_lo
	s_or_b32 s7, s7, s24
	s_or_b32 exec_lo, exec_lo, s25
	s_and_saveexec_b32 s24, s7
	s_cbranch_execnz .LBB6_5683
	s_branch .LBB6_5684
.LBB6_7430:                             ;   in Loop: Header=BB6_5432 Depth=2
	s_mov_b32 s7, -1
	s_mov_b32 s26, exec_lo
                                        ; implicit-def: $sgpr24
	v_cmpx_eq_u16_e64 0x80, v150
; %bb.7431:                             ;   in Loop: Header=BB6_5432 Depth=2
	s_mov_b32 s24, 0x7f800001
	s_xor_b32 s7, exec_lo, -1
; %bb.7432:                             ;   in Loop: Header=BB6_5432 Depth=2
	s_or_b32 exec_lo, exec_lo, s26
	s_delay_alu instid0(SALU_CYCLE_1)
	s_and_b32 s7, s7, exec_lo
	s_or_saveexec_b32 s25, s25
	v_mov_b32_e32 v151, s24
	s_xor_b32 exec_lo, exec_lo, s25
	s_cbranch_execz .LBB6_5696
.LBB6_7433:                             ;   in Loop: Header=BB6_5432 Depth=2
	v_cmp_ne_u16_e64 vcc_lo, 0, v150
	v_mov_b32_e32 v151, 0
	s_and_not1_b32 s7, s7, exec_lo
	s_delay_alu instid0(VALU_DEP_2) | instskip(NEXT) | instid1(SALU_CYCLE_1)
	s_and_b32 s24, vcc_lo, exec_lo
	s_or_b32 s7, s7, s24
	s_or_b32 exec_lo, exec_lo, s25
	s_and_saveexec_b32 s24, s7
	s_cbranch_execnz .LBB6_5697
	s_branch .LBB6_5698
.LBB6_7434:                             ;   in Loop: Header=BB6_5432 Depth=2
	s_mov_b32 s7, -1
	s_mov_b32 s26, exec_lo
                                        ; implicit-def: $sgpr24
	v_cmpx_eq_u16_e64 0x80, v149
; %bb.7435:                             ;   in Loop: Header=BB6_5432 Depth=2
	s_mov_b32 s24, 0x7f800001
	s_xor_b32 s7, exec_lo, -1
; %bb.7436:                             ;   in Loop: Header=BB6_5432 Depth=2
	s_or_b32 exec_lo, exec_lo, s26
	s_delay_alu instid0(SALU_CYCLE_1)
	s_and_b32 s7, s7, exec_lo
	s_or_saveexec_b32 s25, s25
	v_mov_b32_e32 v160, s24
	s_xor_b32 exec_lo, exec_lo, s25
	s_cbranch_execz .LBB6_5700
.LBB6_7437:                             ;   in Loop: Header=BB6_5432 Depth=2
	v_cmp_ne_u16_e64 vcc_lo, 0, v149
	v_mov_b32_e32 v160, 0
	s_and_not1_b32 s7, s7, exec_lo
	s_delay_alu instid0(VALU_DEP_2) | instskip(NEXT) | instid1(SALU_CYCLE_1)
	s_and_b32 s24, vcc_lo, exec_lo
	s_or_b32 s7, s7, s24
	s_or_b32 exec_lo, exec_lo, s25
	s_and_saveexec_b32 s24, s7
	s_cbranch_execnz .LBB6_5701
	s_branch .LBB6_5702
.LBB6_7438:                             ;   in Loop: Header=BB6_5432 Depth=2
	s_mov_b32 s7, -1
	s_mov_b32 s26, exec_lo
                                        ; implicit-def: $sgpr24
	v_cmpx_eq_u16_e64 0x80, v150
; %bb.7439:                             ;   in Loop: Header=BB6_5432 Depth=2
	s_mov_b32 s24, 0x7f800001
	s_xor_b32 s7, exec_lo, -1
; %bb.7440:                             ;   in Loop: Header=BB6_5432 Depth=2
	s_or_b32 exec_lo, exec_lo, s26
	s_delay_alu instid0(SALU_CYCLE_1)
	s_and_b32 s7, s7, exec_lo
	s_or_saveexec_b32 s25, s25
	v_mov_b32_e32 v151, s24
	s_xor_b32 exec_lo, exec_lo, s25
	s_cbranch_execz .LBB6_5707
.LBB6_7441:                             ;   in Loop: Header=BB6_5432 Depth=2
	v_cmp_ne_u16_e64 vcc_lo, 0, v150
	v_mov_b32_e32 v151, 0
	s_and_not1_b32 s7, s7, exec_lo
	s_delay_alu instid0(VALU_DEP_2) | instskip(NEXT) | instid1(SALU_CYCLE_1)
	s_and_b32 s24, vcc_lo, exec_lo
	s_or_b32 s7, s7, s24
	s_or_b32 exec_lo, exec_lo, s25
	s_and_saveexec_b32 s24, s7
	s_cbranch_execnz .LBB6_5708
	s_branch .LBB6_5709
.LBB6_7442:                             ;   in Loop: Header=BB6_5432 Depth=2
	s_mov_b32 s7, -1
	s_mov_b32 s26, exec_lo
                                        ; implicit-def: $sgpr24
	v_cmpx_eq_u16_e64 0x80, v149
; %bb.7443:                             ;   in Loop: Header=BB6_5432 Depth=2
	s_mov_b32 s24, 0x7f800001
	s_xor_b32 s7, exec_lo, -1
; %bb.7444:                             ;   in Loop: Header=BB6_5432 Depth=2
	s_or_b32 exec_lo, exec_lo, s26
	s_delay_alu instid0(SALU_CYCLE_1)
	s_and_b32 s7, s7, exec_lo
	s_or_saveexec_b32 s25, s25
	v_mov_b32_e32 v150, s24
	s_xor_b32 exec_lo, exec_lo, s25
	s_cbranch_execz .LBB6_5711
.LBB6_7445:                             ;   in Loop: Header=BB6_5432 Depth=2
	v_cmp_ne_u16_e64 vcc_lo, 0, v149
	v_mov_b32_e32 v150, 0
	s_and_not1_b32 s7, s7, exec_lo
	s_delay_alu instid0(VALU_DEP_2) | instskip(NEXT) | instid1(SALU_CYCLE_1)
	s_and_b32 s24, vcc_lo, exec_lo
	s_or_b32 s7, s7, s24
	s_or_b32 exec_lo, exec_lo, s25
	s_and_saveexec_b32 s24, s7
	s_cbranch_execnz .LBB6_5712
	s_branch .LBB6_5713
.LBB6_7446:                             ;   in Loop: Header=BB6_5432 Depth=2
	s_mov_b32 s7, -1
	s_mov_b32 s26, exec_lo
                                        ; implicit-def: $sgpr24
	v_cmpx_eq_u16_e64 0x80, v161
; %bb.7447:                             ;   in Loop: Header=BB6_5432 Depth=2
	s_mov_b32 s24, 0x7f800001
	s_xor_b32 s7, exec_lo, -1
; %bb.7448:                             ;   in Loop: Header=BB6_5432 Depth=2
	s_or_b32 exec_lo, exec_lo, s26
	s_delay_alu instid0(SALU_CYCLE_1)
	s_and_b32 s7, s7, exec_lo
                                        ; implicit-def: $vgpr161
	s_or_saveexec_b32 s25, s25
	v_mov_b32_e32 v160, s24
	s_xor_b32 exec_lo, exec_lo, s25
	s_cbranch_execz .LBB6_5725
.LBB6_7449:                             ;   in Loop: Header=BB6_5432 Depth=2
	v_cmp_ne_u16_e64 vcc_lo, 0, v161
	v_mov_b32_e32 v160, 0
	s_and_not1_b32 s7, s7, exec_lo
	s_delay_alu instid0(VALU_DEP_2) | instskip(NEXT) | instid1(SALU_CYCLE_1)
	s_and_b32 s24, vcc_lo, exec_lo
	s_or_b32 s7, s7, s24
	s_or_b32 exec_lo, exec_lo, s25
	s_and_saveexec_b32 s24, s7
	s_cbranch_execnz .LBB6_5726
	s_branch .LBB6_5727
.LBB6_7450:                             ;   in Loop: Header=BB6_5432 Depth=2
	s_mov_b32 s7, -1
	s_mov_b32 s26, exec_lo
                                        ; implicit-def: $sgpr24
	v_cmpx_eq_u16_e64 0x80, v162
; %bb.7451:                             ;   in Loop: Header=BB6_5432 Depth=2
	s_mov_b32 s24, 0x7f800001
	s_xor_b32 s7, exec_lo, -1
; %bb.7452:                             ;   in Loop: Header=BB6_5432 Depth=2
	s_or_b32 exec_lo, exec_lo, s26
	s_delay_alu instid0(SALU_CYCLE_1)
	s_and_b32 s7, s7, exec_lo
                                        ; implicit-def: $vgpr162
	s_or_saveexec_b32 s25, s25
	v_mov_b32_e32 v161, s24
	s_xor_b32 exec_lo, exec_lo, s25
	s_cbranch_execz .LBB6_5729
.LBB6_7453:                             ;   in Loop: Header=BB6_5432 Depth=2
	v_cmp_ne_u16_e64 vcc_lo, 0, v162
	v_mov_b32_e32 v161, 0
	s_and_not1_b32 s7, s7, exec_lo
	s_delay_alu instid0(VALU_DEP_2) | instskip(NEXT) | instid1(SALU_CYCLE_1)
	s_and_b32 s24, vcc_lo, exec_lo
	s_or_b32 s7, s7, s24
	s_or_b32 exec_lo, exec_lo, s25
	s_and_saveexec_b32 s24, s7
	s_cbranch_execnz .LBB6_5730
	s_branch .LBB6_5731
.LBB6_7454:                             ;   in Loop: Header=BB6_5432 Depth=2
	s_mov_b32 s7, -1
	s_mov_b32 s26, exec_lo
                                        ; implicit-def: $sgpr24
	v_cmpx_eq_u16_e64 0x80, v161
; %bb.7455:                             ;   in Loop: Header=BB6_5432 Depth=2
	s_mov_b32 s24, 0x7f800001
	s_xor_b32 s7, exec_lo, -1
; %bb.7456:                             ;   in Loop: Header=BB6_5432 Depth=2
	s_or_b32 exec_lo, exec_lo, s26
	s_delay_alu instid0(SALU_CYCLE_1)
	s_and_b32 s7, s7, exec_lo
                                        ; implicit-def: $vgpr161
	s_or_saveexec_b32 s25, s25
	v_mov_b32_e32 v160, s24
	s_xor_b32 exec_lo, exec_lo, s25
	s_cbranch_execz .LBB6_5736
.LBB6_7457:                             ;   in Loop: Header=BB6_5432 Depth=2
	v_cmp_ne_u16_e64 vcc_lo, 0, v161
	v_mov_b32_e32 v160, 0
	s_and_not1_b32 s7, s7, exec_lo
	s_delay_alu instid0(VALU_DEP_2) | instskip(NEXT) | instid1(SALU_CYCLE_1)
	s_and_b32 s24, vcc_lo, exec_lo
	s_or_b32 s7, s7, s24
	s_or_b32 exec_lo, exec_lo, s25
	s_and_saveexec_b32 s24, s7
	s_cbranch_execnz .LBB6_5737
	s_branch .LBB6_5738
.LBB6_7458:                             ;   in Loop: Header=BB6_5432 Depth=2
	s_mov_b32 s7, -1
	s_mov_b32 s26, exec_lo
                                        ; implicit-def: $sgpr24
	v_cmpx_eq_u16_e64 0x80, v161
; %bb.7459:                             ;   in Loop: Header=BB6_5432 Depth=2
	s_mov_b32 s24, 0x7f800001
	s_xor_b32 s7, exec_lo, -1
; %bb.7460:                             ;   in Loop: Header=BB6_5432 Depth=2
	s_or_b32 exec_lo, exec_lo, s26
	s_delay_alu instid0(SALU_CYCLE_1)
	s_and_b32 s7, s7, exec_lo
                                        ; implicit-def: $vgpr161
	s_or_saveexec_b32 s25, s25
	v_mov_b32_e32 v151, s24
	s_xor_b32 exec_lo, exec_lo, s25
	s_cbranch_execz .LBB6_5740
.LBB6_7461:                             ;   in Loop: Header=BB6_5432 Depth=2
	v_cmp_ne_u16_e64 vcc_lo, 0, v161
	v_mov_b32_e32 v151, 0
	s_and_not1_b32 s7, s7, exec_lo
	s_delay_alu instid0(VALU_DEP_2) | instskip(NEXT) | instid1(SALU_CYCLE_1)
	s_and_b32 s24, vcc_lo, exec_lo
	s_or_b32 s7, s7, s24
	s_or_b32 exec_lo, exec_lo, s25
	s_and_saveexec_b32 s24, s7
	s_cbranch_execnz .LBB6_5741
	s_branch .LBB6_5742
.LBB6_7462:                             ;   in Loop: Header=BB6_5432 Depth=2
	s_mov_b32 s7, -1
	s_mov_b32 s26, exec_lo
                                        ; implicit-def: $sgpr24
	v_cmpx_eq_u16_e64 0x80, v160
; %bb.7463:                             ;   in Loop: Header=BB6_5432 Depth=2
	s_mov_b32 s24, 0x7f800001
	s_xor_b32 s7, exec_lo, -1
; %bb.7464:                             ;   in Loop: Header=BB6_5432 Depth=2
	s_or_b32 exec_lo, exec_lo, s26
	s_delay_alu instid0(SALU_CYCLE_1)
	s_and_b32 s7, s7, exec_lo
	s_or_saveexec_b32 s25, s25
	v_mov_b32_e32 v161, s24
	s_xor_b32 exec_lo, exec_lo, s25
	s_cbranch_execz .LBB6_5754
.LBB6_7465:                             ;   in Loop: Header=BB6_5432 Depth=2
	v_cmp_ne_u16_e64 vcc_lo, 0, v160
	v_mov_b32_e32 v161, 0
	s_and_not1_b32 s7, s7, exec_lo
	s_delay_alu instid0(VALU_DEP_2) | instskip(NEXT) | instid1(SALU_CYCLE_1)
	s_and_b32 s24, vcc_lo, exec_lo
	s_or_b32 s7, s7, s24
	s_or_b32 exec_lo, exec_lo, s25
	s_and_saveexec_b32 s24, s7
	s_cbranch_execnz .LBB6_5755
	s_branch .LBB6_5756
.LBB6_7466:                             ;   in Loop: Header=BB6_5432 Depth=2
	s_mov_b32 s7, -1
	s_mov_b32 s26, exec_lo
                                        ; implicit-def: $sgpr24
	v_cmpx_eq_u16_e64 0x80, v151
; %bb.7467:                             ;   in Loop: Header=BB6_5432 Depth=2
	s_mov_b32 s24, 0x7f800001
	s_xor_b32 s7, exec_lo, -1
; %bb.7468:                             ;   in Loop: Header=BB6_5432 Depth=2
	s_or_b32 exec_lo, exec_lo, s26
	s_delay_alu instid0(SALU_CYCLE_1)
	s_and_b32 s7, s7, exec_lo
	s_or_saveexec_b32 s25, s25
	v_mov_b32_e32 v162, s24
	s_xor_b32 exec_lo, exec_lo, s25
	s_cbranch_execz .LBB6_5758
.LBB6_7469:                             ;   in Loop: Header=BB6_5432 Depth=2
	v_cmp_ne_u16_e64 vcc_lo, 0, v151
	v_mov_b32_e32 v162, 0
	s_and_not1_b32 s7, s7, exec_lo
	s_delay_alu instid0(VALU_DEP_2) | instskip(NEXT) | instid1(SALU_CYCLE_1)
	s_and_b32 s24, vcc_lo, exec_lo
	s_or_b32 s7, s7, s24
	s_or_b32 exec_lo, exec_lo, s25
	s_and_saveexec_b32 s24, s7
	s_cbranch_execnz .LBB6_5759
	s_branch .LBB6_5760
.LBB6_7470:                             ;   in Loop: Header=BB6_5432 Depth=2
	s_mov_b32 s7, -1
	s_mov_b32 s26, exec_lo
                                        ; implicit-def: $sgpr24
	v_cmpx_eq_u16_e64 0x80, v160
; %bb.7471:                             ;   in Loop: Header=BB6_5432 Depth=2
	s_mov_b32 s24, 0x7f800001
	s_xor_b32 s7, exec_lo, -1
; %bb.7472:                             ;   in Loop: Header=BB6_5432 Depth=2
	s_or_b32 exec_lo, exec_lo, s26
	s_delay_alu instid0(SALU_CYCLE_1)
	s_and_b32 s7, s7, exec_lo
	s_or_saveexec_b32 s25, s25
	v_mov_b32_e32 v161, s24
	s_xor_b32 exec_lo, exec_lo, s25
	s_cbranch_execz .LBB6_5765
.LBB6_7473:                             ;   in Loop: Header=BB6_5432 Depth=2
	v_cmp_ne_u16_e64 vcc_lo, 0, v160
	v_mov_b32_e32 v161, 0
	s_and_not1_b32 s7, s7, exec_lo
	s_delay_alu instid0(VALU_DEP_2) | instskip(NEXT) | instid1(SALU_CYCLE_1)
	s_and_b32 s24, vcc_lo, exec_lo
	s_or_b32 s7, s7, s24
	s_or_b32 exec_lo, exec_lo, s25
	s_and_saveexec_b32 s24, s7
	s_cbranch_execnz .LBB6_5766
	s_branch .LBB6_5767
.LBB6_7474:                             ;   in Loop: Header=BB6_5432 Depth=2
	s_mov_b32 s7, -1
	s_mov_b32 s26, exec_lo
                                        ; implicit-def: $sgpr24
	v_cmpx_eq_u16_e64 0x80, v151
; %bb.7475:                             ;   in Loop: Header=BB6_5432 Depth=2
	s_mov_b32 s24, 0x7f800001
	s_xor_b32 s7, exec_lo, -1
; %bb.7476:                             ;   in Loop: Header=BB6_5432 Depth=2
	s_or_b32 exec_lo, exec_lo, s26
	s_delay_alu instid0(SALU_CYCLE_1)
	s_and_b32 s7, s7, exec_lo
	s_or_saveexec_b32 s25, s25
	v_mov_b32_e32 v50, s24
	s_xor_b32 exec_lo, exec_lo, s25
	s_cbranch_execz .LBB6_5769
.LBB6_7477:                             ;   in Loop: Header=BB6_5432 Depth=2
	v_cmp_ne_u16_e64 vcc_lo, 0, v151
	v_mov_b32_e32 v50, 0
	s_and_not1_b32 s7, s7, exec_lo
	s_delay_alu instid0(VALU_DEP_2) | instskip(NEXT) | instid1(SALU_CYCLE_1)
	s_and_b32 s24, vcc_lo, exec_lo
	s_or_b32 s7, s7, s24
	s_or_b32 exec_lo, exec_lo, s25
	s_and_saveexec_b32 s24, s7
	s_cbranch_execnz .LBB6_5770
	s_branch .LBB6_5771
.LBB6_7478:                             ;   in Loop: Header=BB6_5432 Depth=2
	s_mov_b32 s7, -1
	s_mov_b32 s26, exec_lo
                                        ; implicit-def: $sgpr24
	v_cmpx_eq_u16_e64 0x80, v151
; %bb.7479:                             ;   in Loop: Header=BB6_5432 Depth=2
	s_mov_b32 s24, 0x7f800001
	s_xor_b32 s7, exec_lo, -1
; %bb.7480:                             ;   in Loop: Header=BB6_5432 Depth=2
	s_or_b32 exec_lo, exec_lo, s26
	s_delay_alu instid0(SALU_CYCLE_1)
	s_and_b32 s7, s7, exec_lo
                                        ; implicit-def: $vgpr151
	s_or_saveexec_b32 s25, s25
	v_mov_b32_e32 v50, s24
	s_xor_b32 exec_lo, exec_lo, s25
	s_cbranch_execz .LBB6_5783
.LBB6_7481:                             ;   in Loop: Header=BB6_5432 Depth=2
	v_cmp_ne_u16_e64 vcc_lo, 0, v151
	v_mov_b32_e32 v50, 0
	s_and_not1_b32 s7, s7, exec_lo
	s_delay_alu instid0(VALU_DEP_2) | instskip(NEXT) | instid1(SALU_CYCLE_1)
	s_and_b32 s24, vcc_lo, exec_lo
	s_or_b32 s7, s7, s24
	s_or_b32 exec_lo, exec_lo, s25
	s_and_saveexec_b32 s24, s7
	s_cbranch_execnz .LBB6_5784
	s_branch .LBB6_5785
.LBB6_7482:                             ;   in Loop: Header=BB6_5432 Depth=2
	s_mov_b32 s7, -1
	s_mov_b32 s26, exec_lo
                                        ; implicit-def: $sgpr24
	v_cmpx_eq_u16_e64 0x80, v160
; %bb.7483:                             ;   in Loop: Header=BB6_5432 Depth=2
	s_mov_b32 s24, 0x7f800001
	s_xor_b32 s7, exec_lo, -1
; %bb.7484:                             ;   in Loop: Header=BB6_5432 Depth=2
	s_or_b32 exec_lo, exec_lo, s26
	s_delay_alu instid0(SALU_CYCLE_1)
	s_and_b32 s7, s7, exec_lo
                                        ; implicit-def: $vgpr160
	s_or_saveexec_b32 s25, s25
	v_mov_b32_e32 v151, s24
	s_xor_b32 exec_lo, exec_lo, s25
	s_cbranch_execz .LBB6_5787
.LBB6_7485:                             ;   in Loop: Header=BB6_5432 Depth=2
	v_cmp_ne_u16_e64 vcc_lo, 0, v160
	v_mov_b32_e32 v151, 0
	s_and_not1_b32 s7, s7, exec_lo
	s_delay_alu instid0(VALU_DEP_2) | instskip(NEXT) | instid1(SALU_CYCLE_1)
	s_and_b32 s24, vcc_lo, exec_lo
	s_or_b32 s7, s7, s24
	s_or_b32 exec_lo, exec_lo, s25
	s_and_saveexec_b32 s24, s7
	s_cbranch_execnz .LBB6_5788
	s_branch .LBB6_5789
.LBB6_7486:                             ;   in Loop: Header=BB6_5432 Depth=2
	s_mov_b32 s7, -1
	s_mov_b32 s26, exec_lo
                                        ; implicit-def: $sgpr24
	v_cmpx_eq_u16_e64 0x80, v151
; %bb.7487:                             ;   in Loop: Header=BB6_5432 Depth=2
	s_mov_b32 s24, 0x7f800001
	s_xor_b32 s7, exec_lo, -1
; %bb.7488:                             ;   in Loop: Header=BB6_5432 Depth=2
	s_or_b32 exec_lo, exec_lo, s26
	s_delay_alu instid0(SALU_CYCLE_1)
	s_and_b32 s7, s7, exec_lo
                                        ; implicit-def: $vgpr151
	s_or_saveexec_b32 s25, s25
	v_mov_b32_e32 v50, s24
	s_xor_b32 exec_lo, exec_lo, s25
	s_cbranch_execz .LBB6_5794
.LBB6_7489:                             ;   in Loop: Header=BB6_5432 Depth=2
	v_cmp_ne_u16_e64 vcc_lo, 0, v151
	v_mov_b32_e32 v50, 0
	s_and_not1_b32 s7, s7, exec_lo
	s_delay_alu instid0(VALU_DEP_2) | instskip(NEXT) | instid1(SALU_CYCLE_1)
	s_and_b32 s24, vcc_lo, exec_lo
	s_or_b32 s7, s7, s24
	s_or_b32 exec_lo, exec_lo, s25
	s_and_saveexec_b32 s24, s7
	s_cbranch_execnz .LBB6_5795
	s_branch .LBB6_5796
.LBB6_7490:                             ;   in Loop: Header=BB6_5432 Depth=2
	s_mov_b32 s7, -1
	s_mov_b32 s26, exec_lo
                                        ; implicit-def: $sgpr24
	v_cmpx_eq_u16_e64 0x80, v160
; %bb.7491:                             ;   in Loop: Header=BB6_5432 Depth=2
	s_mov_b32 s24, 0x7f800001
	s_xor_b32 s7, exec_lo, -1
; %bb.7492:                             ;   in Loop: Header=BB6_5432 Depth=2
	s_or_b32 exec_lo, exec_lo, s26
	s_delay_alu instid0(SALU_CYCLE_1)
	s_and_b32 s7, s7, exec_lo
                                        ; implicit-def: $vgpr160
	s_or_saveexec_b32 s25, s25
	v_mov_b32_e32 v151, s24
	s_xor_b32 exec_lo, exec_lo, s25
	s_cbranch_execz .LBB6_5798
.LBB6_7493:                             ;   in Loop: Header=BB6_5432 Depth=2
	v_cmp_ne_u16_e64 vcc_lo, 0, v160
	v_mov_b32_e32 v151, 0
	s_and_not1_b32 s7, s7, exec_lo
	s_delay_alu instid0(VALU_DEP_2) | instskip(NEXT) | instid1(SALU_CYCLE_1)
	s_and_b32 s24, vcc_lo, exec_lo
	s_or_b32 s7, s7, s24
	s_or_b32 exec_lo, exec_lo, s25
	s_and_saveexec_b32 s24, s7
	s_cbranch_execnz .LBB6_5799
	s_branch .LBB6_5800
.LBB6_7494:                             ;   in Loop: Header=BB6_5432 Depth=2
	s_mov_b32 s7, -1
	s_mov_b32 s26, exec_lo
                                        ; implicit-def: $sgpr24
	v_cmpx_eq_u16_e64 0x80, v160
; %bb.7495:                             ;   in Loop: Header=BB6_5432 Depth=2
	s_mov_b32 s24, 0x7f800001
	s_xor_b32 s7, exec_lo, -1
; %bb.7496:                             ;   in Loop: Header=BB6_5432 Depth=2
	s_or_b32 exec_lo, exec_lo, s26
	s_delay_alu instid0(SALU_CYCLE_1)
	s_and_b32 s7, s7, exec_lo
	s_or_saveexec_b32 s25, s25
	v_mov_b32_e32 v161, s24
	s_xor_b32 exec_lo, exec_lo, s25
	s_cbranch_execz .LBB6_5812
.LBB6_7497:                             ;   in Loop: Header=BB6_5432 Depth=2
	v_cmp_ne_u16_e64 vcc_lo, 0, v160
	v_mov_b32_e32 v161, 0
	s_and_not1_b32 s7, s7, exec_lo
	s_delay_alu instid0(VALU_DEP_2) | instskip(NEXT) | instid1(SALU_CYCLE_1)
	s_and_b32 s24, vcc_lo, exec_lo
	s_or_b32 s7, s7, s24
	s_or_b32 exec_lo, exec_lo, s25
	s_and_saveexec_b32 s24, s7
	s_cbranch_execnz .LBB6_5813
	s_branch .LBB6_5814
.LBB6_7498:                             ;   in Loop: Header=BB6_5432 Depth=2
	s_mov_b32 s7, -1
	s_mov_b32 s26, exec_lo
                                        ; implicit-def: $sgpr24
	v_cmpx_eq_u16_e64 0x80, v151
; %bb.7499:                             ;   in Loop: Header=BB6_5432 Depth=2
	s_mov_b32 s24, 0x7f800001
	s_xor_b32 s7, exec_lo, -1
; %bb.7500:                             ;   in Loop: Header=BB6_5432 Depth=2
	s_or_b32 exec_lo, exec_lo, s26
	s_delay_alu instid0(SALU_CYCLE_1)
	s_and_b32 s7, s7, exec_lo
	s_or_saveexec_b32 s25, s25
	v_mov_b32_e32 v162, s24
	s_xor_b32 exec_lo, exec_lo, s25
	s_cbranch_execz .LBB6_5816
.LBB6_7501:                             ;   in Loop: Header=BB6_5432 Depth=2
	v_cmp_ne_u16_e64 vcc_lo, 0, v151
	v_mov_b32_e32 v162, 0
	s_and_not1_b32 s7, s7, exec_lo
	s_delay_alu instid0(VALU_DEP_2) | instskip(NEXT) | instid1(SALU_CYCLE_1)
	s_and_b32 s24, vcc_lo, exec_lo
	s_or_b32 s7, s7, s24
	s_or_b32 exec_lo, exec_lo, s25
	s_and_saveexec_b32 s24, s7
	s_cbranch_execnz .LBB6_5817
	s_branch .LBB6_5818
.LBB6_7502:                             ;   in Loop: Header=BB6_5432 Depth=2
	s_mov_b32 s7, -1
	s_mov_b32 s26, exec_lo
                                        ; implicit-def: $sgpr24
	v_cmpx_eq_u16_e64 0x80, v160
; %bb.7503:                             ;   in Loop: Header=BB6_5432 Depth=2
	s_mov_b32 s24, 0x7f800001
	s_xor_b32 s7, exec_lo, -1
; %bb.7504:                             ;   in Loop: Header=BB6_5432 Depth=2
	s_or_b32 exec_lo, exec_lo, s26
	s_delay_alu instid0(SALU_CYCLE_1)
	s_and_b32 s7, s7, exec_lo
	s_or_saveexec_b32 s25, s25
	v_mov_b32_e32 v161, s24
	s_xor_b32 exec_lo, exec_lo, s25
	s_cbranch_execz .LBB6_5823
.LBB6_7505:                             ;   in Loop: Header=BB6_5432 Depth=2
	v_cmp_ne_u16_e64 vcc_lo, 0, v160
	v_mov_b32_e32 v161, 0
	s_and_not1_b32 s7, s7, exec_lo
	s_delay_alu instid0(VALU_DEP_2) | instskip(NEXT) | instid1(SALU_CYCLE_1)
	s_and_b32 s24, vcc_lo, exec_lo
	s_or_b32 s7, s7, s24
	s_or_b32 exec_lo, exec_lo, s25
	s_and_saveexec_b32 s24, s7
	s_cbranch_execnz .LBB6_5824
	s_branch .LBB6_5825
.LBB6_7506:                             ;   in Loop: Header=BB6_5432 Depth=2
	s_mov_b32 s7, -1
	s_mov_b32 s26, exec_lo
                                        ; implicit-def: $sgpr24
	v_cmpx_eq_u16_e64 0x80, v151
; %bb.7507:                             ;   in Loop: Header=BB6_5432 Depth=2
	s_mov_b32 s24, 0x7f800001
	s_xor_b32 s7, exec_lo, -1
; %bb.7508:                             ;   in Loop: Header=BB6_5432 Depth=2
	s_or_b32 exec_lo, exec_lo, s26
	s_delay_alu instid0(SALU_CYCLE_1)
	s_and_b32 s7, s7, exec_lo
	s_or_saveexec_b32 s25, s25
	v_mov_b32_e32 v160, s24
	s_xor_b32 exec_lo, exec_lo, s25
	s_cbranch_execz .LBB6_5827
.LBB6_7509:                             ;   in Loop: Header=BB6_5432 Depth=2
	v_cmp_ne_u16_e64 vcc_lo, 0, v151
	v_mov_b32_e32 v160, 0
	s_and_not1_b32 s7, s7, exec_lo
	s_delay_alu instid0(VALU_DEP_2) | instskip(NEXT) | instid1(SALU_CYCLE_1)
	s_and_b32 s24, vcc_lo, exec_lo
	s_or_b32 s7, s7, s24
	s_or_b32 exec_lo, exec_lo, s25
	s_and_saveexec_b32 s24, s7
	s_cbranch_execnz .LBB6_5828
	s_branch .LBB6_5829
.LBB6_7510:                             ;   in Loop: Header=BB6_5432 Depth=2
	s_mov_b32 s7, -1
	s_mov_b32 s26, exec_lo
                                        ; implicit-def: $sgpr24
	v_cmpx_eq_u16_e64 0x80, v163
; %bb.7511:                             ;   in Loop: Header=BB6_5432 Depth=2
	s_mov_b32 s24, 0x7f800001
	s_xor_b32 s7, exec_lo, -1
; %bb.7512:                             ;   in Loop: Header=BB6_5432 Depth=2
	s_or_b32 exec_lo, exec_lo, s26
	s_delay_alu instid0(SALU_CYCLE_1)
	s_and_b32 s7, s7, exec_lo
                                        ; implicit-def: $vgpr163
	s_or_saveexec_b32 s25, s25
	v_mov_b32_e32 v162, s24
	s_xor_b32 exec_lo, exec_lo, s25
	s_cbranch_execz .LBB6_5841
.LBB6_7513:                             ;   in Loop: Header=BB6_5432 Depth=2
	v_cmp_ne_u16_e64 vcc_lo, 0, v163
	v_mov_b32_e32 v162, 0
	s_and_not1_b32 s7, s7, exec_lo
	s_delay_alu instid0(VALU_DEP_2) | instskip(NEXT) | instid1(SALU_CYCLE_1)
	s_and_b32 s24, vcc_lo, exec_lo
	s_or_b32 s7, s7, s24
	s_or_b32 exec_lo, exec_lo, s25
	s_and_saveexec_b32 s24, s7
	s_cbranch_execnz .LBB6_5842
	s_branch .LBB6_5843
.LBB6_7514:                             ;   in Loop: Header=BB6_5432 Depth=2
	s_mov_b32 s7, -1
	s_mov_b32 s26, exec_lo
                                        ; implicit-def: $sgpr24
	v_cmpx_eq_u16_e64 0x80, v164
; %bb.7515:                             ;   in Loop: Header=BB6_5432 Depth=2
	s_mov_b32 s24, 0x7f800001
	s_xor_b32 s7, exec_lo, -1
; %bb.7516:                             ;   in Loop: Header=BB6_5432 Depth=2
	s_or_b32 exec_lo, exec_lo, s26
	s_delay_alu instid0(SALU_CYCLE_1)
	s_and_b32 s7, s7, exec_lo
                                        ; implicit-def: $vgpr164
	s_or_saveexec_b32 s25, s25
	v_mov_b32_e32 v163, s24
	s_xor_b32 exec_lo, exec_lo, s25
	s_cbranch_execz .LBB6_5845
.LBB6_7517:                             ;   in Loop: Header=BB6_5432 Depth=2
	v_cmp_ne_u16_e64 vcc_lo, 0, v164
	v_mov_b32_e32 v163, 0
	s_and_not1_b32 s7, s7, exec_lo
	s_delay_alu instid0(VALU_DEP_2) | instskip(NEXT) | instid1(SALU_CYCLE_1)
	s_and_b32 s24, vcc_lo, exec_lo
	s_or_b32 s7, s7, s24
	s_or_b32 exec_lo, exec_lo, s25
	s_and_saveexec_b32 s24, s7
	s_cbranch_execnz .LBB6_5846
	s_branch .LBB6_5847
.LBB6_7518:                             ;   in Loop: Header=BB6_5432 Depth=2
	s_mov_b32 s7, -1
	s_mov_b32 s26, exec_lo
                                        ; implicit-def: $sgpr24
	v_cmpx_eq_u16_e64 0x80, v163
; %bb.7519:                             ;   in Loop: Header=BB6_5432 Depth=2
	s_mov_b32 s24, 0x7f800001
	s_xor_b32 s7, exec_lo, -1
; %bb.7520:                             ;   in Loop: Header=BB6_5432 Depth=2
	s_or_b32 exec_lo, exec_lo, s26
	s_delay_alu instid0(SALU_CYCLE_1)
	s_and_b32 s7, s7, exec_lo
                                        ; implicit-def: $vgpr163
	s_or_saveexec_b32 s25, s25
	v_mov_b32_e32 v162, s24
	s_xor_b32 exec_lo, exec_lo, s25
	s_cbranch_execz .LBB6_5852
.LBB6_7521:                             ;   in Loop: Header=BB6_5432 Depth=2
	v_cmp_ne_u16_e64 vcc_lo, 0, v163
	v_mov_b32_e32 v162, 0
	s_and_not1_b32 s7, s7, exec_lo
	s_delay_alu instid0(VALU_DEP_2) | instskip(NEXT) | instid1(SALU_CYCLE_1)
	s_and_b32 s24, vcc_lo, exec_lo
	s_or_b32 s7, s7, s24
	s_or_b32 exec_lo, exec_lo, s25
	s_and_saveexec_b32 s24, s7
	s_cbranch_execnz .LBB6_5853
	s_branch .LBB6_5854
.LBB6_7522:                             ;   in Loop: Header=BB6_5432 Depth=2
	s_mov_b32 s7, -1
	s_mov_b32 s26, exec_lo
                                        ; implicit-def: $sgpr24
	v_cmpx_eq_u16_e64 0x80, v163
; %bb.7523:                             ;   in Loop: Header=BB6_5432 Depth=2
	s_mov_b32 s24, 0x7f800001
	s_xor_b32 s7, exec_lo, -1
; %bb.7524:                             ;   in Loop: Header=BB6_5432 Depth=2
	s_or_b32 exec_lo, exec_lo, s26
	s_delay_alu instid0(SALU_CYCLE_1)
	s_and_b32 s7, s7, exec_lo
                                        ; implicit-def: $vgpr163
	s_or_saveexec_b32 s25, s25
	v_mov_b32_e32 v161, s24
	s_xor_b32 exec_lo, exec_lo, s25
	s_cbranch_execz .LBB6_5856
.LBB6_7525:                             ;   in Loop: Header=BB6_5432 Depth=2
	v_cmp_ne_u16_e64 vcc_lo, 0, v163
	v_mov_b32_e32 v161, 0
	s_and_not1_b32 s7, s7, exec_lo
	s_delay_alu instid0(VALU_DEP_2) | instskip(NEXT) | instid1(SALU_CYCLE_1)
	s_and_b32 s24, vcc_lo, exec_lo
	s_or_b32 s7, s7, s24
	s_or_b32 exec_lo, exec_lo, s25
	s_and_saveexec_b32 s24, s7
	s_cbranch_execnz .LBB6_5857
	s_branch .LBB6_5858
.LBB6_7526:                             ;   in Loop: Header=BB6_5432 Depth=2
	s_mov_b32 s7, -1
	s_mov_b32 s26, exec_lo
                                        ; implicit-def: $sgpr24
	v_cmpx_eq_u16_e64 0x80, v162
; %bb.7527:                             ;   in Loop: Header=BB6_5432 Depth=2
	s_mov_b32 s24, 0x7f800001
	s_xor_b32 s7, exec_lo, -1
; %bb.7528:                             ;   in Loop: Header=BB6_5432 Depth=2
	s_or_b32 exec_lo, exec_lo, s26
	s_delay_alu instid0(SALU_CYCLE_1)
	s_and_b32 s7, s7, exec_lo
	s_or_saveexec_b32 s25, s25
	v_mov_b32_e32 v163, s24
	s_xor_b32 exec_lo, exec_lo, s25
	s_cbranch_execz .LBB6_5870
.LBB6_7529:                             ;   in Loop: Header=BB6_5432 Depth=2
	v_cmp_ne_u16_e64 vcc_lo, 0, v162
	v_mov_b32_e32 v163, 0
	s_and_not1_b32 s7, s7, exec_lo
	s_delay_alu instid0(VALU_DEP_2) | instskip(NEXT) | instid1(SALU_CYCLE_1)
	s_and_b32 s24, vcc_lo, exec_lo
	s_or_b32 s7, s7, s24
	s_or_b32 exec_lo, exec_lo, s25
	s_and_saveexec_b32 s24, s7
	s_cbranch_execnz .LBB6_5871
	s_branch .LBB6_5872
.LBB6_7530:                             ;   in Loop: Header=BB6_5432 Depth=2
	s_mov_b32 s7, -1
	s_mov_b32 s26, exec_lo
                                        ; implicit-def: $sgpr24
	v_cmpx_eq_u16_e64 0x80, v161
; %bb.7531:                             ;   in Loop: Header=BB6_5432 Depth=2
	s_mov_b32 s24, 0x7f800001
	s_xor_b32 s7, exec_lo, -1
; %bb.7532:                             ;   in Loop: Header=BB6_5432 Depth=2
	s_or_b32 exec_lo, exec_lo, s26
	s_delay_alu instid0(SALU_CYCLE_1)
	s_and_b32 s7, s7, exec_lo
	s_or_saveexec_b32 s25, s25
	v_mov_b32_e32 v164, s24
	s_xor_b32 exec_lo, exec_lo, s25
	s_cbranch_execz .LBB6_5874
.LBB6_7533:                             ;   in Loop: Header=BB6_5432 Depth=2
	v_cmp_ne_u16_e64 vcc_lo, 0, v161
	v_mov_b32_e32 v164, 0
	s_and_not1_b32 s7, s7, exec_lo
	s_delay_alu instid0(VALU_DEP_2) | instskip(NEXT) | instid1(SALU_CYCLE_1)
	s_and_b32 s24, vcc_lo, exec_lo
	s_or_b32 s7, s7, s24
	s_or_b32 exec_lo, exec_lo, s25
	s_and_saveexec_b32 s24, s7
	s_cbranch_execnz .LBB6_5875
	s_branch .LBB6_5876
.LBB6_7534:                             ;   in Loop: Header=BB6_5432 Depth=2
	s_mov_b32 s7, -1
	s_mov_b32 s26, exec_lo
                                        ; implicit-def: $sgpr24
	v_cmpx_eq_u16_e64 0x80, v162
; %bb.7535:                             ;   in Loop: Header=BB6_5432 Depth=2
	s_mov_b32 s24, 0x7f800001
	s_xor_b32 s7, exec_lo, -1
; %bb.7536:                             ;   in Loop: Header=BB6_5432 Depth=2
	s_or_b32 exec_lo, exec_lo, s26
	s_delay_alu instid0(SALU_CYCLE_1)
	s_and_b32 s7, s7, exec_lo
	s_or_saveexec_b32 s25, s25
	v_mov_b32_e32 v163, s24
	s_xor_b32 exec_lo, exec_lo, s25
	s_cbranch_execz .LBB6_5881
.LBB6_7537:                             ;   in Loop: Header=BB6_5432 Depth=2
	v_cmp_ne_u16_e64 vcc_lo, 0, v162
	v_mov_b32_e32 v163, 0
	s_and_not1_b32 s7, s7, exec_lo
	s_delay_alu instid0(VALU_DEP_2) | instskip(NEXT) | instid1(SALU_CYCLE_1)
	s_and_b32 s24, vcc_lo, exec_lo
	s_or_b32 s7, s7, s24
	s_or_b32 exec_lo, exec_lo, s25
	s_and_saveexec_b32 s24, s7
	s_cbranch_execnz .LBB6_5882
	s_branch .LBB6_5883
.LBB6_7538:                             ;   in Loop: Header=BB6_5432 Depth=2
	s_mov_b32 s7, -1
	s_mov_b32 s26, exec_lo
                                        ; implicit-def: $sgpr24
	v_cmpx_eq_u16_e64 0x80, v161
; %bb.7539:                             ;   in Loop: Header=BB6_5432 Depth=2
	s_mov_b32 s24, 0x7f800001
	s_xor_b32 s7, exec_lo, -1
; %bb.7540:                             ;   in Loop: Header=BB6_5432 Depth=2
	s_or_b32 exec_lo, exec_lo, s26
	s_delay_alu instid0(SALU_CYCLE_1)
	s_and_b32 s7, s7, exec_lo
	s_or_saveexec_b32 s25, s25
	v_mov_b32_e32 v51, s24
	s_xor_b32 exec_lo, exec_lo, s25
	s_cbranch_execz .LBB6_5885
.LBB6_7541:                             ;   in Loop: Header=BB6_5432 Depth=2
	v_cmp_ne_u16_e64 vcc_lo, 0, v161
	v_mov_b32_e32 v51, 0
	s_and_not1_b32 s7, s7, exec_lo
	s_delay_alu instid0(VALU_DEP_2) | instskip(NEXT) | instid1(SALU_CYCLE_1)
	s_and_b32 s24, vcc_lo, exec_lo
	s_or_b32 s7, s7, s24
	s_or_b32 exec_lo, exec_lo, s25
	s_and_saveexec_b32 s24, s7
	s_cbranch_execnz .LBB6_5886
	s_branch .LBB6_5887
.LBB6_7542:                             ;   in Loop: Header=BB6_5432 Depth=2
	s_mov_b32 s7, -1
	s_mov_b32 s26, exec_lo
                                        ; implicit-def: $sgpr24
	v_cmpx_eq_u16_e64 0x80, v161
; %bb.7543:                             ;   in Loop: Header=BB6_5432 Depth=2
	s_mov_b32 s24, 0x7f800001
	s_xor_b32 s7, exec_lo, -1
; %bb.7544:                             ;   in Loop: Header=BB6_5432 Depth=2
	s_or_b32 exec_lo, exec_lo, s26
	s_delay_alu instid0(SALU_CYCLE_1)
	s_and_b32 s7, s7, exec_lo
                                        ; implicit-def: $vgpr161
	s_or_saveexec_b32 s25, s25
	v_mov_b32_e32 v51, s24
	s_xor_b32 exec_lo, exec_lo, s25
	s_cbranch_execz .LBB6_5899
.LBB6_7545:                             ;   in Loop: Header=BB6_5432 Depth=2
	v_cmp_ne_u16_e64 vcc_lo, 0, v161
	v_mov_b32_e32 v51, 0
	s_and_not1_b32 s7, s7, exec_lo
	s_delay_alu instid0(VALU_DEP_2) | instskip(NEXT) | instid1(SALU_CYCLE_1)
	s_and_b32 s24, vcc_lo, exec_lo
	s_or_b32 s7, s7, s24
	s_or_b32 exec_lo, exec_lo, s25
	s_and_saveexec_b32 s24, s7
	s_cbranch_execnz .LBB6_5900
	s_branch .LBB6_5901
.LBB6_7546:                             ;   in Loop: Header=BB6_5432 Depth=2
	s_mov_b32 s7, -1
	s_mov_b32 s26, exec_lo
                                        ; implicit-def: $sgpr24
	v_cmpx_eq_u16_e64 0x80, v162
; %bb.7547:                             ;   in Loop: Header=BB6_5432 Depth=2
	s_mov_b32 s24, 0x7f800001
	s_xor_b32 s7, exec_lo, -1
; %bb.7548:                             ;   in Loop: Header=BB6_5432 Depth=2
	s_or_b32 exec_lo, exec_lo, s26
	s_delay_alu instid0(SALU_CYCLE_1)
	s_and_b32 s7, s7, exec_lo
                                        ; implicit-def: $vgpr162
	s_or_saveexec_b32 s25, s25
	v_mov_b32_e32 v161, s24
	s_xor_b32 exec_lo, exec_lo, s25
	s_cbranch_execz .LBB6_5903
.LBB6_7549:                             ;   in Loop: Header=BB6_5432 Depth=2
	v_cmp_ne_u16_e64 vcc_lo, 0, v162
	v_mov_b32_e32 v161, 0
	s_and_not1_b32 s7, s7, exec_lo
	s_delay_alu instid0(VALU_DEP_2) | instskip(NEXT) | instid1(SALU_CYCLE_1)
	s_and_b32 s24, vcc_lo, exec_lo
	s_or_b32 s7, s7, s24
	s_or_b32 exec_lo, exec_lo, s25
	s_and_saveexec_b32 s24, s7
	s_cbranch_execnz .LBB6_5904
	s_branch .LBB6_5905
.LBB6_7550:                             ;   in Loop: Header=BB6_5432 Depth=2
	s_mov_b32 s7, -1
	s_mov_b32 s26, exec_lo
                                        ; implicit-def: $sgpr24
	v_cmpx_eq_u16_e64 0x80, v161
; %bb.7551:                             ;   in Loop: Header=BB6_5432 Depth=2
	s_mov_b32 s24, 0x7f800001
	s_xor_b32 s7, exec_lo, -1
; %bb.7552:                             ;   in Loop: Header=BB6_5432 Depth=2
	s_or_b32 exec_lo, exec_lo, s26
	s_delay_alu instid0(SALU_CYCLE_1)
	s_and_b32 s7, s7, exec_lo
                                        ; implicit-def: $vgpr161
	s_or_saveexec_b32 s25, s25
	v_mov_b32_e32 v51, s24
	s_xor_b32 exec_lo, exec_lo, s25
	s_cbranch_execz .LBB6_5910
.LBB6_7553:                             ;   in Loop: Header=BB6_5432 Depth=2
	v_cmp_ne_u16_e64 vcc_lo, 0, v161
	v_mov_b32_e32 v51, 0
	s_and_not1_b32 s7, s7, exec_lo
	s_delay_alu instid0(VALU_DEP_2) | instskip(NEXT) | instid1(SALU_CYCLE_1)
	s_and_b32 s24, vcc_lo, exec_lo
	s_or_b32 s7, s7, s24
	s_or_b32 exec_lo, exec_lo, s25
	s_and_saveexec_b32 s24, s7
	s_cbranch_execnz .LBB6_5911
	s_branch .LBB6_5912
.LBB6_7554:                             ;   in Loop: Header=BB6_5432 Depth=2
	s_mov_b32 s7, -1
	s_mov_b32 s26, exec_lo
                                        ; implicit-def: $sgpr24
	v_cmpx_eq_u16_e64 0x80, v162
; %bb.7555:                             ;   in Loop: Header=BB6_5432 Depth=2
	s_mov_b32 s24, 0x7f800001
	s_xor_b32 s7, exec_lo, -1
; %bb.7556:                             ;   in Loop: Header=BB6_5432 Depth=2
	s_or_b32 exec_lo, exec_lo, s26
	s_delay_alu instid0(SALU_CYCLE_1)
	s_and_b32 s7, s7, exec_lo
                                        ; implicit-def: $vgpr162
	s_or_saveexec_b32 s25, s25
	v_mov_b32_e32 v161, s24
	s_xor_b32 exec_lo, exec_lo, s25
	s_cbranch_execz .LBB6_5914
.LBB6_7557:                             ;   in Loop: Header=BB6_5432 Depth=2
	v_cmp_ne_u16_e64 vcc_lo, 0, v162
	v_mov_b32_e32 v161, 0
	s_and_not1_b32 s7, s7, exec_lo
	s_delay_alu instid0(VALU_DEP_2) | instskip(NEXT) | instid1(SALU_CYCLE_1)
	s_and_b32 s24, vcc_lo, exec_lo
	s_or_b32 s7, s7, s24
	s_or_b32 exec_lo, exec_lo, s25
	s_and_saveexec_b32 s24, s7
	s_cbranch_execnz .LBB6_5915
	s_branch .LBB6_5916
.LBB6_7558:                             ;   in Loop: Header=BB6_5432 Depth=2
	s_mov_b32 s7, -1
	s_mov_b32 s26, exec_lo
                                        ; implicit-def: $sgpr24
	v_cmpx_eq_u16_e64 0x80, v162
; %bb.7559:                             ;   in Loop: Header=BB6_5432 Depth=2
	s_mov_b32 s24, 0x7f800001
	s_xor_b32 s7, exec_lo, -1
; %bb.7560:                             ;   in Loop: Header=BB6_5432 Depth=2
	s_or_b32 exec_lo, exec_lo, s26
	s_delay_alu instid0(SALU_CYCLE_1)
	s_and_b32 s7, s7, exec_lo
	s_or_saveexec_b32 s25, s25
	v_mov_b32_e32 v163, s24
	s_xor_b32 exec_lo, exec_lo, s25
	s_cbranch_execz .LBB6_5928
.LBB6_7561:                             ;   in Loop: Header=BB6_5432 Depth=2
	v_cmp_ne_u16_e64 vcc_lo, 0, v162
	v_mov_b32_e32 v163, 0
	s_and_not1_b32 s7, s7, exec_lo
	s_delay_alu instid0(VALU_DEP_2) | instskip(NEXT) | instid1(SALU_CYCLE_1)
	s_and_b32 s24, vcc_lo, exec_lo
	s_or_b32 s7, s7, s24
	s_or_b32 exec_lo, exec_lo, s25
	s_and_saveexec_b32 s24, s7
	s_cbranch_execnz .LBB6_5929
	s_branch .LBB6_5930
.LBB6_7562:                             ;   in Loop: Header=BB6_5432 Depth=2
	s_mov_b32 s7, -1
	s_mov_b32 s26, exec_lo
                                        ; implicit-def: $sgpr24
	v_cmpx_eq_u16_e64 0x80, v161
; %bb.7563:                             ;   in Loop: Header=BB6_5432 Depth=2
	s_mov_b32 s24, 0x7f800001
	s_xor_b32 s7, exec_lo, -1
; %bb.7564:                             ;   in Loop: Header=BB6_5432 Depth=2
	s_or_b32 exec_lo, exec_lo, s26
	s_delay_alu instid0(SALU_CYCLE_1)
	s_and_b32 s7, s7, exec_lo
	s_or_saveexec_b32 s25, s25
	v_mov_b32_e32 v164, s24
	s_xor_b32 exec_lo, exec_lo, s25
	s_cbranch_execz .LBB6_5932
.LBB6_7565:                             ;   in Loop: Header=BB6_5432 Depth=2
	v_cmp_ne_u16_e64 vcc_lo, 0, v161
	v_mov_b32_e32 v164, 0
	s_and_not1_b32 s7, s7, exec_lo
	s_delay_alu instid0(VALU_DEP_2) | instskip(NEXT) | instid1(SALU_CYCLE_1)
	s_and_b32 s24, vcc_lo, exec_lo
	s_or_b32 s7, s7, s24
	s_or_b32 exec_lo, exec_lo, s25
	s_and_saveexec_b32 s24, s7
	s_cbranch_execnz .LBB6_5933
	s_branch .LBB6_5934
.LBB6_7566:                             ;   in Loop: Header=BB6_5432 Depth=2
	s_mov_b32 s7, -1
	s_mov_b32 s26, exec_lo
                                        ; implicit-def: $sgpr24
	v_cmpx_eq_u16_e64 0x80, v162
; %bb.7567:                             ;   in Loop: Header=BB6_5432 Depth=2
	s_mov_b32 s24, 0x7f800001
	s_xor_b32 s7, exec_lo, -1
; %bb.7568:                             ;   in Loop: Header=BB6_5432 Depth=2
	s_or_b32 exec_lo, exec_lo, s26
	s_delay_alu instid0(SALU_CYCLE_1)
	s_and_b32 s7, s7, exec_lo
	s_or_saveexec_b32 s25, s25
	v_mov_b32_e32 v163, s24
	s_xor_b32 exec_lo, exec_lo, s25
	s_cbranch_execz .LBB6_5939
.LBB6_7569:                             ;   in Loop: Header=BB6_5432 Depth=2
	v_cmp_ne_u16_e64 vcc_lo, 0, v162
	v_mov_b32_e32 v163, 0
	s_and_not1_b32 s7, s7, exec_lo
	s_delay_alu instid0(VALU_DEP_2) | instskip(NEXT) | instid1(SALU_CYCLE_1)
	s_and_b32 s24, vcc_lo, exec_lo
	s_or_b32 s7, s7, s24
	s_or_b32 exec_lo, exec_lo, s25
	s_and_saveexec_b32 s24, s7
	s_cbranch_execnz .LBB6_5940
	s_branch .LBB6_5941
.LBB6_7570:                             ;   in Loop: Header=BB6_5432 Depth=2
	s_mov_b32 s7, -1
	s_mov_b32 s26, exec_lo
                                        ; implicit-def: $sgpr24
	v_cmpx_eq_u16_e64 0x80, v161
; %bb.7571:                             ;   in Loop: Header=BB6_5432 Depth=2
	s_mov_b32 s24, 0x7f800001
	s_xor_b32 s7, exec_lo, -1
; %bb.7572:                             ;   in Loop: Header=BB6_5432 Depth=2
	s_or_b32 exec_lo, exec_lo, s26
	s_delay_alu instid0(SALU_CYCLE_1)
	s_and_b32 s7, s7, exec_lo
	s_or_saveexec_b32 s25, s25
	v_mov_b32_e32 v162, s24
	s_xor_b32 exec_lo, exec_lo, s25
	s_cbranch_execz .LBB6_5943
.LBB6_7573:                             ;   in Loop: Header=BB6_5432 Depth=2
	v_cmp_ne_u16_e64 vcc_lo, 0, v161
	v_mov_b32_e32 v162, 0
	s_and_not1_b32 s7, s7, exec_lo
	s_delay_alu instid0(VALU_DEP_2) | instskip(NEXT) | instid1(SALU_CYCLE_1)
	s_and_b32 s24, vcc_lo, exec_lo
	s_or_b32 s7, s7, s24
	s_or_b32 exec_lo, exec_lo, s25
	s_and_saveexec_b32 s24, s7
	s_cbranch_execnz .LBB6_5944
	s_branch .LBB6_5945
.LBB6_7574:                             ;   in Loop: Header=BB6_5432 Depth=2
	s_mov_b32 s7, -1
	s_mov_b32 s26, exec_lo
                                        ; implicit-def: $sgpr24
	v_cmpx_eq_u16_e64 0x80, v165
; %bb.7575:                             ;   in Loop: Header=BB6_5432 Depth=2
	s_mov_b32 s24, 0x7f800001
	s_xor_b32 s7, exec_lo, -1
; %bb.7576:                             ;   in Loop: Header=BB6_5432 Depth=2
	s_or_b32 exec_lo, exec_lo, s26
	s_delay_alu instid0(SALU_CYCLE_1)
	s_and_b32 s7, s7, exec_lo
                                        ; implicit-def: $vgpr165
	s_or_saveexec_b32 s25, s25
	v_mov_b32_e32 v164, s24
	s_xor_b32 exec_lo, exec_lo, s25
	s_cbranch_execz .LBB6_5957
.LBB6_7577:                             ;   in Loop: Header=BB6_5432 Depth=2
	v_cmp_ne_u16_e64 vcc_lo, 0, v165
	v_mov_b32_e32 v164, 0
	s_and_not1_b32 s7, s7, exec_lo
	s_delay_alu instid0(VALU_DEP_2) | instskip(NEXT) | instid1(SALU_CYCLE_1)
	s_and_b32 s24, vcc_lo, exec_lo
	s_or_b32 s7, s7, s24
	s_or_b32 exec_lo, exec_lo, s25
	s_and_saveexec_b32 s24, s7
	s_cbranch_execnz .LBB6_5958
	s_branch .LBB6_5959
.LBB6_7578:                             ;   in Loop: Header=BB6_5432 Depth=2
	s_mov_b32 s7, -1
	s_mov_b32 s26, exec_lo
                                        ; implicit-def: $sgpr24
	v_cmpx_eq_u16_e64 0x80, v166
; %bb.7579:                             ;   in Loop: Header=BB6_5432 Depth=2
	s_mov_b32 s24, 0x7f800001
	s_xor_b32 s7, exec_lo, -1
; %bb.7580:                             ;   in Loop: Header=BB6_5432 Depth=2
	s_or_b32 exec_lo, exec_lo, s26
	s_delay_alu instid0(SALU_CYCLE_1)
	s_and_b32 s7, s7, exec_lo
                                        ; implicit-def: $vgpr166
	s_or_saveexec_b32 s25, s25
	v_mov_b32_e32 v165, s24
	s_xor_b32 exec_lo, exec_lo, s25
	s_cbranch_execz .LBB6_5961
.LBB6_7581:                             ;   in Loop: Header=BB6_5432 Depth=2
	v_cmp_ne_u16_e64 vcc_lo, 0, v166
	v_mov_b32_e32 v165, 0
	s_and_not1_b32 s7, s7, exec_lo
	s_delay_alu instid0(VALU_DEP_2) | instskip(NEXT) | instid1(SALU_CYCLE_1)
	s_and_b32 s24, vcc_lo, exec_lo
	s_or_b32 s7, s7, s24
	s_or_b32 exec_lo, exec_lo, s25
	s_and_saveexec_b32 s24, s7
	s_cbranch_execnz .LBB6_5962
	s_branch .LBB6_5963
.LBB6_7582:                             ;   in Loop: Header=BB6_5432 Depth=2
	s_mov_b32 s7, -1
	s_mov_b32 s26, exec_lo
                                        ; implicit-def: $sgpr24
	v_cmpx_eq_u16_e64 0x80, v165
; %bb.7583:                             ;   in Loop: Header=BB6_5432 Depth=2
	s_mov_b32 s24, 0x7f800001
	s_xor_b32 s7, exec_lo, -1
; %bb.7584:                             ;   in Loop: Header=BB6_5432 Depth=2
	s_or_b32 exec_lo, exec_lo, s26
	s_delay_alu instid0(SALU_CYCLE_1)
	s_and_b32 s7, s7, exec_lo
                                        ; implicit-def: $vgpr165
	s_or_saveexec_b32 s25, s25
	v_mov_b32_e32 v164, s24
	s_xor_b32 exec_lo, exec_lo, s25
	s_cbranch_execz .LBB6_5968
.LBB6_7585:                             ;   in Loop: Header=BB6_5432 Depth=2
	v_cmp_ne_u16_e64 vcc_lo, 0, v165
	v_mov_b32_e32 v164, 0
	s_and_not1_b32 s7, s7, exec_lo
	s_delay_alu instid0(VALU_DEP_2) | instskip(NEXT) | instid1(SALU_CYCLE_1)
	s_and_b32 s24, vcc_lo, exec_lo
	s_or_b32 s7, s7, s24
	s_or_b32 exec_lo, exec_lo, s25
	s_and_saveexec_b32 s24, s7
	s_cbranch_execnz .LBB6_5969
	s_branch .LBB6_5970
.LBB6_7586:                             ;   in Loop: Header=BB6_5432 Depth=2
	s_mov_b32 s7, -1
	s_mov_b32 s26, exec_lo
                                        ; implicit-def: $sgpr24
	v_cmpx_eq_u16_e64 0x80, v165
; %bb.7587:                             ;   in Loop: Header=BB6_5432 Depth=2
	s_mov_b32 s24, 0x7f800001
	s_xor_b32 s7, exec_lo, -1
; %bb.7588:                             ;   in Loop: Header=BB6_5432 Depth=2
	s_or_b32 exec_lo, exec_lo, s26
	s_delay_alu instid0(SALU_CYCLE_1)
	s_and_b32 s7, s7, exec_lo
                                        ; implicit-def: $vgpr165
	s_or_saveexec_b32 s25, s25
	v_mov_b32_e32 v163, s24
	s_xor_b32 exec_lo, exec_lo, s25
	s_cbranch_execz .LBB6_5972
.LBB6_7589:                             ;   in Loop: Header=BB6_5432 Depth=2
	v_cmp_ne_u16_e64 vcc_lo, 0, v165
	v_mov_b32_e32 v163, 0
	s_and_not1_b32 s7, s7, exec_lo
	s_delay_alu instid0(VALU_DEP_2) | instskip(NEXT) | instid1(SALU_CYCLE_1)
	s_and_b32 s24, vcc_lo, exec_lo
	s_or_b32 s7, s7, s24
	s_or_b32 exec_lo, exec_lo, s25
	s_and_saveexec_b32 s24, s7
	s_cbranch_execnz .LBB6_5973
	s_branch .LBB6_5974
.LBB6_7590:                             ;   in Loop: Header=BB6_5432 Depth=2
	s_mov_b32 s7, -1
	s_mov_b32 s26, exec_lo
                                        ; implicit-def: $sgpr24
	v_cmpx_eq_u16_e64 0x80, v164
; %bb.7591:                             ;   in Loop: Header=BB6_5432 Depth=2
	s_mov_b32 s24, 0x7f800001
	s_xor_b32 s7, exec_lo, -1
; %bb.7592:                             ;   in Loop: Header=BB6_5432 Depth=2
	s_or_b32 exec_lo, exec_lo, s26
	s_delay_alu instid0(SALU_CYCLE_1)
	s_and_b32 s7, s7, exec_lo
	s_or_saveexec_b32 s25, s25
	v_mov_b32_e32 v165, s24
	s_xor_b32 exec_lo, exec_lo, s25
	s_cbranch_execz .LBB6_5986
.LBB6_7593:                             ;   in Loop: Header=BB6_5432 Depth=2
	v_cmp_ne_u16_e64 vcc_lo, 0, v164
	v_mov_b32_e32 v165, 0
	s_and_not1_b32 s7, s7, exec_lo
	s_delay_alu instid0(VALU_DEP_2) | instskip(NEXT) | instid1(SALU_CYCLE_1)
	s_and_b32 s24, vcc_lo, exec_lo
	s_or_b32 s7, s7, s24
	s_or_b32 exec_lo, exec_lo, s25
	s_and_saveexec_b32 s24, s7
	s_cbranch_execnz .LBB6_5987
	s_branch .LBB6_5988
.LBB6_7594:                             ;   in Loop: Header=BB6_5432 Depth=2
	s_mov_b32 s7, -1
	s_mov_b32 s26, exec_lo
                                        ; implicit-def: $sgpr24
	v_cmpx_eq_u16_e64 0x80, v163
; %bb.7595:                             ;   in Loop: Header=BB6_5432 Depth=2
	s_mov_b32 s24, 0x7f800001
	s_xor_b32 s7, exec_lo, -1
; %bb.7596:                             ;   in Loop: Header=BB6_5432 Depth=2
	s_or_b32 exec_lo, exec_lo, s26
	s_delay_alu instid0(SALU_CYCLE_1)
	s_and_b32 s7, s7, exec_lo
	s_or_saveexec_b32 s25, s25
	v_mov_b32_e32 v166, s24
	s_xor_b32 exec_lo, exec_lo, s25
	s_cbranch_execz .LBB6_5990
.LBB6_7597:                             ;   in Loop: Header=BB6_5432 Depth=2
	v_cmp_ne_u16_e64 vcc_lo, 0, v163
	v_mov_b32_e32 v166, 0
	s_and_not1_b32 s7, s7, exec_lo
	s_delay_alu instid0(VALU_DEP_2) | instskip(NEXT) | instid1(SALU_CYCLE_1)
	s_and_b32 s24, vcc_lo, exec_lo
	s_or_b32 s7, s7, s24
	s_or_b32 exec_lo, exec_lo, s25
	s_and_saveexec_b32 s24, s7
	s_cbranch_execnz .LBB6_5991
	s_branch .LBB6_5992
.LBB6_7598:                             ;   in Loop: Header=BB6_5432 Depth=2
	s_mov_b32 s7, -1
	s_mov_b32 s26, exec_lo
                                        ; implicit-def: $sgpr24
	v_cmpx_eq_u16_e64 0x80, v164
; %bb.7599:                             ;   in Loop: Header=BB6_5432 Depth=2
	s_mov_b32 s24, 0x7f800001
	s_xor_b32 s7, exec_lo, -1
; %bb.7600:                             ;   in Loop: Header=BB6_5432 Depth=2
	s_or_b32 exec_lo, exec_lo, s26
	s_delay_alu instid0(SALU_CYCLE_1)
	s_and_b32 s7, s7, exec_lo
	s_or_saveexec_b32 s25, s25
	v_mov_b32_e32 v165, s24
	s_xor_b32 exec_lo, exec_lo, s25
	s_cbranch_execz .LBB6_5997
.LBB6_7601:                             ;   in Loop: Header=BB6_5432 Depth=2
	v_cmp_ne_u16_e64 vcc_lo, 0, v164
	v_mov_b32_e32 v165, 0
	s_and_not1_b32 s7, s7, exec_lo
	s_delay_alu instid0(VALU_DEP_2) | instskip(NEXT) | instid1(SALU_CYCLE_1)
	s_and_b32 s24, vcc_lo, exec_lo
	s_or_b32 s7, s7, s24
	s_or_b32 exec_lo, exec_lo, s25
	s_and_saveexec_b32 s24, s7
	s_cbranch_execnz .LBB6_5998
	s_branch .LBB6_5999
.LBB6_7602:                             ;   in Loop: Header=BB6_5432 Depth=2
	s_mov_b32 s7, -1
	s_mov_b32 s26, exec_lo
                                        ; implicit-def: $sgpr24
	v_cmpx_eq_u16_e64 0x80, v163
; %bb.7603:                             ;   in Loop: Header=BB6_5432 Depth=2
	s_mov_b32 s24, 0x7f800001
	s_xor_b32 s7, exec_lo, -1
; %bb.7604:                             ;   in Loop: Header=BB6_5432 Depth=2
	s_or_b32 exec_lo, exec_lo, s26
	s_delay_alu instid0(SALU_CYCLE_1)
	s_and_b32 s7, s7, exec_lo
	s_or_saveexec_b32 s25, s25
	v_mov_b32_e32 v32, s24
	s_xor_b32 exec_lo, exec_lo, s25
	s_cbranch_execz .LBB6_6001
.LBB6_7605:                             ;   in Loop: Header=BB6_5432 Depth=2
	v_cmp_ne_u16_e64 vcc_lo, 0, v163
	v_mov_b32_e32 v32, 0
	s_and_not1_b32 s7, s7, exec_lo
	s_delay_alu instid0(VALU_DEP_2) | instskip(NEXT) | instid1(SALU_CYCLE_1)
	s_and_b32 s24, vcc_lo, exec_lo
	s_or_b32 s7, s7, s24
	s_or_b32 exec_lo, exec_lo, s25
	s_and_saveexec_b32 s24, s7
	s_cbranch_execnz .LBB6_6002
	s_branch .LBB6_6003
.LBB6_7606:                             ;   in Loop: Header=BB6_5432 Depth=2
	s_mov_b32 s7, -1
	s_mov_b32 s26, exec_lo
                                        ; implicit-def: $sgpr24
	v_cmpx_eq_u16_e64 0x80, v163
; %bb.7607:                             ;   in Loop: Header=BB6_5432 Depth=2
	s_mov_b32 s24, 0x7f800001
	s_xor_b32 s7, exec_lo, -1
; %bb.7608:                             ;   in Loop: Header=BB6_5432 Depth=2
	s_or_b32 exec_lo, exec_lo, s26
	s_delay_alu instid0(SALU_CYCLE_1)
	s_and_b32 s7, s7, exec_lo
                                        ; implicit-def: $vgpr163
	s_or_saveexec_b32 s25, s25
	v_mov_b32_e32 v32, s24
	s_xor_b32 exec_lo, exec_lo, s25
	s_cbranch_execz .LBB6_6015
.LBB6_7609:                             ;   in Loop: Header=BB6_5432 Depth=2
	v_cmp_ne_u16_e64 vcc_lo, 0, v163
	v_mov_b32_e32 v32, 0
	s_and_not1_b32 s7, s7, exec_lo
	s_delay_alu instid0(VALU_DEP_2) | instskip(NEXT) | instid1(SALU_CYCLE_1)
	s_and_b32 s24, vcc_lo, exec_lo
	s_or_b32 s7, s7, s24
	s_or_b32 exec_lo, exec_lo, s25
	s_and_saveexec_b32 s24, s7
	s_cbranch_execnz .LBB6_6016
	s_branch .LBB6_6017
.LBB6_7610:                             ;   in Loop: Header=BB6_5432 Depth=2
	s_mov_b32 s7, -1
	s_mov_b32 s26, exec_lo
                                        ; implicit-def: $sgpr24
	v_cmpx_eq_u16_e64 0x80, v164
; %bb.7611:                             ;   in Loop: Header=BB6_5432 Depth=2
	s_mov_b32 s24, 0x7f800001
	s_xor_b32 s7, exec_lo, -1
; %bb.7612:                             ;   in Loop: Header=BB6_5432 Depth=2
	s_or_b32 exec_lo, exec_lo, s26
	s_delay_alu instid0(SALU_CYCLE_1)
	s_and_b32 s7, s7, exec_lo
                                        ; implicit-def: $vgpr164
	s_or_saveexec_b32 s25, s25
	v_mov_b32_e32 v163, s24
	s_xor_b32 exec_lo, exec_lo, s25
	s_cbranch_execz .LBB6_6019
.LBB6_7613:                             ;   in Loop: Header=BB6_5432 Depth=2
	v_cmp_ne_u16_e64 vcc_lo, 0, v164
	v_mov_b32_e32 v163, 0
	s_and_not1_b32 s7, s7, exec_lo
	s_delay_alu instid0(VALU_DEP_2) | instskip(NEXT) | instid1(SALU_CYCLE_1)
	s_and_b32 s24, vcc_lo, exec_lo
	s_or_b32 s7, s7, s24
	s_or_b32 exec_lo, exec_lo, s25
	s_and_saveexec_b32 s24, s7
	s_cbranch_execnz .LBB6_6020
	s_branch .LBB6_6021
.LBB6_7614:                             ;   in Loop: Header=BB6_5432 Depth=2
	s_mov_b32 s7, -1
	s_mov_b32 s26, exec_lo
                                        ; implicit-def: $sgpr24
	v_cmpx_eq_u16_e64 0x80, v163
; %bb.7615:                             ;   in Loop: Header=BB6_5432 Depth=2
	s_mov_b32 s24, 0x7f800001
	s_xor_b32 s7, exec_lo, -1
; %bb.7616:                             ;   in Loop: Header=BB6_5432 Depth=2
	s_or_b32 exec_lo, exec_lo, s26
	s_delay_alu instid0(SALU_CYCLE_1)
	s_and_b32 s7, s7, exec_lo
                                        ; implicit-def: $vgpr163
	s_or_saveexec_b32 s25, s25
	v_mov_b32_e32 v32, s24
	s_xor_b32 exec_lo, exec_lo, s25
	s_cbranch_execz .LBB6_6026
.LBB6_7617:                             ;   in Loop: Header=BB6_5432 Depth=2
	v_cmp_ne_u16_e64 vcc_lo, 0, v163
	v_mov_b32_e32 v32, 0
	s_and_not1_b32 s7, s7, exec_lo
	s_delay_alu instid0(VALU_DEP_2) | instskip(NEXT) | instid1(SALU_CYCLE_1)
	s_and_b32 s24, vcc_lo, exec_lo
	s_or_b32 s7, s7, s24
	s_or_b32 exec_lo, exec_lo, s25
	s_and_saveexec_b32 s24, s7
	s_cbranch_execnz .LBB6_6027
	s_branch .LBB6_6028
.LBB6_7618:                             ;   in Loop: Header=BB6_5432 Depth=2
	s_mov_b32 s7, -1
	s_mov_b32 s26, exec_lo
                                        ; implicit-def: $sgpr24
	v_cmpx_eq_u16_e64 0x80, v164
; %bb.7619:                             ;   in Loop: Header=BB6_5432 Depth=2
	s_mov_b32 s24, 0x7f800001
	s_xor_b32 s7, exec_lo, -1
; %bb.7620:                             ;   in Loop: Header=BB6_5432 Depth=2
	s_or_b32 exec_lo, exec_lo, s26
	s_delay_alu instid0(SALU_CYCLE_1)
	s_and_b32 s7, s7, exec_lo
                                        ; implicit-def: $vgpr164
	s_or_saveexec_b32 s25, s25
	v_mov_b32_e32 v163, s24
	s_xor_b32 exec_lo, exec_lo, s25
	s_cbranch_execz .LBB6_6030
.LBB6_7621:                             ;   in Loop: Header=BB6_5432 Depth=2
	v_cmp_ne_u16_e64 vcc_lo, 0, v164
	v_mov_b32_e32 v163, 0
	s_and_not1_b32 s7, s7, exec_lo
	s_delay_alu instid0(VALU_DEP_2) | instskip(NEXT) | instid1(SALU_CYCLE_1)
	s_and_b32 s24, vcc_lo, exec_lo
	s_or_b32 s7, s7, s24
	s_or_b32 exec_lo, exec_lo, s25
	s_and_saveexec_b32 s24, s7
	s_cbranch_execnz .LBB6_6031
	s_branch .LBB6_6032
.LBB6_7622:                             ;   in Loop: Header=BB6_5432 Depth=2
	s_mov_b32 s7, -1
	s_mov_b32 s26, exec_lo
                                        ; implicit-def: $sgpr24
	v_cmpx_eq_u16_e64 0x80, v164
; %bb.7623:                             ;   in Loop: Header=BB6_5432 Depth=2
	s_mov_b32 s24, 0x7f800001
	s_xor_b32 s7, exec_lo, -1
; %bb.7624:                             ;   in Loop: Header=BB6_5432 Depth=2
	s_or_b32 exec_lo, exec_lo, s26
	s_delay_alu instid0(SALU_CYCLE_1)
	s_and_b32 s7, s7, exec_lo
	s_or_saveexec_b32 s25, s25
	v_mov_b32_e32 v165, s24
	s_xor_b32 exec_lo, exec_lo, s25
	s_cbranch_execz .LBB6_6044
.LBB6_7625:                             ;   in Loop: Header=BB6_5432 Depth=2
	v_cmp_ne_u16_e64 vcc_lo, 0, v164
	v_mov_b32_e32 v165, 0
	s_and_not1_b32 s7, s7, exec_lo
	s_delay_alu instid0(VALU_DEP_2) | instskip(NEXT) | instid1(SALU_CYCLE_1)
	s_and_b32 s24, vcc_lo, exec_lo
	s_or_b32 s7, s7, s24
	s_or_b32 exec_lo, exec_lo, s25
	s_and_saveexec_b32 s24, s7
	s_cbranch_execnz .LBB6_6045
	s_branch .LBB6_6046
.LBB6_7626:                             ;   in Loop: Header=BB6_5432 Depth=2
	s_mov_b32 s7, -1
	s_mov_b32 s26, exec_lo
                                        ; implicit-def: $sgpr24
	v_cmpx_eq_u16_e64 0x80, v163
; %bb.7627:                             ;   in Loop: Header=BB6_5432 Depth=2
	s_mov_b32 s24, 0x7f800001
	s_xor_b32 s7, exec_lo, -1
; %bb.7628:                             ;   in Loop: Header=BB6_5432 Depth=2
	s_or_b32 exec_lo, exec_lo, s26
	s_delay_alu instid0(SALU_CYCLE_1)
	s_and_b32 s7, s7, exec_lo
	s_or_saveexec_b32 s25, s25
	v_mov_b32_e32 v166, s24
	s_xor_b32 exec_lo, exec_lo, s25
	s_cbranch_execz .LBB6_6048
.LBB6_7629:                             ;   in Loop: Header=BB6_5432 Depth=2
	v_cmp_ne_u16_e64 vcc_lo, 0, v163
	v_mov_b32_e32 v166, 0
	s_and_not1_b32 s7, s7, exec_lo
	s_delay_alu instid0(VALU_DEP_2) | instskip(NEXT) | instid1(SALU_CYCLE_1)
	s_and_b32 s24, vcc_lo, exec_lo
	s_or_b32 s7, s7, s24
	s_or_b32 exec_lo, exec_lo, s25
	s_and_saveexec_b32 s24, s7
	s_cbranch_execnz .LBB6_6049
	s_branch .LBB6_6050
.LBB6_7630:                             ;   in Loop: Header=BB6_5432 Depth=2
	s_mov_b32 s7, -1
	s_mov_b32 s26, exec_lo
                                        ; implicit-def: $sgpr24
	v_cmpx_eq_u16_e64 0x80, v164
; %bb.7631:                             ;   in Loop: Header=BB6_5432 Depth=2
	s_mov_b32 s24, 0x7f800001
	s_xor_b32 s7, exec_lo, -1
; %bb.7632:                             ;   in Loop: Header=BB6_5432 Depth=2
	s_or_b32 exec_lo, exec_lo, s26
	s_delay_alu instid0(SALU_CYCLE_1)
	s_and_b32 s7, s7, exec_lo
	s_or_saveexec_b32 s25, s25
	v_mov_b32_e32 v165, s24
	s_xor_b32 exec_lo, exec_lo, s25
	s_cbranch_execz .LBB6_6055
.LBB6_7633:                             ;   in Loop: Header=BB6_5432 Depth=2
	v_cmp_ne_u16_e64 vcc_lo, 0, v164
	v_mov_b32_e32 v165, 0
	s_and_not1_b32 s7, s7, exec_lo
	s_delay_alu instid0(VALU_DEP_2) | instskip(NEXT) | instid1(SALU_CYCLE_1)
	s_and_b32 s24, vcc_lo, exec_lo
	s_or_b32 s7, s7, s24
	s_or_b32 exec_lo, exec_lo, s25
	s_and_saveexec_b32 s24, s7
	s_cbranch_execnz .LBB6_6056
	s_branch .LBB6_6057
.LBB6_7634:                             ;   in Loop: Header=BB6_5432 Depth=2
	s_mov_b32 s7, -1
	s_mov_b32 s26, exec_lo
                                        ; implicit-def: $sgpr24
	v_cmpx_eq_u16_e64 0x80, v163
; %bb.7635:                             ;   in Loop: Header=BB6_5432 Depth=2
	s_mov_b32 s24, 0x7f800001
	s_xor_b32 s7, exec_lo, -1
; %bb.7636:                             ;   in Loop: Header=BB6_5432 Depth=2
	s_or_b32 exec_lo, exec_lo, s26
	s_delay_alu instid0(SALU_CYCLE_1)
	s_and_b32 s7, s7, exec_lo
	s_or_saveexec_b32 s25, s25
	v_mov_b32_e32 v164, s24
	s_xor_b32 exec_lo, exec_lo, s25
	s_cbranch_execz .LBB6_6059
.LBB6_7637:                             ;   in Loop: Header=BB6_5432 Depth=2
	v_cmp_ne_u16_e64 vcc_lo, 0, v163
	v_mov_b32_e32 v164, 0
	s_and_not1_b32 s7, s7, exec_lo
	s_delay_alu instid0(VALU_DEP_2) | instskip(NEXT) | instid1(SALU_CYCLE_1)
	s_and_b32 s24, vcc_lo, exec_lo
	s_or_b32 s7, s7, s24
	s_or_b32 exec_lo, exec_lo, s25
	s_and_saveexec_b32 s24, s7
	s_cbranch_execnz .LBB6_6060
	s_branch .LBB6_6061
.LBB6_7638:                             ;   in Loop: Header=BB6_5432 Depth=2
	s_mov_b32 s7, -1
	s_mov_b32 s26, exec_lo
                                        ; implicit-def: $sgpr24
	v_cmpx_eq_u16_e64 0x80, v167
; %bb.7639:                             ;   in Loop: Header=BB6_5432 Depth=2
	s_mov_b32 s24, 0x7f800001
	s_xor_b32 s7, exec_lo, -1
; %bb.7640:                             ;   in Loop: Header=BB6_5432 Depth=2
	s_or_b32 exec_lo, exec_lo, s26
	s_delay_alu instid0(SALU_CYCLE_1)
	s_and_b32 s7, s7, exec_lo
                                        ; implicit-def: $vgpr167
	s_or_saveexec_b32 s25, s25
	v_mov_b32_e32 v166, s24
	s_xor_b32 exec_lo, exec_lo, s25
	s_cbranch_execz .LBB6_6073
.LBB6_7641:                             ;   in Loop: Header=BB6_5432 Depth=2
	v_cmp_ne_u16_e64 vcc_lo, 0, v167
	v_mov_b32_e32 v166, 0
	s_and_not1_b32 s7, s7, exec_lo
	s_delay_alu instid0(VALU_DEP_2) | instskip(NEXT) | instid1(SALU_CYCLE_1)
	s_and_b32 s24, vcc_lo, exec_lo
	s_or_b32 s7, s7, s24
	s_or_b32 exec_lo, exec_lo, s25
	s_and_saveexec_b32 s24, s7
	s_cbranch_execnz .LBB6_6074
	s_branch .LBB6_6075
.LBB6_7642:                             ;   in Loop: Header=BB6_5432 Depth=2
	s_mov_b32 s7, -1
	s_mov_b32 s26, exec_lo
                                        ; implicit-def: $sgpr24
	v_cmpx_eq_u16_e64 0x80, v176
; %bb.7643:                             ;   in Loop: Header=BB6_5432 Depth=2
	s_mov_b32 s24, 0x7f800001
	s_xor_b32 s7, exec_lo, -1
; %bb.7644:                             ;   in Loop: Header=BB6_5432 Depth=2
	s_or_b32 exec_lo, exec_lo, s26
	s_delay_alu instid0(SALU_CYCLE_1)
	s_and_b32 s7, s7, exec_lo
                                        ; implicit-def: $vgpr176
	s_or_saveexec_b32 s25, s25
	v_mov_b32_e32 v167, s24
	s_xor_b32 exec_lo, exec_lo, s25
	s_cbranch_execz .LBB6_6077
.LBB6_7645:                             ;   in Loop: Header=BB6_5432 Depth=2
	v_cmp_ne_u16_e64 vcc_lo, 0, v176
	v_mov_b32_e32 v167, 0
	s_and_not1_b32 s7, s7, exec_lo
	s_delay_alu instid0(VALU_DEP_2) | instskip(NEXT) | instid1(SALU_CYCLE_1)
	s_and_b32 s24, vcc_lo, exec_lo
	s_or_b32 s7, s7, s24
	s_or_b32 exec_lo, exec_lo, s25
	s_and_saveexec_b32 s24, s7
	s_cbranch_execnz .LBB6_6078
	s_branch .LBB6_6079
.LBB6_7646:                             ;   in Loop: Header=BB6_5432 Depth=2
	s_mov_b32 s7, -1
	s_mov_b32 s26, exec_lo
                                        ; implicit-def: $sgpr24
	v_cmpx_eq_u16_e64 0x80, v167
; %bb.7647:                             ;   in Loop: Header=BB6_5432 Depth=2
	s_mov_b32 s24, 0x7f800001
	s_xor_b32 s7, exec_lo, -1
; %bb.7648:                             ;   in Loop: Header=BB6_5432 Depth=2
	s_or_b32 exec_lo, exec_lo, s26
	s_delay_alu instid0(SALU_CYCLE_1)
	s_and_b32 s7, s7, exec_lo
                                        ; implicit-def: $vgpr167
	s_or_saveexec_b32 s25, s25
	v_mov_b32_e32 v166, s24
	s_xor_b32 exec_lo, exec_lo, s25
	s_cbranch_execz .LBB6_6084
.LBB6_7649:                             ;   in Loop: Header=BB6_5432 Depth=2
	v_cmp_ne_u16_e64 vcc_lo, 0, v167
	v_mov_b32_e32 v166, 0
	s_and_not1_b32 s7, s7, exec_lo
	s_delay_alu instid0(VALU_DEP_2) | instskip(NEXT) | instid1(SALU_CYCLE_1)
	s_and_b32 s24, vcc_lo, exec_lo
	s_or_b32 s7, s7, s24
	s_or_b32 exec_lo, exec_lo, s25
	s_and_saveexec_b32 s24, s7
	s_cbranch_execnz .LBB6_6085
	s_branch .LBB6_6086
.LBB6_7650:                             ;   in Loop: Header=BB6_5432 Depth=2
	s_mov_b32 s7, -1
	s_mov_b32 s26, exec_lo
                                        ; implicit-def: $sgpr24
	v_cmpx_eq_u16_e64 0x80, v167
; %bb.7651:                             ;   in Loop: Header=BB6_5432 Depth=2
	s_mov_b32 s24, 0x7f800001
	s_xor_b32 s7, exec_lo, -1
; %bb.7652:                             ;   in Loop: Header=BB6_5432 Depth=2
	s_or_b32 exec_lo, exec_lo, s26
	s_delay_alu instid0(SALU_CYCLE_1)
	s_and_b32 s7, s7, exec_lo
                                        ; implicit-def: $vgpr167
	s_or_saveexec_b32 s25, s25
	v_mov_b32_e32 v165, s24
	s_xor_b32 exec_lo, exec_lo, s25
	s_cbranch_execz .LBB6_6088
.LBB6_7653:                             ;   in Loop: Header=BB6_5432 Depth=2
	v_cmp_ne_u16_e64 vcc_lo, 0, v167
	v_mov_b32_e32 v165, 0
	s_and_not1_b32 s7, s7, exec_lo
	s_delay_alu instid0(VALU_DEP_2) | instskip(NEXT) | instid1(SALU_CYCLE_1)
	s_and_b32 s24, vcc_lo, exec_lo
	s_or_b32 s7, s7, s24
	s_or_b32 exec_lo, exec_lo, s25
	s_and_saveexec_b32 s24, s7
	s_cbranch_execnz .LBB6_6089
	s_branch .LBB6_6090
.LBB6_7654:                             ;   in Loop: Header=BB6_5432 Depth=2
	s_mov_b32 s7, -1
	s_mov_b32 s26, exec_lo
                                        ; implicit-def: $sgpr24
	v_cmpx_eq_u16_e64 0x80, v166
; %bb.7655:                             ;   in Loop: Header=BB6_5432 Depth=2
	s_mov_b32 s24, 0x7f800001
	s_xor_b32 s7, exec_lo, -1
; %bb.7656:                             ;   in Loop: Header=BB6_5432 Depth=2
	s_or_b32 exec_lo, exec_lo, s26
	s_delay_alu instid0(SALU_CYCLE_1)
	s_and_b32 s7, s7, exec_lo
	s_or_saveexec_b32 s25, s25
	v_mov_b32_e32 v167, s24
	s_xor_b32 exec_lo, exec_lo, s25
	s_cbranch_execz .LBB6_6102
.LBB6_7657:                             ;   in Loop: Header=BB6_5432 Depth=2
	v_cmp_ne_u16_e64 vcc_lo, 0, v166
	v_mov_b32_e32 v167, 0
	s_and_not1_b32 s7, s7, exec_lo
	s_delay_alu instid0(VALU_DEP_2) | instskip(NEXT) | instid1(SALU_CYCLE_1)
	s_and_b32 s24, vcc_lo, exec_lo
	s_or_b32 s7, s7, s24
	s_or_b32 exec_lo, exec_lo, s25
	s_and_saveexec_b32 s24, s7
	s_cbranch_execnz .LBB6_6103
	s_branch .LBB6_6104
.LBB6_7658:                             ;   in Loop: Header=BB6_5432 Depth=2
	s_mov_b32 s7, -1
	s_mov_b32 s26, exec_lo
                                        ; implicit-def: $sgpr24
	v_cmpx_eq_u16_e64 0x80, v165
; %bb.7659:                             ;   in Loop: Header=BB6_5432 Depth=2
	s_mov_b32 s24, 0x7f800001
	s_xor_b32 s7, exec_lo, -1
; %bb.7660:                             ;   in Loop: Header=BB6_5432 Depth=2
	s_or_b32 exec_lo, exec_lo, s26
	s_delay_alu instid0(SALU_CYCLE_1)
	s_and_b32 s7, s7, exec_lo
	s_or_saveexec_b32 s25, s25
	v_mov_b32_e32 v176, s24
	s_xor_b32 exec_lo, exec_lo, s25
	s_cbranch_execz .LBB6_6106
.LBB6_7661:                             ;   in Loop: Header=BB6_5432 Depth=2
	v_cmp_ne_u16_e64 vcc_lo, 0, v165
	v_mov_b32_e32 v176, 0
	s_and_not1_b32 s7, s7, exec_lo
	s_delay_alu instid0(VALU_DEP_2) | instskip(NEXT) | instid1(SALU_CYCLE_1)
	s_and_b32 s24, vcc_lo, exec_lo
	s_or_b32 s7, s7, s24
	s_or_b32 exec_lo, exec_lo, s25
	s_and_saveexec_b32 s24, s7
	s_cbranch_execnz .LBB6_6107
	s_branch .LBB6_6108
.LBB6_7662:                             ;   in Loop: Header=BB6_5432 Depth=2
	s_mov_b32 s7, -1
	s_mov_b32 s26, exec_lo
                                        ; implicit-def: $sgpr24
	v_cmpx_eq_u16_e64 0x80, v166
; %bb.7663:                             ;   in Loop: Header=BB6_5432 Depth=2
	s_mov_b32 s24, 0x7f800001
	s_xor_b32 s7, exec_lo, -1
; %bb.7664:                             ;   in Loop: Header=BB6_5432 Depth=2
	s_or_b32 exec_lo, exec_lo, s26
	s_delay_alu instid0(SALU_CYCLE_1)
	s_and_b32 s7, s7, exec_lo
	s_or_saveexec_b32 s25, s25
	v_mov_b32_e32 v167, s24
	s_xor_b32 exec_lo, exec_lo, s25
	s_cbranch_execz .LBB6_6113
.LBB6_7665:                             ;   in Loop: Header=BB6_5432 Depth=2
	v_cmp_ne_u16_e64 vcc_lo, 0, v166
	v_mov_b32_e32 v167, 0
	s_and_not1_b32 s7, s7, exec_lo
	s_delay_alu instid0(VALU_DEP_2) | instskip(NEXT) | instid1(SALU_CYCLE_1)
	s_and_b32 s24, vcc_lo, exec_lo
	s_or_b32 s7, s7, s24
	s_or_b32 exec_lo, exec_lo, s25
	s_and_saveexec_b32 s24, s7
	s_cbranch_execnz .LBB6_6114
	s_branch .LBB6_6115
.LBB6_7666:                             ;   in Loop: Header=BB6_5432 Depth=2
	s_mov_b32 s7, -1
	s_mov_b32 s26, exec_lo
                                        ; implicit-def: $sgpr24
	v_cmpx_eq_u16_e64 0x80, v165
; %bb.7667:                             ;   in Loop: Header=BB6_5432 Depth=2
	s_mov_b32 s24, 0x7f800001
	s_xor_b32 s7, exec_lo, -1
; %bb.7668:                             ;   in Loop: Header=BB6_5432 Depth=2
	s_or_b32 exec_lo, exec_lo, s26
	s_delay_alu instid0(SALU_CYCLE_1)
	s_and_b32 s7, s7, exec_lo
	s_or_saveexec_b32 s25, s25
	v_mov_b32_e32 v33, s24
	s_xor_b32 exec_lo, exec_lo, s25
	s_cbranch_execz .LBB6_6117
.LBB6_7669:                             ;   in Loop: Header=BB6_5432 Depth=2
	v_cmp_ne_u16_e64 vcc_lo, 0, v165
	v_mov_b32_e32 v33, 0
	s_and_not1_b32 s7, s7, exec_lo
	s_delay_alu instid0(VALU_DEP_2) | instskip(NEXT) | instid1(SALU_CYCLE_1)
	s_and_b32 s24, vcc_lo, exec_lo
	s_or_b32 s7, s7, s24
	s_or_b32 exec_lo, exec_lo, s25
	s_and_saveexec_b32 s24, s7
	s_cbranch_execnz .LBB6_6118
	s_branch .LBB6_6119
.LBB6_7670:                             ;   in Loop: Header=BB6_5432 Depth=2
	s_mov_b32 s7, -1
	s_mov_b32 s26, exec_lo
                                        ; implicit-def: $sgpr24
	v_cmpx_eq_u16_e64 0x80, v165
; %bb.7671:                             ;   in Loop: Header=BB6_5432 Depth=2
	s_mov_b32 s24, 0x7f800001
	s_xor_b32 s7, exec_lo, -1
; %bb.7672:                             ;   in Loop: Header=BB6_5432 Depth=2
	s_or_b32 exec_lo, exec_lo, s26
	s_delay_alu instid0(SALU_CYCLE_1)
	s_and_b32 s7, s7, exec_lo
                                        ; implicit-def: $vgpr165
	s_or_saveexec_b32 s25, s25
	v_mov_b32_e32 v33, s24
	s_xor_b32 exec_lo, exec_lo, s25
	s_cbranch_execz .LBB6_6131
.LBB6_7673:                             ;   in Loop: Header=BB6_5432 Depth=2
	v_cmp_ne_u16_e64 vcc_lo, 0, v165
	v_mov_b32_e32 v33, 0
	s_and_not1_b32 s7, s7, exec_lo
	s_delay_alu instid0(VALU_DEP_2) | instskip(NEXT) | instid1(SALU_CYCLE_1)
	s_and_b32 s24, vcc_lo, exec_lo
	s_or_b32 s7, s7, s24
	s_or_b32 exec_lo, exec_lo, s25
	s_and_saveexec_b32 s24, s7
	s_cbranch_execnz .LBB6_6132
	s_branch .LBB6_6133
.LBB6_7674:                             ;   in Loop: Header=BB6_5432 Depth=2
	s_mov_b32 s7, -1
	s_mov_b32 s26, exec_lo
                                        ; implicit-def: $sgpr24
	v_cmpx_eq_u16_e64 0x80, v166
; %bb.7675:                             ;   in Loop: Header=BB6_5432 Depth=2
	s_mov_b32 s24, 0x7f800001
	s_xor_b32 s7, exec_lo, -1
; %bb.7676:                             ;   in Loop: Header=BB6_5432 Depth=2
	s_or_b32 exec_lo, exec_lo, s26
	s_delay_alu instid0(SALU_CYCLE_1)
	s_and_b32 s7, s7, exec_lo
                                        ; implicit-def: $vgpr166
	s_or_saveexec_b32 s25, s25
	v_mov_b32_e32 v165, s24
	s_xor_b32 exec_lo, exec_lo, s25
	s_cbranch_execz .LBB6_6135
.LBB6_7677:                             ;   in Loop: Header=BB6_5432 Depth=2
	v_cmp_ne_u16_e64 vcc_lo, 0, v166
	v_mov_b32_e32 v165, 0
	s_and_not1_b32 s7, s7, exec_lo
	s_delay_alu instid0(VALU_DEP_2) | instskip(NEXT) | instid1(SALU_CYCLE_1)
	s_and_b32 s24, vcc_lo, exec_lo
	s_or_b32 s7, s7, s24
	s_or_b32 exec_lo, exec_lo, s25
	s_and_saveexec_b32 s24, s7
	s_cbranch_execnz .LBB6_6136
	s_branch .LBB6_6137
.LBB6_7678:                             ;   in Loop: Header=BB6_5432 Depth=2
	s_mov_b32 s7, -1
	s_mov_b32 s26, exec_lo
                                        ; implicit-def: $sgpr24
	v_cmpx_eq_u16_e64 0x80, v165
; %bb.7679:                             ;   in Loop: Header=BB6_5432 Depth=2
	s_mov_b32 s24, 0x7f800001
	s_xor_b32 s7, exec_lo, -1
; %bb.7680:                             ;   in Loop: Header=BB6_5432 Depth=2
	s_or_b32 exec_lo, exec_lo, s26
	s_delay_alu instid0(SALU_CYCLE_1)
	s_and_b32 s7, s7, exec_lo
                                        ; implicit-def: $vgpr165
	s_or_saveexec_b32 s25, s25
	v_mov_b32_e32 v33, s24
	s_xor_b32 exec_lo, exec_lo, s25
	s_cbranch_execz .LBB6_6142
.LBB6_7681:                             ;   in Loop: Header=BB6_5432 Depth=2
	v_cmp_ne_u16_e64 vcc_lo, 0, v165
	v_mov_b32_e32 v33, 0
	s_and_not1_b32 s7, s7, exec_lo
	s_delay_alu instid0(VALU_DEP_2) | instskip(NEXT) | instid1(SALU_CYCLE_1)
	s_and_b32 s24, vcc_lo, exec_lo
	s_or_b32 s7, s7, s24
	s_or_b32 exec_lo, exec_lo, s25
	s_and_saveexec_b32 s24, s7
	s_cbranch_execnz .LBB6_6143
	s_branch .LBB6_6144
.LBB6_7682:                             ;   in Loop: Header=BB6_5432 Depth=2
	s_mov_b32 s7, -1
	s_mov_b32 s26, exec_lo
                                        ; implicit-def: $sgpr24
	v_cmpx_eq_u16_e64 0x80, v166
; %bb.7683:                             ;   in Loop: Header=BB6_5432 Depth=2
	s_mov_b32 s24, 0x7f800001
	s_xor_b32 s7, exec_lo, -1
; %bb.7684:                             ;   in Loop: Header=BB6_5432 Depth=2
	s_or_b32 exec_lo, exec_lo, s26
	s_delay_alu instid0(SALU_CYCLE_1)
	s_and_b32 s7, s7, exec_lo
                                        ; implicit-def: $vgpr166
	s_or_saveexec_b32 s25, s25
	v_mov_b32_e32 v165, s24
	s_xor_b32 exec_lo, exec_lo, s25
	s_cbranch_execz .LBB6_6146
.LBB6_7685:                             ;   in Loop: Header=BB6_5432 Depth=2
	v_cmp_ne_u16_e64 vcc_lo, 0, v166
	v_mov_b32_e32 v165, 0
	s_and_not1_b32 s7, s7, exec_lo
	s_delay_alu instid0(VALU_DEP_2) | instskip(NEXT) | instid1(SALU_CYCLE_1)
	s_and_b32 s24, vcc_lo, exec_lo
	s_or_b32 s7, s7, s24
	s_or_b32 exec_lo, exec_lo, s25
	s_and_saveexec_b32 s24, s7
	s_cbranch_execnz .LBB6_6147
	s_branch .LBB6_6148
.LBB6_7686:                             ;   in Loop: Header=BB6_5432 Depth=2
	s_mov_b32 s7, -1
	s_mov_b32 s26, exec_lo
                                        ; implicit-def: $sgpr24
	v_cmpx_eq_u16_e64 0x80, v166
; %bb.7687:                             ;   in Loop: Header=BB6_5432 Depth=2
	s_mov_b32 s24, 0x7f800001
	s_xor_b32 s7, exec_lo, -1
; %bb.7688:                             ;   in Loop: Header=BB6_5432 Depth=2
	s_or_b32 exec_lo, exec_lo, s26
	s_delay_alu instid0(SALU_CYCLE_1)
	s_and_b32 s7, s7, exec_lo
	s_or_saveexec_b32 s25, s25
	v_mov_b32_e32 v167, s24
	s_xor_b32 exec_lo, exec_lo, s25
	s_cbranch_execz .LBB6_6160
.LBB6_7689:                             ;   in Loop: Header=BB6_5432 Depth=2
	v_cmp_ne_u16_e64 vcc_lo, 0, v166
	v_mov_b32_e32 v167, 0
	s_and_not1_b32 s7, s7, exec_lo
	s_delay_alu instid0(VALU_DEP_2) | instskip(NEXT) | instid1(SALU_CYCLE_1)
	s_and_b32 s24, vcc_lo, exec_lo
	s_or_b32 s7, s7, s24
	s_or_b32 exec_lo, exec_lo, s25
	s_and_saveexec_b32 s24, s7
	s_cbranch_execnz .LBB6_6161
	s_branch .LBB6_6162
.LBB6_7690:                             ;   in Loop: Header=BB6_5432 Depth=2
	s_mov_b32 s7, -1
	s_mov_b32 s26, exec_lo
                                        ; implicit-def: $sgpr24
	v_cmpx_eq_u16_e64 0x80, v165
; %bb.7691:                             ;   in Loop: Header=BB6_5432 Depth=2
	s_mov_b32 s24, 0x7f800001
	s_xor_b32 s7, exec_lo, -1
; %bb.7692:                             ;   in Loop: Header=BB6_5432 Depth=2
	s_or_b32 exec_lo, exec_lo, s26
	s_delay_alu instid0(SALU_CYCLE_1)
	s_and_b32 s7, s7, exec_lo
	s_or_saveexec_b32 s25, s25
	v_mov_b32_e32 v176, s24
	s_xor_b32 exec_lo, exec_lo, s25
	s_cbranch_execz .LBB6_6164
.LBB6_7693:                             ;   in Loop: Header=BB6_5432 Depth=2
	v_cmp_ne_u16_e64 vcc_lo, 0, v165
	v_mov_b32_e32 v176, 0
	s_and_not1_b32 s7, s7, exec_lo
	s_delay_alu instid0(VALU_DEP_2) | instskip(NEXT) | instid1(SALU_CYCLE_1)
	s_and_b32 s24, vcc_lo, exec_lo
	s_or_b32 s7, s7, s24
	s_or_b32 exec_lo, exec_lo, s25
	s_and_saveexec_b32 s24, s7
	s_cbranch_execnz .LBB6_6165
	s_branch .LBB6_6166
.LBB6_7694:                             ;   in Loop: Header=BB6_5432 Depth=2
	s_mov_b32 s7, -1
	s_mov_b32 s26, exec_lo
                                        ; implicit-def: $sgpr24
	v_cmpx_eq_u16_e64 0x80, v166
; %bb.7695:                             ;   in Loop: Header=BB6_5432 Depth=2
	s_mov_b32 s24, 0x7f800001
	s_xor_b32 s7, exec_lo, -1
; %bb.7696:                             ;   in Loop: Header=BB6_5432 Depth=2
	s_or_b32 exec_lo, exec_lo, s26
	s_delay_alu instid0(SALU_CYCLE_1)
	s_and_b32 s7, s7, exec_lo
	s_or_saveexec_b32 s25, s25
	v_mov_b32_e32 v167, s24
	s_xor_b32 exec_lo, exec_lo, s25
	s_cbranch_execz .LBB6_6171
.LBB6_7697:                             ;   in Loop: Header=BB6_5432 Depth=2
	v_cmp_ne_u16_e64 vcc_lo, 0, v166
	v_mov_b32_e32 v167, 0
	s_and_not1_b32 s7, s7, exec_lo
	s_delay_alu instid0(VALU_DEP_2) | instskip(NEXT) | instid1(SALU_CYCLE_1)
	s_and_b32 s24, vcc_lo, exec_lo
	s_or_b32 s7, s7, s24
	s_or_b32 exec_lo, exec_lo, s25
	s_and_saveexec_b32 s24, s7
	s_cbranch_execnz .LBB6_6172
	s_branch .LBB6_6173
.LBB6_7698:                             ;   in Loop: Header=BB6_5432 Depth=2
	s_mov_b32 s7, -1
	s_mov_b32 s26, exec_lo
                                        ; implicit-def: $sgpr24
	v_cmpx_eq_u16_e64 0x80, v165
; %bb.7699:                             ;   in Loop: Header=BB6_5432 Depth=2
	s_mov_b32 s24, 0x7f800001
	s_xor_b32 s7, exec_lo, -1
; %bb.7700:                             ;   in Loop: Header=BB6_5432 Depth=2
	s_or_b32 exec_lo, exec_lo, s26
	s_delay_alu instid0(SALU_CYCLE_1)
	s_and_b32 s7, s7, exec_lo
	s_or_saveexec_b32 s25, s25
	v_mov_b32_e32 v166, s24
	s_xor_b32 exec_lo, exec_lo, s25
	s_cbranch_execz .LBB6_6175
.LBB6_7701:                             ;   in Loop: Header=BB6_5432 Depth=2
	v_cmp_ne_u16_e64 vcc_lo, 0, v165
	v_mov_b32_e32 v166, 0
	s_and_not1_b32 s7, s7, exec_lo
	s_delay_alu instid0(VALU_DEP_2) | instskip(NEXT) | instid1(SALU_CYCLE_1)
	s_and_b32 s24, vcc_lo, exec_lo
	s_or_b32 s7, s7, s24
	s_or_b32 exec_lo, exec_lo, s25
	s_and_saveexec_b32 s24, s7
	s_cbranch_execnz .LBB6_6176
	s_branch .LBB6_6177
.LBB6_7702:                             ;   in Loop: Header=BB6_5432 Depth=2
	s_mov_b32 s7, -1
	s_mov_b32 s26, exec_lo
                                        ; implicit-def: $sgpr24
	v_cmpx_eq_u16_e64 0x80, v177
; %bb.7703:                             ;   in Loop: Header=BB6_5432 Depth=2
	s_mov_b32 s24, 0x7f800001
	s_xor_b32 s7, exec_lo, -1
; %bb.7704:                             ;   in Loop: Header=BB6_5432 Depth=2
	s_or_b32 exec_lo, exec_lo, s26
	s_delay_alu instid0(SALU_CYCLE_1)
	s_and_b32 s7, s7, exec_lo
                                        ; implicit-def: $vgpr177
	s_or_saveexec_b32 s25, s25
	v_mov_b32_e32 v176, s24
	s_xor_b32 exec_lo, exec_lo, s25
	s_cbranch_execz .LBB6_6189
.LBB6_7705:                             ;   in Loop: Header=BB6_5432 Depth=2
	v_cmp_ne_u16_e64 vcc_lo, 0, v177
	v_mov_b32_e32 v176, 0
	s_and_not1_b32 s7, s7, exec_lo
	s_delay_alu instid0(VALU_DEP_2) | instskip(NEXT) | instid1(SALU_CYCLE_1)
	s_and_b32 s24, vcc_lo, exec_lo
	s_or_b32 s7, s7, s24
	s_or_b32 exec_lo, exec_lo, s25
	s_and_saveexec_b32 s24, s7
	s_cbranch_execnz .LBB6_6190
	s_branch .LBB6_6191
.LBB6_7706:                             ;   in Loop: Header=BB6_5432 Depth=2
	s_mov_b32 s7, -1
	s_mov_b32 s26, exec_lo
                                        ; implicit-def: $sgpr24
	v_cmpx_eq_u16_e64 0x80, v178
; %bb.7707:                             ;   in Loop: Header=BB6_5432 Depth=2
	s_mov_b32 s24, 0x7f800001
	s_xor_b32 s7, exec_lo, -1
; %bb.7708:                             ;   in Loop: Header=BB6_5432 Depth=2
	s_or_b32 exec_lo, exec_lo, s26
	s_delay_alu instid0(SALU_CYCLE_1)
	s_and_b32 s7, s7, exec_lo
                                        ; implicit-def: $vgpr178
	s_or_saveexec_b32 s25, s25
	v_mov_b32_e32 v177, s24
	s_xor_b32 exec_lo, exec_lo, s25
	s_cbranch_execz .LBB6_6193
.LBB6_7709:                             ;   in Loop: Header=BB6_5432 Depth=2
	v_cmp_ne_u16_e64 vcc_lo, 0, v178
	v_mov_b32_e32 v177, 0
	s_and_not1_b32 s7, s7, exec_lo
	s_delay_alu instid0(VALU_DEP_2) | instskip(NEXT) | instid1(SALU_CYCLE_1)
	s_and_b32 s24, vcc_lo, exec_lo
	s_or_b32 s7, s7, s24
	s_or_b32 exec_lo, exec_lo, s25
	s_and_saveexec_b32 s24, s7
	s_cbranch_execnz .LBB6_6194
	s_branch .LBB6_6195
.LBB6_7710:                             ;   in Loop: Header=BB6_5432 Depth=2
	s_mov_b32 s7, -1
	s_mov_b32 s26, exec_lo
                                        ; implicit-def: $sgpr24
	v_cmpx_eq_u16_e64 0x80, v177
; %bb.7711:                             ;   in Loop: Header=BB6_5432 Depth=2
	s_mov_b32 s24, 0x7f800001
	s_xor_b32 s7, exec_lo, -1
; %bb.7712:                             ;   in Loop: Header=BB6_5432 Depth=2
	s_or_b32 exec_lo, exec_lo, s26
	s_delay_alu instid0(SALU_CYCLE_1)
	s_and_b32 s7, s7, exec_lo
                                        ; implicit-def: $vgpr177
	s_or_saveexec_b32 s25, s25
	v_mov_b32_e32 v176, s24
	s_xor_b32 exec_lo, exec_lo, s25
	s_cbranch_execz .LBB6_6200
.LBB6_7713:                             ;   in Loop: Header=BB6_5432 Depth=2
	v_cmp_ne_u16_e64 vcc_lo, 0, v177
	v_mov_b32_e32 v176, 0
	s_and_not1_b32 s7, s7, exec_lo
	s_delay_alu instid0(VALU_DEP_2) | instskip(NEXT) | instid1(SALU_CYCLE_1)
	s_and_b32 s24, vcc_lo, exec_lo
	s_or_b32 s7, s7, s24
	s_or_b32 exec_lo, exec_lo, s25
	s_and_saveexec_b32 s24, s7
	s_cbranch_execnz .LBB6_6201
	s_branch .LBB6_6202
.LBB6_7714:                             ;   in Loop: Header=BB6_5432 Depth=2
	s_mov_b32 s7, -1
	s_mov_b32 s26, exec_lo
                                        ; implicit-def: $sgpr24
	v_cmpx_eq_u16_e64 0x80, v177
; %bb.7715:                             ;   in Loop: Header=BB6_5432 Depth=2
	s_mov_b32 s24, 0x7f800001
	s_xor_b32 s7, exec_lo, -1
; %bb.7716:                             ;   in Loop: Header=BB6_5432 Depth=2
	s_or_b32 exec_lo, exec_lo, s26
	s_delay_alu instid0(SALU_CYCLE_1)
	s_and_b32 s7, s7, exec_lo
                                        ; implicit-def: $vgpr177
	s_or_saveexec_b32 s25, s25
	v_mov_b32_e32 v167, s24
	s_xor_b32 exec_lo, exec_lo, s25
	s_cbranch_execz .LBB6_6204
.LBB6_7717:                             ;   in Loop: Header=BB6_5432 Depth=2
	v_cmp_ne_u16_e64 vcc_lo, 0, v177
	v_mov_b32_e32 v167, 0
	s_and_not1_b32 s7, s7, exec_lo
	s_delay_alu instid0(VALU_DEP_2) | instskip(NEXT) | instid1(SALU_CYCLE_1)
	s_and_b32 s24, vcc_lo, exec_lo
	s_or_b32 s7, s7, s24
	s_or_b32 exec_lo, exec_lo, s25
	s_and_saveexec_b32 s24, s7
	s_cbranch_execnz .LBB6_6205
	s_branch .LBB6_6206
.LBB6_7718:                             ;   in Loop: Header=BB6_5432 Depth=2
	s_mov_b32 s7, -1
	s_mov_b32 s26, exec_lo
                                        ; implicit-def: $sgpr24
	v_cmpx_eq_u16_e64 0x80, v176
; %bb.7719:                             ;   in Loop: Header=BB6_5432 Depth=2
	s_mov_b32 s24, 0x7f800001
	s_xor_b32 s7, exec_lo, -1
; %bb.7720:                             ;   in Loop: Header=BB6_5432 Depth=2
	s_or_b32 exec_lo, exec_lo, s26
	s_delay_alu instid0(SALU_CYCLE_1)
	s_and_b32 s7, s7, exec_lo
	s_or_saveexec_b32 s25, s25
	v_mov_b32_e32 v177, s24
	s_xor_b32 exec_lo, exec_lo, s25
	s_cbranch_execz .LBB6_6218
.LBB6_7721:                             ;   in Loop: Header=BB6_5432 Depth=2
	v_cmp_ne_u16_e64 vcc_lo, 0, v176
	v_mov_b32_e32 v177, 0
	s_and_not1_b32 s7, s7, exec_lo
	s_delay_alu instid0(VALU_DEP_2) | instskip(NEXT) | instid1(SALU_CYCLE_1)
	s_and_b32 s24, vcc_lo, exec_lo
	s_or_b32 s7, s7, s24
	s_or_b32 exec_lo, exec_lo, s25
	s_and_saveexec_b32 s24, s7
	s_cbranch_execnz .LBB6_6219
	s_branch .LBB6_6220
.LBB6_7722:                             ;   in Loop: Header=BB6_5432 Depth=2
	s_mov_b32 s7, -1
	s_mov_b32 s26, exec_lo
                                        ; implicit-def: $sgpr24
	v_cmpx_eq_u16_e64 0x80, v167
; %bb.7723:                             ;   in Loop: Header=BB6_5432 Depth=2
	s_mov_b32 s24, 0x7f800001
	s_xor_b32 s7, exec_lo, -1
; %bb.7724:                             ;   in Loop: Header=BB6_5432 Depth=2
	s_or_b32 exec_lo, exec_lo, s26
	s_delay_alu instid0(SALU_CYCLE_1)
	s_and_b32 s7, s7, exec_lo
	s_or_saveexec_b32 s25, s25
	v_mov_b32_e32 v178, s24
	s_xor_b32 exec_lo, exec_lo, s25
	s_cbranch_execz .LBB6_6222
.LBB6_7725:                             ;   in Loop: Header=BB6_5432 Depth=2
	v_cmp_ne_u16_e64 vcc_lo, 0, v167
	v_mov_b32_e32 v178, 0
	s_and_not1_b32 s7, s7, exec_lo
	s_delay_alu instid0(VALU_DEP_2) | instskip(NEXT) | instid1(SALU_CYCLE_1)
	s_and_b32 s24, vcc_lo, exec_lo
	s_or_b32 s7, s7, s24
	s_or_b32 exec_lo, exec_lo, s25
	s_and_saveexec_b32 s24, s7
	s_cbranch_execnz .LBB6_6223
	s_branch .LBB6_6224
.LBB6_7726:                             ;   in Loop: Header=BB6_5432 Depth=2
	s_mov_b32 s7, -1
	s_mov_b32 s26, exec_lo
                                        ; implicit-def: $sgpr24
	v_cmpx_eq_u16_e64 0x80, v176
; %bb.7727:                             ;   in Loop: Header=BB6_5432 Depth=2
	s_mov_b32 s24, 0x7f800001
	s_xor_b32 s7, exec_lo, -1
; %bb.7728:                             ;   in Loop: Header=BB6_5432 Depth=2
	s_or_b32 exec_lo, exec_lo, s26
	s_delay_alu instid0(SALU_CYCLE_1)
	s_and_b32 s7, s7, exec_lo
	s_or_saveexec_b32 s25, s25
	v_mov_b32_e32 v177, s24
	s_xor_b32 exec_lo, exec_lo, s25
	s_cbranch_execz .LBB6_6229
.LBB6_7729:                             ;   in Loop: Header=BB6_5432 Depth=2
	v_cmp_ne_u16_e64 vcc_lo, 0, v176
	v_mov_b32_e32 v177, 0
	s_and_not1_b32 s7, s7, exec_lo
	s_delay_alu instid0(VALU_DEP_2) | instskip(NEXT) | instid1(SALU_CYCLE_1)
	s_and_b32 s24, vcc_lo, exec_lo
	s_or_b32 s7, s7, s24
	s_or_b32 exec_lo, exec_lo, s25
	s_and_saveexec_b32 s24, s7
	s_cbranch_execnz .LBB6_6230
	s_branch .LBB6_6231
.LBB6_7730:                             ;   in Loop: Header=BB6_5432 Depth=2
	s_mov_b32 s7, -1
	s_mov_b32 s26, exec_lo
                                        ; implicit-def: $sgpr24
	v_cmpx_eq_u16_e64 0x80, v167
; %bb.7731:                             ;   in Loop: Header=BB6_5432 Depth=2
	s_mov_b32 s24, 0x7f800001
	s_xor_b32 s7, exec_lo, -1
; %bb.7732:                             ;   in Loop: Header=BB6_5432 Depth=2
	s_or_b32 exec_lo, exec_lo, s26
	s_delay_alu instid0(SALU_CYCLE_1)
	s_and_b32 s7, s7, exec_lo
	s_or_saveexec_b32 s25, s25
	v_mov_b32_e32 v34, s24
	s_xor_b32 exec_lo, exec_lo, s25
	s_cbranch_execz .LBB6_6233
.LBB6_7733:                             ;   in Loop: Header=BB6_5432 Depth=2
	v_cmp_ne_u16_e64 vcc_lo, 0, v167
	v_mov_b32_e32 v34, 0
	s_and_not1_b32 s7, s7, exec_lo
	s_delay_alu instid0(VALU_DEP_2) | instskip(NEXT) | instid1(SALU_CYCLE_1)
	s_and_b32 s24, vcc_lo, exec_lo
	s_or_b32 s7, s7, s24
	s_or_b32 exec_lo, exec_lo, s25
	s_and_saveexec_b32 s24, s7
	s_cbranch_execnz .LBB6_6234
	s_branch .LBB6_6235
.LBB6_7734:                             ;   in Loop: Header=BB6_5432 Depth=2
	s_mov_b32 s7, -1
	s_mov_b32 s26, exec_lo
                                        ; implicit-def: $sgpr24
	v_cmpx_eq_u16_e64 0x80, v167
; %bb.7735:                             ;   in Loop: Header=BB6_5432 Depth=2
	s_mov_b32 s24, 0x7f800001
	s_xor_b32 s7, exec_lo, -1
; %bb.7736:                             ;   in Loop: Header=BB6_5432 Depth=2
	s_or_b32 exec_lo, exec_lo, s26
	s_delay_alu instid0(SALU_CYCLE_1)
	s_and_b32 s7, s7, exec_lo
                                        ; implicit-def: $vgpr167
	s_or_saveexec_b32 s25, s25
	v_mov_b32_e32 v34, s24
	s_xor_b32 exec_lo, exec_lo, s25
	s_cbranch_execz .LBB6_6247
.LBB6_7737:                             ;   in Loop: Header=BB6_5432 Depth=2
	v_cmp_ne_u16_e64 vcc_lo, 0, v167
	v_mov_b32_e32 v34, 0
	s_and_not1_b32 s7, s7, exec_lo
	s_delay_alu instid0(VALU_DEP_2) | instskip(NEXT) | instid1(SALU_CYCLE_1)
	s_and_b32 s24, vcc_lo, exec_lo
	s_or_b32 s7, s7, s24
	s_or_b32 exec_lo, exec_lo, s25
	s_and_saveexec_b32 s24, s7
	s_cbranch_execnz .LBB6_6248
	s_branch .LBB6_6249
.LBB6_7738:                             ;   in Loop: Header=BB6_5432 Depth=2
	s_mov_b32 s7, -1
	s_mov_b32 s26, exec_lo
                                        ; implicit-def: $sgpr24
	v_cmpx_eq_u16_e64 0x80, v176
; %bb.7739:                             ;   in Loop: Header=BB6_5432 Depth=2
	s_mov_b32 s24, 0x7f800001
	s_xor_b32 s7, exec_lo, -1
; %bb.7740:                             ;   in Loop: Header=BB6_5432 Depth=2
	s_or_b32 exec_lo, exec_lo, s26
	s_delay_alu instid0(SALU_CYCLE_1)
	s_and_b32 s7, s7, exec_lo
                                        ; implicit-def: $vgpr176
	s_or_saveexec_b32 s25, s25
	v_mov_b32_e32 v167, s24
	s_xor_b32 exec_lo, exec_lo, s25
	s_cbranch_execz .LBB6_6251
.LBB6_7741:                             ;   in Loop: Header=BB6_5432 Depth=2
	v_cmp_ne_u16_e64 vcc_lo, 0, v176
	v_mov_b32_e32 v167, 0
	s_and_not1_b32 s7, s7, exec_lo
	s_delay_alu instid0(VALU_DEP_2) | instskip(NEXT) | instid1(SALU_CYCLE_1)
	s_and_b32 s24, vcc_lo, exec_lo
	s_or_b32 s7, s7, s24
	s_or_b32 exec_lo, exec_lo, s25
	s_and_saveexec_b32 s24, s7
	s_cbranch_execnz .LBB6_6252
	s_branch .LBB6_6253
.LBB6_7742:                             ;   in Loop: Header=BB6_5432 Depth=2
	s_mov_b32 s7, -1
	s_mov_b32 s26, exec_lo
                                        ; implicit-def: $sgpr24
	v_cmpx_eq_u16_e64 0x80, v167
; %bb.7743:                             ;   in Loop: Header=BB6_5432 Depth=2
	s_mov_b32 s24, 0x7f800001
	s_xor_b32 s7, exec_lo, -1
; %bb.7744:                             ;   in Loop: Header=BB6_5432 Depth=2
	s_or_b32 exec_lo, exec_lo, s26
	s_delay_alu instid0(SALU_CYCLE_1)
	s_and_b32 s7, s7, exec_lo
                                        ; implicit-def: $vgpr167
	s_or_saveexec_b32 s25, s25
	v_mov_b32_e32 v34, s24
	s_xor_b32 exec_lo, exec_lo, s25
	s_cbranch_execz .LBB6_6258
.LBB6_7745:                             ;   in Loop: Header=BB6_5432 Depth=2
	v_cmp_ne_u16_e64 vcc_lo, 0, v167
	v_mov_b32_e32 v34, 0
	s_and_not1_b32 s7, s7, exec_lo
	s_delay_alu instid0(VALU_DEP_2) | instskip(NEXT) | instid1(SALU_CYCLE_1)
	s_and_b32 s24, vcc_lo, exec_lo
	s_or_b32 s7, s7, s24
	s_or_b32 exec_lo, exec_lo, s25
	s_and_saveexec_b32 s24, s7
	s_cbranch_execnz .LBB6_6259
	s_branch .LBB6_6260
.LBB6_7746:                             ;   in Loop: Header=BB6_5432 Depth=2
	s_mov_b32 s7, -1
	s_mov_b32 s26, exec_lo
                                        ; implicit-def: $sgpr24
	v_cmpx_eq_u16_e64 0x80, v176
; %bb.7747:                             ;   in Loop: Header=BB6_5432 Depth=2
	s_mov_b32 s24, 0x7f800001
	s_xor_b32 s7, exec_lo, -1
; %bb.7748:                             ;   in Loop: Header=BB6_5432 Depth=2
	s_or_b32 exec_lo, exec_lo, s26
	s_delay_alu instid0(SALU_CYCLE_1)
	s_and_b32 s7, s7, exec_lo
                                        ; implicit-def: $vgpr176
	s_or_saveexec_b32 s25, s25
	v_mov_b32_e32 v167, s24
	s_xor_b32 exec_lo, exec_lo, s25
	s_cbranch_execz .LBB6_6262
.LBB6_7749:                             ;   in Loop: Header=BB6_5432 Depth=2
	v_cmp_ne_u16_e64 vcc_lo, 0, v176
	v_mov_b32_e32 v167, 0
	s_and_not1_b32 s7, s7, exec_lo
	s_delay_alu instid0(VALU_DEP_2) | instskip(NEXT) | instid1(SALU_CYCLE_1)
	s_and_b32 s24, vcc_lo, exec_lo
	s_or_b32 s7, s7, s24
	s_or_b32 exec_lo, exec_lo, s25
	s_and_saveexec_b32 s24, s7
	s_cbranch_execnz .LBB6_6263
	s_branch .LBB6_6264
.LBB6_7750:                             ;   in Loop: Header=BB6_5432 Depth=2
	s_mov_b32 s7, -1
	s_mov_b32 s26, exec_lo
                                        ; implicit-def: $sgpr24
	v_cmpx_eq_u16_e64 0x80, v176
; %bb.7751:                             ;   in Loop: Header=BB6_5432 Depth=2
	s_mov_b32 s24, 0x7f800001
	s_xor_b32 s7, exec_lo, -1
; %bb.7752:                             ;   in Loop: Header=BB6_5432 Depth=2
	s_or_b32 exec_lo, exec_lo, s26
	s_delay_alu instid0(SALU_CYCLE_1)
	s_and_b32 s7, s7, exec_lo
	s_or_saveexec_b32 s25, s25
	v_mov_b32_e32 v177, s24
	s_xor_b32 exec_lo, exec_lo, s25
	s_cbranch_execz .LBB6_6276
.LBB6_7753:                             ;   in Loop: Header=BB6_5432 Depth=2
	v_cmp_ne_u16_e64 vcc_lo, 0, v176
	v_mov_b32_e32 v177, 0
	s_and_not1_b32 s7, s7, exec_lo
	s_delay_alu instid0(VALU_DEP_2) | instskip(NEXT) | instid1(SALU_CYCLE_1)
	s_and_b32 s24, vcc_lo, exec_lo
	s_or_b32 s7, s7, s24
	s_or_b32 exec_lo, exec_lo, s25
	s_and_saveexec_b32 s24, s7
	s_cbranch_execnz .LBB6_6277
	s_branch .LBB6_6278
.LBB6_7754:                             ;   in Loop: Header=BB6_5432 Depth=2
	s_mov_b32 s7, -1
	s_mov_b32 s26, exec_lo
                                        ; implicit-def: $sgpr24
	v_cmpx_eq_u16_e64 0x80, v167
; %bb.7755:                             ;   in Loop: Header=BB6_5432 Depth=2
	s_mov_b32 s24, 0x7f800001
	s_xor_b32 s7, exec_lo, -1
; %bb.7756:                             ;   in Loop: Header=BB6_5432 Depth=2
	s_or_b32 exec_lo, exec_lo, s26
	s_delay_alu instid0(SALU_CYCLE_1)
	s_and_b32 s7, s7, exec_lo
	s_or_saveexec_b32 s25, s25
	v_mov_b32_e32 v178, s24
	s_xor_b32 exec_lo, exec_lo, s25
	s_cbranch_execz .LBB6_6280
.LBB6_7757:                             ;   in Loop: Header=BB6_5432 Depth=2
	v_cmp_ne_u16_e64 vcc_lo, 0, v167
	v_mov_b32_e32 v178, 0
	s_and_not1_b32 s7, s7, exec_lo
	s_delay_alu instid0(VALU_DEP_2) | instskip(NEXT) | instid1(SALU_CYCLE_1)
	s_and_b32 s24, vcc_lo, exec_lo
	s_or_b32 s7, s7, s24
	s_or_b32 exec_lo, exec_lo, s25
	s_and_saveexec_b32 s24, s7
	s_cbranch_execnz .LBB6_6281
	s_branch .LBB6_6282
.LBB6_7758:                             ;   in Loop: Header=BB6_5432 Depth=2
	s_mov_b32 s7, -1
	s_mov_b32 s26, exec_lo
                                        ; implicit-def: $sgpr24
	v_cmpx_eq_u16_e64 0x80, v176
; %bb.7759:                             ;   in Loop: Header=BB6_5432 Depth=2
	s_mov_b32 s24, 0x7f800001
	s_xor_b32 s7, exec_lo, -1
; %bb.7760:                             ;   in Loop: Header=BB6_5432 Depth=2
	s_or_b32 exec_lo, exec_lo, s26
	s_delay_alu instid0(SALU_CYCLE_1)
	s_and_b32 s7, s7, exec_lo
	s_or_saveexec_b32 s25, s25
	v_mov_b32_e32 v177, s24
	s_xor_b32 exec_lo, exec_lo, s25
	s_cbranch_execz .LBB6_6287
.LBB6_7761:                             ;   in Loop: Header=BB6_5432 Depth=2
	v_cmp_ne_u16_e64 vcc_lo, 0, v176
	v_mov_b32_e32 v177, 0
	s_and_not1_b32 s7, s7, exec_lo
	s_delay_alu instid0(VALU_DEP_2) | instskip(NEXT) | instid1(SALU_CYCLE_1)
	s_and_b32 s24, vcc_lo, exec_lo
	s_or_b32 s7, s7, s24
	s_or_b32 exec_lo, exec_lo, s25
	s_and_saveexec_b32 s24, s7
	s_cbranch_execnz .LBB6_6288
	s_branch .LBB6_6289
.LBB6_7762:                             ;   in Loop: Header=BB6_5432 Depth=2
	s_mov_b32 s7, -1
	s_mov_b32 s26, exec_lo
                                        ; implicit-def: $sgpr24
	v_cmpx_eq_u16_e64 0x80, v167
; %bb.7763:                             ;   in Loop: Header=BB6_5432 Depth=2
	s_mov_b32 s24, 0x7f800001
	s_xor_b32 s7, exec_lo, -1
; %bb.7764:                             ;   in Loop: Header=BB6_5432 Depth=2
	s_or_b32 exec_lo, exec_lo, s26
	s_delay_alu instid0(SALU_CYCLE_1)
	s_and_b32 s7, s7, exec_lo
	s_or_saveexec_b32 s25, s25
	v_mov_b32_e32 v176, s24
	s_xor_b32 exec_lo, exec_lo, s25
	s_cbranch_execz .LBB6_6291
.LBB6_7765:                             ;   in Loop: Header=BB6_5432 Depth=2
	v_cmp_ne_u16_e64 vcc_lo, 0, v167
	v_mov_b32_e32 v176, 0
	s_and_not1_b32 s7, s7, exec_lo
	s_delay_alu instid0(VALU_DEP_2) | instskip(NEXT) | instid1(SALU_CYCLE_1)
	s_and_b32 s24, vcc_lo, exec_lo
	s_or_b32 s7, s7, s24
	s_or_b32 exec_lo, exec_lo, s25
	s_and_saveexec_b32 s24, s7
	s_cbranch_execnz .LBB6_6292
	s_branch .LBB6_6293
.LBB6_7766:                             ;   in Loop: Header=BB6_5432 Depth=2
	s_mov_b32 s7, -1
	s_mov_b32 s26, exec_lo
                                        ; implicit-def: $sgpr24
	v_cmpx_eq_u16_e64 0x80, v179
; %bb.7767:                             ;   in Loop: Header=BB6_5432 Depth=2
	s_mov_b32 s24, 0x7f800001
	s_xor_b32 s7, exec_lo, -1
; %bb.7768:                             ;   in Loop: Header=BB6_5432 Depth=2
	s_or_b32 exec_lo, exec_lo, s26
	s_delay_alu instid0(SALU_CYCLE_1)
	s_and_b32 s7, s7, exec_lo
                                        ; implicit-def: $vgpr179
	s_or_saveexec_b32 s25, s25
	v_mov_b32_e32 v178, s24
	s_xor_b32 exec_lo, exec_lo, s25
	s_cbranch_execz .LBB6_6305
.LBB6_7769:                             ;   in Loop: Header=BB6_5432 Depth=2
	v_cmp_ne_u16_e64 vcc_lo, 0, v179
	v_mov_b32_e32 v178, 0
	s_and_not1_b32 s7, s7, exec_lo
	s_delay_alu instid0(VALU_DEP_2) | instskip(NEXT) | instid1(SALU_CYCLE_1)
	s_and_b32 s24, vcc_lo, exec_lo
	s_or_b32 s7, s7, s24
	s_or_b32 exec_lo, exec_lo, s25
	s_and_saveexec_b32 s24, s7
	s_cbranch_execnz .LBB6_6306
	s_branch .LBB6_6307
.LBB6_7770:                             ;   in Loop: Header=BB6_5432 Depth=2
	s_mov_b32 s7, -1
	s_mov_b32 s26, exec_lo
                                        ; implicit-def: $sgpr24
	v_cmpx_eq_u16_e64 0x80, v180
; %bb.7771:                             ;   in Loop: Header=BB6_5432 Depth=2
	s_mov_b32 s24, 0x7f800001
	s_xor_b32 s7, exec_lo, -1
; %bb.7772:                             ;   in Loop: Header=BB6_5432 Depth=2
	s_or_b32 exec_lo, exec_lo, s26
	s_delay_alu instid0(SALU_CYCLE_1)
	s_and_b32 s7, s7, exec_lo
                                        ; implicit-def: $vgpr180
	s_or_saveexec_b32 s25, s25
	v_mov_b32_e32 v179, s24
	s_xor_b32 exec_lo, exec_lo, s25
	s_cbranch_execz .LBB6_6309
.LBB6_7773:                             ;   in Loop: Header=BB6_5432 Depth=2
	v_cmp_ne_u16_e64 vcc_lo, 0, v180
	v_mov_b32_e32 v179, 0
	s_and_not1_b32 s7, s7, exec_lo
	s_delay_alu instid0(VALU_DEP_2) | instskip(NEXT) | instid1(SALU_CYCLE_1)
	s_and_b32 s24, vcc_lo, exec_lo
	s_or_b32 s7, s7, s24
	s_or_b32 exec_lo, exec_lo, s25
	s_and_saveexec_b32 s24, s7
	s_cbranch_execnz .LBB6_6310
	s_branch .LBB6_6311
.LBB6_7774:                             ;   in Loop: Header=BB6_5432 Depth=2
	s_mov_b32 s7, -1
	s_mov_b32 s26, exec_lo
                                        ; implicit-def: $sgpr24
	v_cmpx_eq_u16_e64 0x80, v179
; %bb.7775:                             ;   in Loop: Header=BB6_5432 Depth=2
	s_mov_b32 s24, 0x7f800001
	s_xor_b32 s7, exec_lo, -1
; %bb.7776:                             ;   in Loop: Header=BB6_5432 Depth=2
	s_or_b32 exec_lo, exec_lo, s26
	s_delay_alu instid0(SALU_CYCLE_1)
	s_and_b32 s7, s7, exec_lo
                                        ; implicit-def: $vgpr179
	s_or_saveexec_b32 s25, s25
	v_mov_b32_e32 v178, s24
	s_xor_b32 exec_lo, exec_lo, s25
	s_cbranch_execz .LBB6_6316
.LBB6_7777:                             ;   in Loop: Header=BB6_5432 Depth=2
	v_cmp_ne_u16_e64 vcc_lo, 0, v179
	v_mov_b32_e32 v178, 0
	s_and_not1_b32 s7, s7, exec_lo
	s_delay_alu instid0(VALU_DEP_2) | instskip(NEXT) | instid1(SALU_CYCLE_1)
	s_and_b32 s24, vcc_lo, exec_lo
	s_or_b32 s7, s7, s24
	s_or_b32 exec_lo, exec_lo, s25
	s_and_saveexec_b32 s24, s7
	s_cbranch_execnz .LBB6_6317
	s_branch .LBB6_6318
.LBB6_7778:                             ;   in Loop: Header=BB6_5432 Depth=2
	s_mov_b32 s7, -1
	s_mov_b32 s26, exec_lo
                                        ; implicit-def: $sgpr24
	v_cmpx_eq_u16_e64 0x80, v179
; %bb.7779:                             ;   in Loop: Header=BB6_5432 Depth=2
	s_mov_b32 s24, 0x7f800001
	s_xor_b32 s7, exec_lo, -1
; %bb.7780:                             ;   in Loop: Header=BB6_5432 Depth=2
	s_or_b32 exec_lo, exec_lo, s26
	s_delay_alu instid0(SALU_CYCLE_1)
	s_and_b32 s7, s7, exec_lo
                                        ; implicit-def: $vgpr179
	s_or_saveexec_b32 s25, s25
	v_mov_b32_e32 v177, s24
	s_xor_b32 exec_lo, exec_lo, s25
	s_cbranch_execz .LBB6_6320
.LBB6_7781:                             ;   in Loop: Header=BB6_5432 Depth=2
	v_cmp_ne_u16_e64 vcc_lo, 0, v179
	v_mov_b32_e32 v177, 0
	s_and_not1_b32 s7, s7, exec_lo
	s_delay_alu instid0(VALU_DEP_2) | instskip(NEXT) | instid1(SALU_CYCLE_1)
	s_and_b32 s24, vcc_lo, exec_lo
	s_or_b32 s7, s7, s24
	s_or_b32 exec_lo, exec_lo, s25
	s_and_saveexec_b32 s24, s7
	s_cbranch_execnz .LBB6_6321
	s_branch .LBB6_6322
.LBB6_7782:                             ;   in Loop: Header=BB6_5432 Depth=2
	s_mov_b32 s7, -1
	s_mov_b32 s26, exec_lo
                                        ; implicit-def: $sgpr24
	v_cmpx_eq_u16_e64 0x80, v178
; %bb.7783:                             ;   in Loop: Header=BB6_5432 Depth=2
	s_mov_b32 s24, 0x7f800001
	s_xor_b32 s7, exec_lo, -1
; %bb.7784:                             ;   in Loop: Header=BB6_5432 Depth=2
	s_or_b32 exec_lo, exec_lo, s26
	s_delay_alu instid0(SALU_CYCLE_1)
	s_and_b32 s7, s7, exec_lo
	s_or_saveexec_b32 s25, s25
	v_mov_b32_e32 v179, s24
	s_xor_b32 exec_lo, exec_lo, s25
	s_cbranch_execz .LBB6_6334
.LBB6_7785:                             ;   in Loop: Header=BB6_5432 Depth=2
	v_cmp_ne_u16_e64 vcc_lo, 0, v178
	v_mov_b32_e32 v179, 0
	s_and_not1_b32 s7, s7, exec_lo
	s_delay_alu instid0(VALU_DEP_2) | instskip(NEXT) | instid1(SALU_CYCLE_1)
	s_and_b32 s24, vcc_lo, exec_lo
	s_or_b32 s7, s7, s24
	s_or_b32 exec_lo, exec_lo, s25
	s_and_saveexec_b32 s24, s7
	s_cbranch_execnz .LBB6_6335
	s_branch .LBB6_6336
.LBB6_7786:                             ;   in Loop: Header=BB6_5432 Depth=2
	s_mov_b32 s7, -1
	s_mov_b32 s26, exec_lo
                                        ; implicit-def: $sgpr24
	v_cmpx_eq_u16_e64 0x80, v177
; %bb.7787:                             ;   in Loop: Header=BB6_5432 Depth=2
	s_mov_b32 s24, 0x7f800001
	s_xor_b32 s7, exec_lo, -1
; %bb.7788:                             ;   in Loop: Header=BB6_5432 Depth=2
	s_or_b32 exec_lo, exec_lo, s26
	s_delay_alu instid0(SALU_CYCLE_1)
	s_and_b32 s7, s7, exec_lo
	s_or_saveexec_b32 s25, s25
	v_mov_b32_e32 v180, s24
	s_xor_b32 exec_lo, exec_lo, s25
	s_cbranch_execz .LBB6_6338
.LBB6_7789:                             ;   in Loop: Header=BB6_5432 Depth=2
	v_cmp_ne_u16_e64 vcc_lo, 0, v177
	v_mov_b32_e32 v180, 0
	s_and_not1_b32 s7, s7, exec_lo
	s_delay_alu instid0(VALU_DEP_2) | instskip(NEXT) | instid1(SALU_CYCLE_1)
	s_and_b32 s24, vcc_lo, exec_lo
	s_or_b32 s7, s7, s24
	s_or_b32 exec_lo, exec_lo, s25
	s_and_saveexec_b32 s24, s7
	s_cbranch_execnz .LBB6_6339
	s_branch .LBB6_6340
.LBB6_7790:                             ;   in Loop: Header=BB6_5432 Depth=2
	s_mov_b32 s7, -1
	s_mov_b32 s26, exec_lo
                                        ; implicit-def: $sgpr24
	v_cmpx_eq_u16_e64 0x80, v178
; %bb.7791:                             ;   in Loop: Header=BB6_5432 Depth=2
	s_mov_b32 s24, 0x7f800001
	s_xor_b32 s7, exec_lo, -1
; %bb.7792:                             ;   in Loop: Header=BB6_5432 Depth=2
	s_or_b32 exec_lo, exec_lo, s26
	s_delay_alu instid0(SALU_CYCLE_1)
	s_and_b32 s7, s7, exec_lo
	s_or_saveexec_b32 s25, s25
	v_mov_b32_e32 v179, s24
	s_xor_b32 exec_lo, exec_lo, s25
	s_cbranch_execz .LBB6_6345
.LBB6_7793:                             ;   in Loop: Header=BB6_5432 Depth=2
	v_cmp_ne_u16_e64 vcc_lo, 0, v178
	v_mov_b32_e32 v179, 0
	s_and_not1_b32 s7, s7, exec_lo
	s_delay_alu instid0(VALU_DEP_2) | instskip(NEXT) | instid1(SALU_CYCLE_1)
	s_and_b32 s24, vcc_lo, exec_lo
	s_or_b32 s7, s7, s24
	s_or_b32 exec_lo, exec_lo, s25
	s_and_saveexec_b32 s24, s7
	s_cbranch_execnz .LBB6_6346
	s_branch .LBB6_6347
.LBB6_7794:                             ;   in Loop: Header=BB6_5432 Depth=2
	s_mov_b32 s7, -1
	s_mov_b32 s26, exec_lo
                                        ; implicit-def: $sgpr24
	v_cmpx_eq_u16_e64 0x80, v177
; %bb.7795:                             ;   in Loop: Header=BB6_5432 Depth=2
	s_mov_b32 s24, 0x7f800001
	s_xor_b32 s7, exec_lo, -1
; %bb.7796:                             ;   in Loop: Header=BB6_5432 Depth=2
	s_or_b32 exec_lo, exec_lo, s26
	s_delay_alu instid0(SALU_CYCLE_1)
	s_and_b32 s7, s7, exec_lo
	s_or_saveexec_b32 s25, s25
	v_mov_b32_e32 v35, s24
	s_xor_b32 exec_lo, exec_lo, s25
	s_cbranch_execz .LBB6_6349
.LBB6_7797:                             ;   in Loop: Header=BB6_5432 Depth=2
	v_cmp_ne_u16_e64 vcc_lo, 0, v177
	v_mov_b32_e32 v35, 0
	s_and_not1_b32 s7, s7, exec_lo
	s_delay_alu instid0(VALU_DEP_2) | instskip(NEXT) | instid1(SALU_CYCLE_1)
	s_and_b32 s24, vcc_lo, exec_lo
	s_or_b32 s7, s7, s24
	s_or_b32 exec_lo, exec_lo, s25
	s_and_saveexec_b32 s24, s7
	s_cbranch_execnz .LBB6_6350
	s_branch .LBB6_6351
.LBB6_7798:                             ;   in Loop: Header=BB6_5432 Depth=2
	s_mov_b32 s7, -1
	s_mov_b32 s26, exec_lo
                                        ; implicit-def: $sgpr24
	v_cmpx_eq_u16_e64 0x80, v177
; %bb.7799:                             ;   in Loop: Header=BB6_5432 Depth=2
	s_mov_b32 s24, 0x7f800001
	s_xor_b32 s7, exec_lo, -1
; %bb.7800:                             ;   in Loop: Header=BB6_5432 Depth=2
	s_or_b32 exec_lo, exec_lo, s26
	s_delay_alu instid0(SALU_CYCLE_1)
	s_and_b32 s7, s7, exec_lo
                                        ; implicit-def: $vgpr177
	s_or_saveexec_b32 s25, s25
	v_mov_b32_e32 v35, s24
	s_xor_b32 exec_lo, exec_lo, s25
	s_cbranch_execz .LBB6_6363
.LBB6_7801:                             ;   in Loop: Header=BB6_5432 Depth=2
	v_cmp_ne_u16_e64 vcc_lo, 0, v177
	v_mov_b32_e32 v35, 0
	s_and_not1_b32 s7, s7, exec_lo
	s_delay_alu instid0(VALU_DEP_2) | instskip(NEXT) | instid1(SALU_CYCLE_1)
	s_and_b32 s24, vcc_lo, exec_lo
	s_or_b32 s7, s7, s24
	s_or_b32 exec_lo, exec_lo, s25
	s_and_saveexec_b32 s24, s7
	s_cbranch_execnz .LBB6_6364
	s_branch .LBB6_6365
.LBB6_7802:                             ;   in Loop: Header=BB6_5432 Depth=2
	s_mov_b32 s7, -1
	s_mov_b32 s26, exec_lo
                                        ; implicit-def: $sgpr24
	v_cmpx_eq_u16_e64 0x80, v178
; %bb.7803:                             ;   in Loop: Header=BB6_5432 Depth=2
	s_mov_b32 s24, 0x7f800001
	s_xor_b32 s7, exec_lo, -1
; %bb.7804:                             ;   in Loop: Header=BB6_5432 Depth=2
	s_or_b32 exec_lo, exec_lo, s26
	s_delay_alu instid0(SALU_CYCLE_1)
	s_and_b32 s7, s7, exec_lo
                                        ; implicit-def: $vgpr178
	s_or_saveexec_b32 s25, s25
	v_mov_b32_e32 v177, s24
	s_xor_b32 exec_lo, exec_lo, s25
	s_cbranch_execz .LBB6_6367
.LBB6_7805:                             ;   in Loop: Header=BB6_5432 Depth=2
	v_cmp_ne_u16_e64 vcc_lo, 0, v178
	v_mov_b32_e32 v177, 0
	s_and_not1_b32 s7, s7, exec_lo
	s_delay_alu instid0(VALU_DEP_2) | instskip(NEXT) | instid1(SALU_CYCLE_1)
	s_and_b32 s24, vcc_lo, exec_lo
	s_or_b32 s7, s7, s24
	s_or_b32 exec_lo, exec_lo, s25
	s_and_saveexec_b32 s24, s7
	s_cbranch_execnz .LBB6_6368
	s_branch .LBB6_6369
.LBB6_7806:                             ;   in Loop: Header=BB6_5432 Depth=2
	s_mov_b32 s7, -1
	s_mov_b32 s26, exec_lo
                                        ; implicit-def: $sgpr24
	v_cmpx_eq_u16_e64 0x80, v177
; %bb.7807:                             ;   in Loop: Header=BB6_5432 Depth=2
	s_mov_b32 s24, 0x7f800001
	s_xor_b32 s7, exec_lo, -1
; %bb.7808:                             ;   in Loop: Header=BB6_5432 Depth=2
	s_or_b32 exec_lo, exec_lo, s26
	s_delay_alu instid0(SALU_CYCLE_1)
	s_and_b32 s7, s7, exec_lo
                                        ; implicit-def: $vgpr177
	s_or_saveexec_b32 s25, s25
	v_mov_b32_e32 v35, s24
	s_xor_b32 exec_lo, exec_lo, s25
	s_cbranch_execz .LBB6_6374
.LBB6_7809:                             ;   in Loop: Header=BB6_5432 Depth=2
	v_cmp_ne_u16_e64 vcc_lo, 0, v177
	v_mov_b32_e32 v35, 0
	s_and_not1_b32 s7, s7, exec_lo
	s_delay_alu instid0(VALU_DEP_2) | instskip(NEXT) | instid1(SALU_CYCLE_1)
	s_and_b32 s24, vcc_lo, exec_lo
	s_or_b32 s7, s7, s24
	s_or_b32 exec_lo, exec_lo, s25
	s_and_saveexec_b32 s24, s7
	s_cbranch_execnz .LBB6_6375
	s_branch .LBB6_6376
.LBB6_7810:                             ;   in Loop: Header=BB6_5432 Depth=2
	s_mov_b32 s7, -1
	s_mov_b32 s26, exec_lo
                                        ; implicit-def: $sgpr24
	v_cmpx_eq_u16_e64 0x80, v178
; %bb.7811:                             ;   in Loop: Header=BB6_5432 Depth=2
	s_mov_b32 s24, 0x7f800001
	s_xor_b32 s7, exec_lo, -1
; %bb.7812:                             ;   in Loop: Header=BB6_5432 Depth=2
	s_or_b32 exec_lo, exec_lo, s26
	s_delay_alu instid0(SALU_CYCLE_1)
	s_and_b32 s7, s7, exec_lo
                                        ; implicit-def: $vgpr178
	s_or_saveexec_b32 s25, s25
	v_mov_b32_e32 v177, s24
	s_xor_b32 exec_lo, exec_lo, s25
	s_cbranch_execz .LBB6_6378
.LBB6_7813:                             ;   in Loop: Header=BB6_5432 Depth=2
	v_cmp_ne_u16_e64 vcc_lo, 0, v178
	v_mov_b32_e32 v177, 0
	s_and_not1_b32 s7, s7, exec_lo
	s_delay_alu instid0(VALU_DEP_2) | instskip(NEXT) | instid1(SALU_CYCLE_1)
	s_and_b32 s24, vcc_lo, exec_lo
	s_or_b32 s7, s7, s24
	s_or_b32 exec_lo, exec_lo, s25
	s_and_saveexec_b32 s24, s7
	s_cbranch_execnz .LBB6_6379
	s_branch .LBB6_6380
.LBB6_7814:                             ;   in Loop: Header=BB6_5432 Depth=2
	s_mov_b32 s7, -1
	s_mov_b32 s26, exec_lo
                                        ; implicit-def: $sgpr24
	v_cmpx_eq_u16_e64 0x80, v178
; %bb.7815:                             ;   in Loop: Header=BB6_5432 Depth=2
	s_mov_b32 s24, 0x7f800001
	s_xor_b32 s7, exec_lo, -1
; %bb.7816:                             ;   in Loop: Header=BB6_5432 Depth=2
	s_or_b32 exec_lo, exec_lo, s26
	s_delay_alu instid0(SALU_CYCLE_1)
	s_and_b32 s7, s7, exec_lo
	s_or_saveexec_b32 s25, s25
	v_mov_b32_e32 v179, s24
	s_xor_b32 exec_lo, exec_lo, s25
	s_cbranch_execz .LBB6_6392
.LBB6_7817:                             ;   in Loop: Header=BB6_5432 Depth=2
	v_cmp_ne_u16_e64 vcc_lo, 0, v178
	v_mov_b32_e32 v179, 0
	s_and_not1_b32 s7, s7, exec_lo
	s_delay_alu instid0(VALU_DEP_2) | instskip(NEXT) | instid1(SALU_CYCLE_1)
	s_and_b32 s24, vcc_lo, exec_lo
	s_or_b32 s7, s7, s24
	s_or_b32 exec_lo, exec_lo, s25
	s_and_saveexec_b32 s24, s7
	s_cbranch_execnz .LBB6_6393
	s_branch .LBB6_6394
.LBB6_7818:                             ;   in Loop: Header=BB6_5432 Depth=2
	s_mov_b32 s7, -1
	s_mov_b32 s26, exec_lo
                                        ; implicit-def: $sgpr24
	v_cmpx_eq_u16_e64 0x80, v177
; %bb.7819:                             ;   in Loop: Header=BB6_5432 Depth=2
	s_mov_b32 s24, 0x7f800001
	s_xor_b32 s7, exec_lo, -1
; %bb.7820:                             ;   in Loop: Header=BB6_5432 Depth=2
	s_or_b32 exec_lo, exec_lo, s26
	s_delay_alu instid0(SALU_CYCLE_1)
	s_and_b32 s7, s7, exec_lo
	s_or_saveexec_b32 s25, s25
	v_mov_b32_e32 v180, s24
	s_xor_b32 exec_lo, exec_lo, s25
	s_cbranch_execz .LBB6_6396
.LBB6_7821:                             ;   in Loop: Header=BB6_5432 Depth=2
	v_cmp_ne_u16_e64 vcc_lo, 0, v177
	v_mov_b32_e32 v180, 0
	s_and_not1_b32 s7, s7, exec_lo
	s_delay_alu instid0(VALU_DEP_2) | instskip(NEXT) | instid1(SALU_CYCLE_1)
	s_and_b32 s24, vcc_lo, exec_lo
	s_or_b32 s7, s7, s24
	s_or_b32 exec_lo, exec_lo, s25
	s_and_saveexec_b32 s24, s7
	s_cbranch_execnz .LBB6_6397
	s_branch .LBB6_6398
.LBB6_7822:                             ;   in Loop: Header=BB6_5432 Depth=2
	s_mov_b32 s7, -1
	s_mov_b32 s26, exec_lo
                                        ; implicit-def: $sgpr24
	v_cmpx_eq_u16_e64 0x80, v178
; %bb.7823:                             ;   in Loop: Header=BB6_5432 Depth=2
	s_mov_b32 s24, 0x7f800001
	s_xor_b32 s7, exec_lo, -1
; %bb.7824:                             ;   in Loop: Header=BB6_5432 Depth=2
	s_or_b32 exec_lo, exec_lo, s26
	s_delay_alu instid0(SALU_CYCLE_1)
	s_and_b32 s7, s7, exec_lo
	s_or_saveexec_b32 s25, s25
	v_mov_b32_e32 v179, s24
	s_xor_b32 exec_lo, exec_lo, s25
	s_cbranch_execz .LBB6_6403
.LBB6_7825:                             ;   in Loop: Header=BB6_5432 Depth=2
	v_cmp_ne_u16_e64 vcc_lo, 0, v178
	v_mov_b32_e32 v179, 0
	s_and_not1_b32 s7, s7, exec_lo
	s_delay_alu instid0(VALU_DEP_2) | instskip(NEXT) | instid1(SALU_CYCLE_1)
	s_and_b32 s24, vcc_lo, exec_lo
	s_or_b32 s7, s7, s24
	s_or_b32 exec_lo, exec_lo, s25
	s_and_saveexec_b32 s24, s7
	s_cbranch_execnz .LBB6_6404
	s_branch .LBB6_6405
.LBB6_7826:                             ;   in Loop: Header=BB6_5432 Depth=2
	s_mov_b32 s7, -1
	s_mov_b32 s26, exec_lo
                                        ; implicit-def: $sgpr24
	v_cmpx_eq_u16_e64 0x80, v177
; %bb.7827:                             ;   in Loop: Header=BB6_5432 Depth=2
	s_mov_b32 s24, 0x7f800001
	s_xor_b32 s7, exec_lo, -1
; %bb.7828:                             ;   in Loop: Header=BB6_5432 Depth=2
	s_or_b32 exec_lo, exec_lo, s26
	s_delay_alu instid0(SALU_CYCLE_1)
	s_and_b32 s7, s7, exec_lo
	s_or_saveexec_b32 s25, s25
	v_mov_b32_e32 v178, s24
	s_xor_b32 exec_lo, exec_lo, s25
	s_cbranch_execz .LBB6_6407
.LBB6_7829:                             ;   in Loop: Header=BB6_5432 Depth=2
	v_cmp_ne_u16_e64 vcc_lo, 0, v177
	v_mov_b32_e32 v178, 0
	s_and_not1_b32 s7, s7, exec_lo
	s_delay_alu instid0(VALU_DEP_2) | instskip(NEXT) | instid1(SALU_CYCLE_1)
	s_and_b32 s24, vcc_lo, exec_lo
	s_or_b32 s7, s7, s24
	s_or_b32 exec_lo, exec_lo, s25
	s_and_saveexec_b32 s24, s7
	s_cbranch_execnz .LBB6_6408
	s_branch .LBB6_6409
.LBB6_7830:                             ;   in Loop: Header=BB6_5432 Depth=2
	s_mov_b32 s7, -1
	s_mov_b32 s26, exec_lo
                                        ; implicit-def: $sgpr24
	v_cmpx_eq_u16_e64 0x80, v181
; %bb.7831:                             ;   in Loop: Header=BB6_5432 Depth=2
	s_mov_b32 s24, 0x7f800001
	s_xor_b32 s7, exec_lo, -1
; %bb.7832:                             ;   in Loop: Header=BB6_5432 Depth=2
	s_or_b32 exec_lo, exec_lo, s26
	s_delay_alu instid0(SALU_CYCLE_1)
	s_and_b32 s7, s7, exec_lo
                                        ; implicit-def: $vgpr181
	s_or_saveexec_b32 s25, s25
	v_mov_b32_e32 v180, s24
	s_xor_b32 exec_lo, exec_lo, s25
	s_cbranch_execz .LBB6_6421
.LBB6_7833:                             ;   in Loop: Header=BB6_5432 Depth=2
	v_cmp_ne_u16_e64 vcc_lo, 0, v181
	v_mov_b32_e32 v180, 0
	s_and_not1_b32 s7, s7, exec_lo
	s_delay_alu instid0(VALU_DEP_2) | instskip(NEXT) | instid1(SALU_CYCLE_1)
	s_and_b32 s24, vcc_lo, exec_lo
	s_or_b32 s7, s7, s24
	s_or_b32 exec_lo, exec_lo, s25
	s_and_saveexec_b32 s24, s7
	s_cbranch_execnz .LBB6_6422
	s_branch .LBB6_6423
.LBB6_7834:                             ;   in Loop: Header=BB6_5432 Depth=2
	s_mov_b32 s7, -1
	s_mov_b32 s26, exec_lo
                                        ; implicit-def: $sgpr24
	v_cmpx_eq_u16_e64 0x80, v182
; %bb.7835:                             ;   in Loop: Header=BB6_5432 Depth=2
	s_mov_b32 s24, 0x7f800001
	s_xor_b32 s7, exec_lo, -1
; %bb.7836:                             ;   in Loop: Header=BB6_5432 Depth=2
	s_or_b32 exec_lo, exec_lo, s26
	s_delay_alu instid0(SALU_CYCLE_1)
	s_and_b32 s7, s7, exec_lo
                                        ; implicit-def: $vgpr182
	s_or_saveexec_b32 s25, s25
	v_mov_b32_e32 v181, s24
	s_xor_b32 exec_lo, exec_lo, s25
	s_cbranch_execz .LBB6_6425
.LBB6_7837:                             ;   in Loop: Header=BB6_5432 Depth=2
	v_cmp_ne_u16_e64 vcc_lo, 0, v182
	v_mov_b32_e32 v181, 0
	s_and_not1_b32 s7, s7, exec_lo
	s_delay_alu instid0(VALU_DEP_2) | instskip(NEXT) | instid1(SALU_CYCLE_1)
	s_and_b32 s24, vcc_lo, exec_lo
	s_or_b32 s7, s7, s24
	s_or_b32 exec_lo, exec_lo, s25
	s_and_saveexec_b32 s24, s7
	s_cbranch_execnz .LBB6_6426
	s_branch .LBB6_6427
.LBB6_7838:                             ;   in Loop: Header=BB6_5432 Depth=2
	s_mov_b32 s7, -1
	s_mov_b32 s26, exec_lo
                                        ; implicit-def: $sgpr24
	v_cmpx_eq_u16_e64 0x80, v181
; %bb.7839:                             ;   in Loop: Header=BB6_5432 Depth=2
	s_mov_b32 s24, 0x7f800001
	s_xor_b32 s7, exec_lo, -1
; %bb.7840:                             ;   in Loop: Header=BB6_5432 Depth=2
	s_or_b32 exec_lo, exec_lo, s26
	s_delay_alu instid0(SALU_CYCLE_1)
	s_and_b32 s7, s7, exec_lo
                                        ; implicit-def: $vgpr181
	s_or_saveexec_b32 s25, s25
	v_mov_b32_e32 v180, s24
	s_xor_b32 exec_lo, exec_lo, s25
	s_cbranch_execz .LBB6_6432
.LBB6_7841:                             ;   in Loop: Header=BB6_5432 Depth=2
	v_cmp_ne_u16_e64 vcc_lo, 0, v181
	v_mov_b32_e32 v180, 0
	s_and_not1_b32 s7, s7, exec_lo
	s_delay_alu instid0(VALU_DEP_2) | instskip(NEXT) | instid1(SALU_CYCLE_1)
	s_and_b32 s24, vcc_lo, exec_lo
	s_or_b32 s7, s7, s24
	s_or_b32 exec_lo, exec_lo, s25
	s_and_saveexec_b32 s24, s7
	s_cbranch_execnz .LBB6_6433
	s_branch .LBB6_6434
.LBB6_7842:                             ;   in Loop: Header=BB6_5432 Depth=2
	s_mov_b32 s7, -1
	s_mov_b32 s26, exec_lo
                                        ; implicit-def: $sgpr24
	v_cmpx_eq_u16_e64 0x80, v181
; %bb.7843:                             ;   in Loop: Header=BB6_5432 Depth=2
	s_mov_b32 s24, 0x7f800001
	s_xor_b32 s7, exec_lo, -1
; %bb.7844:                             ;   in Loop: Header=BB6_5432 Depth=2
	s_or_b32 exec_lo, exec_lo, s26
	s_delay_alu instid0(SALU_CYCLE_1)
	s_and_b32 s7, s7, exec_lo
                                        ; implicit-def: $vgpr181
	s_or_saveexec_b32 s25, s25
	v_mov_b32_e32 v179, s24
	s_xor_b32 exec_lo, exec_lo, s25
	s_cbranch_execz .LBB6_6436
.LBB6_7845:                             ;   in Loop: Header=BB6_5432 Depth=2
	v_cmp_ne_u16_e64 vcc_lo, 0, v181
	v_mov_b32_e32 v179, 0
	s_and_not1_b32 s7, s7, exec_lo
	s_delay_alu instid0(VALU_DEP_2) | instskip(NEXT) | instid1(SALU_CYCLE_1)
	s_and_b32 s24, vcc_lo, exec_lo
	s_or_b32 s7, s7, s24
	s_or_b32 exec_lo, exec_lo, s25
	s_and_saveexec_b32 s24, s7
	s_cbranch_execnz .LBB6_6437
	s_branch .LBB6_6438
.LBB6_7846:                             ;   in Loop: Header=BB6_5432 Depth=2
	s_mov_b32 s7, -1
	s_mov_b32 s26, exec_lo
                                        ; implicit-def: $sgpr24
	v_cmpx_eq_u16_e64 0x80, v180
; %bb.7847:                             ;   in Loop: Header=BB6_5432 Depth=2
	s_mov_b32 s24, 0x7f800001
	s_xor_b32 s7, exec_lo, -1
; %bb.7848:                             ;   in Loop: Header=BB6_5432 Depth=2
	s_or_b32 exec_lo, exec_lo, s26
	s_delay_alu instid0(SALU_CYCLE_1)
	s_and_b32 s7, s7, exec_lo
	s_or_saveexec_b32 s25, s25
	v_mov_b32_e32 v181, s24
	s_xor_b32 exec_lo, exec_lo, s25
	s_cbranch_execz .LBB6_6450
.LBB6_7849:                             ;   in Loop: Header=BB6_5432 Depth=2
	v_cmp_ne_u16_e64 vcc_lo, 0, v180
	v_mov_b32_e32 v181, 0
	s_and_not1_b32 s7, s7, exec_lo
	s_delay_alu instid0(VALU_DEP_2) | instskip(NEXT) | instid1(SALU_CYCLE_1)
	s_and_b32 s24, vcc_lo, exec_lo
	s_or_b32 s7, s7, s24
	s_or_b32 exec_lo, exec_lo, s25
	s_and_saveexec_b32 s24, s7
	s_cbranch_execnz .LBB6_6451
	s_branch .LBB6_6452
.LBB6_7850:                             ;   in Loop: Header=BB6_5432 Depth=2
	s_mov_b32 s7, -1
	s_mov_b32 s26, exec_lo
                                        ; implicit-def: $sgpr24
	v_cmpx_eq_u16_e64 0x80, v179
; %bb.7851:                             ;   in Loop: Header=BB6_5432 Depth=2
	s_mov_b32 s24, 0x7f800001
	s_xor_b32 s7, exec_lo, -1
; %bb.7852:                             ;   in Loop: Header=BB6_5432 Depth=2
	s_or_b32 exec_lo, exec_lo, s26
	s_delay_alu instid0(SALU_CYCLE_1)
	s_and_b32 s7, s7, exec_lo
	s_or_saveexec_b32 s25, s25
	v_mov_b32_e32 v182, s24
	s_xor_b32 exec_lo, exec_lo, s25
	s_cbranch_execz .LBB6_6454
.LBB6_7853:                             ;   in Loop: Header=BB6_5432 Depth=2
	v_cmp_ne_u16_e64 vcc_lo, 0, v179
	v_mov_b32_e32 v182, 0
	s_and_not1_b32 s7, s7, exec_lo
	s_delay_alu instid0(VALU_DEP_2) | instskip(NEXT) | instid1(SALU_CYCLE_1)
	s_and_b32 s24, vcc_lo, exec_lo
	s_or_b32 s7, s7, s24
	s_or_b32 exec_lo, exec_lo, s25
	s_and_saveexec_b32 s24, s7
	s_cbranch_execnz .LBB6_6455
	s_branch .LBB6_6456
.LBB6_7854:                             ;   in Loop: Header=BB6_5432 Depth=2
	s_mov_b32 s7, -1
	s_mov_b32 s26, exec_lo
                                        ; implicit-def: $sgpr24
	v_cmpx_eq_u16_e64 0x80, v180
; %bb.7855:                             ;   in Loop: Header=BB6_5432 Depth=2
	s_mov_b32 s24, 0x7f800001
	s_xor_b32 s7, exec_lo, -1
; %bb.7856:                             ;   in Loop: Header=BB6_5432 Depth=2
	s_or_b32 exec_lo, exec_lo, s26
	s_delay_alu instid0(SALU_CYCLE_1)
	s_and_b32 s7, s7, exec_lo
	s_or_saveexec_b32 s25, s25
	v_mov_b32_e32 v181, s24
	s_xor_b32 exec_lo, exec_lo, s25
	s_cbranch_execz .LBB6_6461
.LBB6_7857:                             ;   in Loop: Header=BB6_5432 Depth=2
	v_cmp_ne_u16_e64 vcc_lo, 0, v180
	v_mov_b32_e32 v181, 0
	s_and_not1_b32 s7, s7, exec_lo
	s_delay_alu instid0(VALU_DEP_2) | instskip(NEXT) | instid1(SALU_CYCLE_1)
	s_and_b32 s24, vcc_lo, exec_lo
	s_or_b32 s7, s7, s24
	s_or_b32 exec_lo, exec_lo, s25
	s_and_saveexec_b32 s24, s7
	s_cbranch_execnz .LBB6_6462
	s_branch .LBB6_6463
.LBB6_7858:                             ;   in Loop: Header=BB6_5432 Depth=2
	s_mov_b32 s7, -1
	s_mov_b32 s26, exec_lo
                                        ; implicit-def: $sgpr24
	v_cmpx_eq_u16_e64 0x80, v179
; %bb.7859:                             ;   in Loop: Header=BB6_5432 Depth=2
	s_mov_b32 s24, 0x7f800001
	s_xor_b32 s7, exec_lo, -1
; %bb.7860:                             ;   in Loop: Header=BB6_5432 Depth=2
	s_or_b32 exec_lo, exec_lo, s26
	s_delay_alu instid0(SALU_CYCLE_1)
	s_and_b32 s7, s7, exec_lo
	s_or_saveexec_b32 s25, s25
	v_mov_b32_e32 v22, s24
	s_xor_b32 exec_lo, exec_lo, s25
	s_cbranch_execz .LBB6_6465
.LBB6_7861:                             ;   in Loop: Header=BB6_5432 Depth=2
	v_cmp_ne_u16_e64 vcc_lo, 0, v179
	v_mov_b32_e32 v22, 0
	s_and_not1_b32 s7, s7, exec_lo
	s_delay_alu instid0(VALU_DEP_2) | instskip(NEXT) | instid1(SALU_CYCLE_1)
	s_and_b32 s24, vcc_lo, exec_lo
	s_or_b32 s7, s7, s24
	s_or_b32 exec_lo, exec_lo, s25
	s_and_saveexec_b32 s24, s7
	s_cbranch_execnz .LBB6_6466
	s_branch .LBB6_6467
.LBB6_7862:                             ;   in Loop: Header=BB6_5432 Depth=2
	s_mov_b32 s7, -1
	s_mov_b32 s26, exec_lo
                                        ; implicit-def: $sgpr24
	v_cmpx_eq_u16_e64 0x80, v179
; %bb.7863:                             ;   in Loop: Header=BB6_5432 Depth=2
	s_mov_b32 s24, 0x7f800001
	s_xor_b32 s7, exec_lo, -1
; %bb.7864:                             ;   in Loop: Header=BB6_5432 Depth=2
	s_or_b32 exec_lo, exec_lo, s26
	s_delay_alu instid0(SALU_CYCLE_1)
	s_and_b32 s7, s7, exec_lo
                                        ; implicit-def: $vgpr179
	s_or_saveexec_b32 s25, s25
	v_mov_b32_e32 v22, s24
	s_xor_b32 exec_lo, exec_lo, s25
	s_cbranch_execz .LBB6_6479
.LBB6_7865:                             ;   in Loop: Header=BB6_5432 Depth=2
	v_cmp_ne_u16_e64 vcc_lo, 0, v179
	v_mov_b32_e32 v22, 0
	s_and_not1_b32 s7, s7, exec_lo
	s_delay_alu instid0(VALU_DEP_2) | instskip(NEXT) | instid1(SALU_CYCLE_1)
	s_and_b32 s24, vcc_lo, exec_lo
	s_or_b32 s7, s7, s24
	s_or_b32 exec_lo, exec_lo, s25
	s_and_saveexec_b32 s24, s7
	s_cbranch_execnz .LBB6_6480
	s_branch .LBB6_6481
.LBB6_7866:                             ;   in Loop: Header=BB6_5432 Depth=2
	s_mov_b32 s7, -1
	s_mov_b32 s26, exec_lo
                                        ; implicit-def: $sgpr24
	v_cmpx_eq_u16_e64 0x80, v180
; %bb.7867:                             ;   in Loop: Header=BB6_5432 Depth=2
	s_mov_b32 s24, 0x7f800001
	s_xor_b32 s7, exec_lo, -1
; %bb.7868:                             ;   in Loop: Header=BB6_5432 Depth=2
	s_or_b32 exec_lo, exec_lo, s26
	s_delay_alu instid0(SALU_CYCLE_1)
	s_and_b32 s7, s7, exec_lo
                                        ; implicit-def: $vgpr180
	s_or_saveexec_b32 s25, s25
	v_mov_b32_e32 v179, s24
	s_xor_b32 exec_lo, exec_lo, s25
	s_cbranch_execz .LBB6_6483
.LBB6_7869:                             ;   in Loop: Header=BB6_5432 Depth=2
	v_cmp_ne_u16_e64 vcc_lo, 0, v180
	v_mov_b32_e32 v179, 0
	s_and_not1_b32 s7, s7, exec_lo
	s_delay_alu instid0(VALU_DEP_2) | instskip(NEXT) | instid1(SALU_CYCLE_1)
	s_and_b32 s24, vcc_lo, exec_lo
	s_or_b32 s7, s7, s24
	s_or_b32 exec_lo, exec_lo, s25
	s_and_saveexec_b32 s24, s7
	s_cbranch_execnz .LBB6_6484
	s_branch .LBB6_6485
.LBB6_7870:                             ;   in Loop: Header=BB6_5432 Depth=2
	s_mov_b32 s7, -1
	s_mov_b32 s26, exec_lo
                                        ; implicit-def: $sgpr24
	v_cmpx_eq_u16_e64 0x80, v179
; %bb.7871:                             ;   in Loop: Header=BB6_5432 Depth=2
	s_mov_b32 s24, 0x7f800001
	s_xor_b32 s7, exec_lo, -1
; %bb.7872:                             ;   in Loop: Header=BB6_5432 Depth=2
	s_or_b32 exec_lo, exec_lo, s26
	s_delay_alu instid0(SALU_CYCLE_1)
	s_and_b32 s7, s7, exec_lo
                                        ; implicit-def: $vgpr179
	s_or_saveexec_b32 s25, s25
	v_mov_b32_e32 v22, s24
	s_xor_b32 exec_lo, exec_lo, s25
	s_cbranch_execz .LBB6_6490
.LBB6_7873:                             ;   in Loop: Header=BB6_5432 Depth=2
	v_cmp_ne_u16_e64 vcc_lo, 0, v179
	v_mov_b32_e32 v22, 0
	s_and_not1_b32 s7, s7, exec_lo
	s_delay_alu instid0(VALU_DEP_2) | instskip(NEXT) | instid1(SALU_CYCLE_1)
	s_and_b32 s24, vcc_lo, exec_lo
	s_or_b32 s7, s7, s24
	s_or_b32 exec_lo, exec_lo, s25
	s_and_saveexec_b32 s24, s7
	s_cbranch_execnz .LBB6_6491
	s_branch .LBB6_6492
.LBB6_7874:                             ;   in Loop: Header=BB6_5432 Depth=2
	s_mov_b32 s7, -1
	s_mov_b32 s26, exec_lo
                                        ; implicit-def: $sgpr24
	v_cmpx_eq_u16_e64 0x80, v180
; %bb.7875:                             ;   in Loop: Header=BB6_5432 Depth=2
	s_mov_b32 s24, 0x7f800001
	s_xor_b32 s7, exec_lo, -1
; %bb.7876:                             ;   in Loop: Header=BB6_5432 Depth=2
	s_or_b32 exec_lo, exec_lo, s26
	s_delay_alu instid0(SALU_CYCLE_1)
	s_and_b32 s7, s7, exec_lo
                                        ; implicit-def: $vgpr180
	s_or_saveexec_b32 s25, s25
	v_mov_b32_e32 v179, s24
	s_xor_b32 exec_lo, exec_lo, s25
	s_cbranch_execz .LBB6_6494
.LBB6_7877:                             ;   in Loop: Header=BB6_5432 Depth=2
	v_cmp_ne_u16_e64 vcc_lo, 0, v180
	v_mov_b32_e32 v179, 0
	s_and_not1_b32 s7, s7, exec_lo
	s_delay_alu instid0(VALU_DEP_2) | instskip(NEXT) | instid1(SALU_CYCLE_1)
	s_and_b32 s24, vcc_lo, exec_lo
	s_or_b32 s7, s7, s24
	s_or_b32 exec_lo, exec_lo, s25
	s_and_saveexec_b32 s24, s7
	s_cbranch_execnz .LBB6_6495
	s_branch .LBB6_6496
.LBB6_7878:                             ;   in Loop: Header=BB6_5432 Depth=2
	s_mov_b32 s7, -1
	s_mov_b32 s26, exec_lo
                                        ; implicit-def: $sgpr24
	v_cmpx_eq_u16_e64 0x80, v180
; %bb.7879:                             ;   in Loop: Header=BB6_5432 Depth=2
	s_mov_b32 s24, 0x7f800001
	s_xor_b32 s7, exec_lo, -1
; %bb.7880:                             ;   in Loop: Header=BB6_5432 Depth=2
	s_or_b32 exec_lo, exec_lo, s26
	s_delay_alu instid0(SALU_CYCLE_1)
	s_and_b32 s7, s7, exec_lo
	s_or_saveexec_b32 s25, s25
	v_mov_b32_e32 v181, s24
	s_xor_b32 exec_lo, exec_lo, s25
	s_cbranch_execz .LBB6_6508
.LBB6_7881:                             ;   in Loop: Header=BB6_5432 Depth=2
	v_cmp_ne_u16_e64 vcc_lo, 0, v180
	v_mov_b32_e32 v181, 0
	s_and_not1_b32 s7, s7, exec_lo
	s_delay_alu instid0(VALU_DEP_2) | instskip(NEXT) | instid1(SALU_CYCLE_1)
	s_and_b32 s24, vcc_lo, exec_lo
	s_or_b32 s7, s7, s24
	s_or_b32 exec_lo, exec_lo, s25
	s_and_saveexec_b32 s24, s7
	s_cbranch_execnz .LBB6_6509
	s_branch .LBB6_6510
.LBB6_7882:                             ;   in Loop: Header=BB6_5432 Depth=2
	s_mov_b32 s7, -1
	s_mov_b32 s26, exec_lo
                                        ; implicit-def: $sgpr24
	v_cmpx_eq_u16_e64 0x80, v179
; %bb.7883:                             ;   in Loop: Header=BB6_5432 Depth=2
	s_mov_b32 s24, 0x7f800001
	s_xor_b32 s7, exec_lo, -1
; %bb.7884:                             ;   in Loop: Header=BB6_5432 Depth=2
	s_or_b32 exec_lo, exec_lo, s26
	s_delay_alu instid0(SALU_CYCLE_1)
	s_and_b32 s7, s7, exec_lo
	s_or_saveexec_b32 s25, s25
	v_mov_b32_e32 v182, s24
	s_xor_b32 exec_lo, exec_lo, s25
	s_cbranch_execz .LBB6_6512
.LBB6_7885:                             ;   in Loop: Header=BB6_5432 Depth=2
	v_cmp_ne_u16_e64 vcc_lo, 0, v179
	v_mov_b32_e32 v182, 0
	s_and_not1_b32 s7, s7, exec_lo
	s_delay_alu instid0(VALU_DEP_2) | instskip(NEXT) | instid1(SALU_CYCLE_1)
	s_and_b32 s24, vcc_lo, exec_lo
	s_or_b32 s7, s7, s24
	s_or_b32 exec_lo, exec_lo, s25
	s_and_saveexec_b32 s24, s7
	s_cbranch_execnz .LBB6_6513
	s_branch .LBB6_6514
.LBB6_7886:                             ;   in Loop: Header=BB6_5432 Depth=2
	s_mov_b32 s7, -1
	s_mov_b32 s26, exec_lo
                                        ; implicit-def: $sgpr24
	v_cmpx_eq_u16_e64 0x80, v180
; %bb.7887:                             ;   in Loop: Header=BB6_5432 Depth=2
	s_mov_b32 s24, 0x7f800001
	s_xor_b32 s7, exec_lo, -1
; %bb.7888:                             ;   in Loop: Header=BB6_5432 Depth=2
	s_or_b32 exec_lo, exec_lo, s26
	s_delay_alu instid0(SALU_CYCLE_1)
	s_and_b32 s7, s7, exec_lo
	s_or_saveexec_b32 s25, s25
	v_mov_b32_e32 v181, s24
	s_xor_b32 exec_lo, exec_lo, s25
	s_cbranch_execz .LBB6_6519
.LBB6_7889:                             ;   in Loop: Header=BB6_5432 Depth=2
	v_cmp_ne_u16_e64 vcc_lo, 0, v180
	v_mov_b32_e32 v181, 0
	s_and_not1_b32 s7, s7, exec_lo
	s_delay_alu instid0(VALU_DEP_2) | instskip(NEXT) | instid1(SALU_CYCLE_1)
	s_and_b32 s24, vcc_lo, exec_lo
	s_or_b32 s7, s7, s24
	s_or_b32 exec_lo, exec_lo, s25
	s_and_saveexec_b32 s24, s7
	s_cbranch_execnz .LBB6_6520
	s_branch .LBB6_6521
.LBB6_7890:                             ;   in Loop: Header=BB6_5432 Depth=2
	s_mov_b32 s7, -1
	s_mov_b32 s26, exec_lo
                                        ; implicit-def: $sgpr24
	v_cmpx_eq_u16_e64 0x80, v179
; %bb.7891:                             ;   in Loop: Header=BB6_5432 Depth=2
	s_mov_b32 s24, 0x7f800001
	s_xor_b32 s7, exec_lo, -1
; %bb.7892:                             ;   in Loop: Header=BB6_5432 Depth=2
	s_or_b32 exec_lo, exec_lo, s26
	s_delay_alu instid0(SALU_CYCLE_1)
	s_and_b32 s7, s7, exec_lo
	s_or_saveexec_b32 s25, s25
	v_mov_b32_e32 v180, s24
	s_xor_b32 exec_lo, exec_lo, s25
	s_cbranch_execz .LBB6_6523
.LBB6_7893:                             ;   in Loop: Header=BB6_5432 Depth=2
	v_cmp_ne_u16_e64 vcc_lo, 0, v179
	v_mov_b32_e32 v180, 0
	s_and_not1_b32 s7, s7, exec_lo
	s_delay_alu instid0(VALU_DEP_2) | instskip(NEXT) | instid1(SALU_CYCLE_1)
	s_and_b32 s24, vcc_lo, exec_lo
	s_or_b32 s7, s7, s24
	s_or_b32 exec_lo, exec_lo, s25
	s_and_saveexec_b32 s24, s7
	s_cbranch_execnz .LBB6_6524
	s_branch .LBB6_6525
.LBB6_7894:                             ;   in Loop: Header=BB6_5432 Depth=2
	s_mov_b32 s7, -1
	s_mov_b32 s26, exec_lo
                                        ; implicit-def: $sgpr24
	v_cmpx_eq_u16_e64 0x80, v183
; %bb.7895:                             ;   in Loop: Header=BB6_5432 Depth=2
	s_mov_b32 s24, 0x7f800001
	s_xor_b32 s7, exec_lo, -1
; %bb.7896:                             ;   in Loop: Header=BB6_5432 Depth=2
	s_or_b32 exec_lo, exec_lo, s26
	s_delay_alu instid0(SALU_CYCLE_1)
	s_and_b32 s7, s7, exec_lo
                                        ; implicit-def: $vgpr183
	s_or_saveexec_b32 s25, s25
	v_mov_b32_e32 v182, s24
	s_xor_b32 exec_lo, exec_lo, s25
	s_cbranch_execz .LBB6_6537
.LBB6_7897:                             ;   in Loop: Header=BB6_5432 Depth=2
	v_cmp_ne_u16_e64 vcc_lo, 0, v183
	v_mov_b32_e32 v182, 0
	s_and_not1_b32 s7, s7, exec_lo
	s_delay_alu instid0(VALU_DEP_2) | instskip(NEXT) | instid1(SALU_CYCLE_1)
	s_and_b32 s24, vcc_lo, exec_lo
	s_or_b32 s7, s7, s24
	s_or_b32 exec_lo, exec_lo, s25
	s_and_saveexec_b32 s24, s7
	s_cbranch_execnz .LBB6_6538
	s_branch .LBB6_6539
.LBB6_7898:                             ;   in Loop: Header=BB6_5432 Depth=2
	s_mov_b32 s7, -1
	s_mov_b32 s26, exec_lo
                                        ; implicit-def: $sgpr24
	v_cmpx_eq_u16_e32 0x80, v40
; %bb.7899:                             ;   in Loop: Header=BB6_5432 Depth=2
	s_mov_b32 s24, 0x7f800001
	s_xor_b32 s7, exec_lo, -1
; %bb.7900:                             ;   in Loop: Header=BB6_5432 Depth=2
	s_or_b32 exec_lo, exec_lo, s26
	s_delay_alu instid0(SALU_CYCLE_1)
	s_and_b32 s7, s7, exec_lo
                                        ; implicit-def: $vgpr40
	s_or_saveexec_b32 s25, s25
	v_mov_b32_e32 v183, s24
	s_xor_b32 exec_lo, exec_lo, s25
	s_cbranch_execz .LBB6_6541
.LBB6_7901:                             ;   in Loop: Header=BB6_5432 Depth=2
	v_cmp_ne_u16_e32 vcc_lo, 0, v40
	v_mov_b32_e32 v183, 0
	s_and_not1_b32 s7, s7, exec_lo
	s_and_b32 s24, vcc_lo, exec_lo
	s_delay_alu instid0(SALU_CYCLE_1)
	s_or_b32 s7, s7, s24
	s_or_b32 exec_lo, exec_lo, s25
	s_and_saveexec_b32 s24, s7
	s_cbranch_execnz .LBB6_6542
	s_branch .LBB6_6543
.LBB6_7902:                             ;   in Loop: Header=BB6_5432 Depth=2
	s_mov_b32 s7, -1
	s_mov_b32 s26, exec_lo
                                        ; implicit-def: $sgpr24
	v_cmpx_eq_u16_e64 0x80, v183
; %bb.7903:                             ;   in Loop: Header=BB6_5432 Depth=2
	s_mov_b32 s24, 0x7f800001
	s_xor_b32 s7, exec_lo, -1
; %bb.7904:                             ;   in Loop: Header=BB6_5432 Depth=2
	s_or_b32 exec_lo, exec_lo, s26
	s_delay_alu instid0(SALU_CYCLE_1)
	s_and_b32 s7, s7, exec_lo
                                        ; implicit-def: $vgpr183
	s_or_saveexec_b32 s25, s25
	v_mov_b32_e32 v182, s24
	s_xor_b32 exec_lo, exec_lo, s25
	s_cbranch_execz .LBB6_6548
.LBB6_7905:                             ;   in Loop: Header=BB6_5432 Depth=2
	v_cmp_ne_u16_e64 vcc_lo, 0, v183
	v_mov_b32_e32 v182, 0
	s_and_not1_b32 s7, s7, exec_lo
	s_delay_alu instid0(VALU_DEP_2) | instskip(NEXT) | instid1(SALU_CYCLE_1)
	s_and_b32 s24, vcc_lo, exec_lo
	s_or_b32 s7, s7, s24
	s_or_b32 exec_lo, exec_lo, s25
	s_and_saveexec_b32 s24, s7
	s_cbranch_execnz .LBB6_6549
	s_branch .LBB6_6550
.LBB6_7906:                             ;   in Loop: Header=BB6_5432 Depth=2
	s_mov_b32 s7, -1
	s_mov_b32 s26, exec_lo
                                        ; implicit-def: $sgpr24
	v_cmpx_eq_u16_e64 0x80, v183
; %bb.7907:                             ;   in Loop: Header=BB6_5432 Depth=2
	s_mov_b32 s24, 0x7f800001
	s_xor_b32 s7, exec_lo, -1
; %bb.7908:                             ;   in Loop: Header=BB6_5432 Depth=2
	s_or_b32 exec_lo, exec_lo, s26
	s_delay_alu instid0(SALU_CYCLE_1)
	s_and_b32 s7, s7, exec_lo
                                        ; implicit-def: $vgpr183
	s_or_saveexec_b32 s25, s25
	v_mov_b32_e32 v181, s24
	s_xor_b32 exec_lo, exec_lo, s25
	s_cbranch_execz .LBB6_6552
.LBB6_7909:                             ;   in Loop: Header=BB6_5432 Depth=2
	v_cmp_ne_u16_e64 vcc_lo, 0, v183
	v_mov_b32_e32 v181, 0
	s_and_not1_b32 s7, s7, exec_lo
	s_delay_alu instid0(VALU_DEP_2) | instskip(NEXT) | instid1(SALU_CYCLE_1)
	s_and_b32 s24, vcc_lo, exec_lo
	s_or_b32 s7, s7, s24
	s_or_b32 exec_lo, exec_lo, s25
	s_and_saveexec_b32 s24, s7
	s_cbranch_execnz .LBB6_6553
	s_branch .LBB6_6554
.LBB6_7910:                             ;   in Loop: Header=BB6_5432 Depth=2
	s_mov_b32 s7, -1
	s_mov_b32 s26, exec_lo
                                        ; implicit-def: $sgpr24
	v_cmpx_eq_u16_e64 0x80, v182
; %bb.7911:                             ;   in Loop: Header=BB6_5432 Depth=2
	s_mov_b32 s24, 0x7f800001
	s_xor_b32 s7, exec_lo, -1
; %bb.7912:                             ;   in Loop: Header=BB6_5432 Depth=2
	s_or_b32 exec_lo, exec_lo, s26
	s_delay_alu instid0(SALU_CYCLE_1)
	s_and_b32 s7, s7, exec_lo
	s_or_saveexec_b32 s25, s25
	v_mov_b32_e32 v183, s24
	s_xor_b32 exec_lo, exec_lo, s25
	s_cbranch_execz .LBB6_6566
.LBB6_7913:                             ;   in Loop: Header=BB6_5432 Depth=2
	v_cmp_ne_u16_e64 vcc_lo, 0, v182
	v_mov_b32_e32 v183, 0
	s_and_not1_b32 s7, s7, exec_lo
	s_delay_alu instid0(VALU_DEP_2) | instskip(NEXT) | instid1(SALU_CYCLE_1)
	s_and_b32 s24, vcc_lo, exec_lo
	s_or_b32 s7, s7, s24
	s_or_b32 exec_lo, exec_lo, s25
	s_and_saveexec_b32 s24, s7
	s_cbranch_execnz .LBB6_6567
	s_branch .LBB6_6568
.LBB6_7914:                             ;   in Loop: Header=BB6_5432 Depth=2
	s_mov_b32 s7, -1
	s_mov_b32 s26, exec_lo
                                        ; implicit-def: $sgpr24
	v_cmpx_eq_u16_e64 0x80, v181
; %bb.7915:                             ;   in Loop: Header=BB6_5432 Depth=2
	s_mov_b32 s24, 0x7f800001
	s_xor_b32 s7, exec_lo, -1
; %bb.7916:                             ;   in Loop: Header=BB6_5432 Depth=2
	s_or_b32 exec_lo, exec_lo, s26
	s_delay_alu instid0(SALU_CYCLE_1)
	s_and_b32 s7, s7, exec_lo
	s_or_saveexec_b32 s25, s25
	v_mov_b32_e32 v40, s24
	s_xor_b32 exec_lo, exec_lo, s25
	s_cbranch_execz .LBB6_6570
.LBB6_7917:                             ;   in Loop: Header=BB6_5432 Depth=2
	v_cmp_ne_u16_e64 vcc_lo, 0, v181
	v_mov_b32_e32 v40, 0
	s_and_not1_b32 s7, s7, exec_lo
	s_delay_alu instid0(VALU_DEP_2) | instskip(NEXT) | instid1(SALU_CYCLE_1)
	s_and_b32 s24, vcc_lo, exec_lo
	s_or_b32 s7, s7, s24
	s_or_b32 exec_lo, exec_lo, s25
	s_and_saveexec_b32 s24, s7
	s_cbranch_execnz .LBB6_6571
	s_branch .LBB6_6572
.LBB6_7918:                             ;   in Loop: Header=BB6_5432 Depth=2
	s_mov_b32 s7, -1
	s_mov_b32 s26, exec_lo
                                        ; implicit-def: $sgpr24
	v_cmpx_eq_u16_e64 0x80, v182
; %bb.7919:                             ;   in Loop: Header=BB6_5432 Depth=2
	s_mov_b32 s24, 0x7f800001
	s_xor_b32 s7, exec_lo, -1
; %bb.7920:                             ;   in Loop: Header=BB6_5432 Depth=2
	s_or_b32 exec_lo, exec_lo, s26
	s_delay_alu instid0(SALU_CYCLE_1)
	s_and_b32 s7, s7, exec_lo
	s_or_saveexec_b32 s25, s25
	v_mov_b32_e32 v183, s24
	s_xor_b32 exec_lo, exec_lo, s25
	s_cbranch_execz .LBB6_6577
.LBB6_7921:                             ;   in Loop: Header=BB6_5432 Depth=2
	v_cmp_ne_u16_e64 vcc_lo, 0, v182
	v_mov_b32_e32 v183, 0
	s_and_not1_b32 s7, s7, exec_lo
	s_delay_alu instid0(VALU_DEP_2) | instskip(NEXT) | instid1(SALU_CYCLE_1)
	s_and_b32 s24, vcc_lo, exec_lo
	s_or_b32 s7, s7, s24
	s_or_b32 exec_lo, exec_lo, s25
	s_and_saveexec_b32 s24, s7
	s_cbranch_execnz .LBB6_6578
	s_branch .LBB6_6579
.LBB6_7922:                             ;   in Loop: Header=BB6_5432 Depth=2
	s_mov_b32 s7, -1
	s_mov_b32 s26, exec_lo
                                        ; implicit-def: $sgpr24
	v_cmpx_eq_u16_e64 0x80, v181
; %bb.7923:                             ;   in Loop: Header=BB6_5432 Depth=2
	s_mov_b32 s24, 0x7f800001
	s_xor_b32 s7, exec_lo, -1
; %bb.7924:                             ;   in Loop: Header=BB6_5432 Depth=2
	s_or_b32 exec_lo, exec_lo, s26
	s_delay_alu instid0(SALU_CYCLE_1)
	s_and_b32 s7, s7, exec_lo
	s_or_saveexec_b32 s25, s25
	v_mov_b32_e32 v23, s24
	s_xor_b32 exec_lo, exec_lo, s25
	s_cbranch_execz .LBB6_6581
.LBB6_7925:                             ;   in Loop: Header=BB6_5432 Depth=2
	v_cmp_ne_u16_e64 vcc_lo, 0, v181
	v_mov_b32_e32 v23, 0
	s_and_not1_b32 s7, s7, exec_lo
	s_delay_alu instid0(VALU_DEP_2) | instskip(NEXT) | instid1(SALU_CYCLE_1)
	s_and_b32 s24, vcc_lo, exec_lo
	s_or_b32 s7, s7, s24
	s_or_b32 exec_lo, exec_lo, s25
	s_and_saveexec_b32 s24, s7
	s_cbranch_execnz .LBB6_6582
	s_branch .LBB6_6583
.LBB6_7926:                             ;   in Loop: Header=BB6_5432 Depth=2
	s_mov_b32 s7, -1
	s_mov_b32 s26, exec_lo
                                        ; implicit-def: $sgpr24
	v_cmpx_eq_u16_e64 0x80, v181
; %bb.7927:                             ;   in Loop: Header=BB6_5432 Depth=2
	s_mov_b32 s24, 0x7f800001
	s_xor_b32 s7, exec_lo, -1
; %bb.7928:                             ;   in Loop: Header=BB6_5432 Depth=2
	s_or_b32 exec_lo, exec_lo, s26
	s_delay_alu instid0(SALU_CYCLE_1)
	s_and_b32 s7, s7, exec_lo
                                        ; implicit-def: $vgpr181
	s_or_saveexec_b32 s25, s25
	v_mov_b32_e32 v23, s24
	s_xor_b32 exec_lo, exec_lo, s25
	s_cbranch_execz .LBB6_6595
.LBB6_7929:                             ;   in Loop: Header=BB6_5432 Depth=2
	v_cmp_ne_u16_e64 vcc_lo, 0, v181
	v_mov_b32_e32 v23, 0
	s_and_not1_b32 s7, s7, exec_lo
	s_delay_alu instid0(VALU_DEP_2) | instskip(NEXT) | instid1(SALU_CYCLE_1)
	s_and_b32 s24, vcc_lo, exec_lo
	s_or_b32 s7, s7, s24
	s_or_b32 exec_lo, exec_lo, s25
	s_and_saveexec_b32 s24, s7
	s_cbranch_execnz .LBB6_6596
	s_branch .LBB6_6597
.LBB6_7930:                             ;   in Loop: Header=BB6_5432 Depth=2
	s_mov_b32 s7, -1
	s_mov_b32 s26, exec_lo
                                        ; implicit-def: $sgpr24
	v_cmpx_eq_u16_e64 0x80, v182
; %bb.7931:                             ;   in Loop: Header=BB6_5432 Depth=2
	s_mov_b32 s24, 0x7f800001
	s_xor_b32 s7, exec_lo, -1
; %bb.7932:                             ;   in Loop: Header=BB6_5432 Depth=2
	s_or_b32 exec_lo, exec_lo, s26
	s_delay_alu instid0(SALU_CYCLE_1)
	s_and_b32 s7, s7, exec_lo
                                        ; implicit-def: $vgpr182
	s_or_saveexec_b32 s25, s25
	v_mov_b32_e32 v181, s24
	s_xor_b32 exec_lo, exec_lo, s25
	s_cbranch_execz .LBB6_6599
.LBB6_7933:                             ;   in Loop: Header=BB6_5432 Depth=2
	v_cmp_ne_u16_e64 vcc_lo, 0, v182
	v_mov_b32_e32 v181, 0
	s_and_not1_b32 s7, s7, exec_lo
	s_delay_alu instid0(VALU_DEP_2) | instskip(NEXT) | instid1(SALU_CYCLE_1)
	s_and_b32 s24, vcc_lo, exec_lo
	s_or_b32 s7, s7, s24
	s_or_b32 exec_lo, exec_lo, s25
	s_and_saveexec_b32 s24, s7
	s_cbranch_execnz .LBB6_6600
	s_branch .LBB6_6601
.LBB6_7934:                             ;   in Loop: Header=BB6_5432 Depth=2
	s_mov_b32 s7, -1
	s_mov_b32 s26, exec_lo
                                        ; implicit-def: $sgpr24
	v_cmpx_eq_u16_e64 0x80, v181
; %bb.7935:                             ;   in Loop: Header=BB6_5432 Depth=2
	s_mov_b32 s24, 0x7f800001
	s_xor_b32 s7, exec_lo, -1
; %bb.7936:                             ;   in Loop: Header=BB6_5432 Depth=2
	s_or_b32 exec_lo, exec_lo, s26
	s_delay_alu instid0(SALU_CYCLE_1)
	s_and_b32 s7, s7, exec_lo
                                        ; implicit-def: $vgpr181
	s_or_saveexec_b32 s25, s25
	v_mov_b32_e32 v23, s24
	s_xor_b32 exec_lo, exec_lo, s25
	s_cbranch_execz .LBB6_6606
.LBB6_7937:                             ;   in Loop: Header=BB6_5432 Depth=2
	v_cmp_ne_u16_e64 vcc_lo, 0, v181
	v_mov_b32_e32 v23, 0
	s_and_not1_b32 s7, s7, exec_lo
	s_delay_alu instid0(VALU_DEP_2) | instskip(NEXT) | instid1(SALU_CYCLE_1)
	s_and_b32 s24, vcc_lo, exec_lo
	s_or_b32 s7, s7, s24
	s_or_b32 exec_lo, exec_lo, s25
	s_and_saveexec_b32 s24, s7
	s_cbranch_execnz .LBB6_6607
	s_branch .LBB6_6608
.LBB6_7938:                             ;   in Loop: Header=BB6_5432 Depth=2
	s_mov_b32 s7, -1
	s_mov_b32 s26, exec_lo
                                        ; implicit-def: $sgpr24
	v_cmpx_eq_u16_e64 0x80, v182
; %bb.7939:                             ;   in Loop: Header=BB6_5432 Depth=2
	s_mov_b32 s24, 0x7f800001
	s_xor_b32 s7, exec_lo, -1
; %bb.7940:                             ;   in Loop: Header=BB6_5432 Depth=2
	s_or_b32 exec_lo, exec_lo, s26
	s_delay_alu instid0(SALU_CYCLE_1)
	s_and_b32 s7, s7, exec_lo
                                        ; implicit-def: $vgpr182
	s_or_saveexec_b32 s25, s25
	v_mov_b32_e32 v181, s24
	s_xor_b32 exec_lo, exec_lo, s25
	s_cbranch_execz .LBB6_6610
.LBB6_7941:                             ;   in Loop: Header=BB6_5432 Depth=2
	v_cmp_ne_u16_e64 vcc_lo, 0, v182
	v_mov_b32_e32 v181, 0
	s_and_not1_b32 s7, s7, exec_lo
	s_delay_alu instid0(VALU_DEP_2) | instskip(NEXT) | instid1(SALU_CYCLE_1)
	s_and_b32 s24, vcc_lo, exec_lo
	s_or_b32 s7, s7, s24
	s_or_b32 exec_lo, exec_lo, s25
	s_and_saveexec_b32 s24, s7
	s_cbranch_execnz .LBB6_6611
	s_branch .LBB6_6612
.LBB6_7942:                             ;   in Loop: Header=BB6_5432 Depth=2
	s_mov_b32 s7, -1
	s_mov_b32 s26, exec_lo
                                        ; implicit-def: $sgpr24
	v_cmpx_eq_u16_e64 0x80, v182
; %bb.7943:                             ;   in Loop: Header=BB6_5432 Depth=2
	s_mov_b32 s24, 0x7f800001
	s_xor_b32 s7, exec_lo, -1
; %bb.7944:                             ;   in Loop: Header=BB6_5432 Depth=2
	s_or_b32 exec_lo, exec_lo, s26
	s_delay_alu instid0(SALU_CYCLE_1)
	s_and_b32 s7, s7, exec_lo
	s_or_saveexec_b32 s25, s25
	v_mov_b32_e32 v183, s24
	s_xor_b32 exec_lo, exec_lo, s25
	s_cbranch_execz .LBB6_6624
.LBB6_7945:                             ;   in Loop: Header=BB6_5432 Depth=2
	v_cmp_ne_u16_e64 vcc_lo, 0, v182
	v_mov_b32_e32 v183, 0
	s_and_not1_b32 s7, s7, exec_lo
	s_delay_alu instid0(VALU_DEP_2) | instskip(NEXT) | instid1(SALU_CYCLE_1)
	s_and_b32 s24, vcc_lo, exec_lo
	s_or_b32 s7, s7, s24
	s_or_b32 exec_lo, exec_lo, s25
	s_and_saveexec_b32 s24, s7
	s_cbranch_execnz .LBB6_6625
	s_branch .LBB6_6626
.LBB6_7946:                             ;   in Loop: Header=BB6_5432 Depth=2
	s_mov_b32 s7, -1
	s_mov_b32 s26, exec_lo
                                        ; implicit-def: $sgpr24
	v_cmpx_eq_u16_e64 0x80, v181
; %bb.7947:                             ;   in Loop: Header=BB6_5432 Depth=2
	s_mov_b32 s24, 0x7f800001
	s_xor_b32 s7, exec_lo, -1
; %bb.7948:                             ;   in Loop: Header=BB6_5432 Depth=2
	s_or_b32 exec_lo, exec_lo, s26
	s_delay_alu instid0(SALU_CYCLE_1)
	s_and_b32 s7, s7, exec_lo
	s_or_saveexec_b32 s25, s25
	v_mov_b32_e32 v40, s24
	s_xor_b32 exec_lo, exec_lo, s25
	s_cbranch_execz .LBB6_6628
.LBB6_7949:                             ;   in Loop: Header=BB6_5432 Depth=2
	v_cmp_ne_u16_e64 vcc_lo, 0, v181
	v_mov_b32_e32 v40, 0
	s_and_not1_b32 s7, s7, exec_lo
	s_delay_alu instid0(VALU_DEP_2) | instskip(NEXT) | instid1(SALU_CYCLE_1)
	s_and_b32 s24, vcc_lo, exec_lo
	s_or_b32 s7, s7, s24
	s_or_b32 exec_lo, exec_lo, s25
	s_and_saveexec_b32 s24, s7
	s_cbranch_execnz .LBB6_6629
	s_branch .LBB6_6630
.LBB6_7950:                             ;   in Loop: Header=BB6_5432 Depth=2
	s_mov_b32 s7, -1
	s_mov_b32 s26, exec_lo
                                        ; implicit-def: $sgpr24
	v_cmpx_eq_u16_e64 0x80, v182
; %bb.7951:                             ;   in Loop: Header=BB6_5432 Depth=2
	s_mov_b32 s24, 0x7f800001
	s_xor_b32 s7, exec_lo, -1
; %bb.7952:                             ;   in Loop: Header=BB6_5432 Depth=2
	s_or_b32 exec_lo, exec_lo, s26
	s_delay_alu instid0(SALU_CYCLE_1)
	s_and_b32 s7, s7, exec_lo
	s_or_saveexec_b32 s25, s25
	v_mov_b32_e32 v183, s24
	s_xor_b32 exec_lo, exec_lo, s25
	s_cbranch_execz .LBB6_6635
.LBB6_7953:                             ;   in Loop: Header=BB6_5432 Depth=2
	v_cmp_ne_u16_e64 vcc_lo, 0, v182
	v_mov_b32_e32 v183, 0
	s_and_not1_b32 s7, s7, exec_lo
	s_delay_alu instid0(VALU_DEP_2) | instskip(NEXT) | instid1(SALU_CYCLE_1)
	s_and_b32 s24, vcc_lo, exec_lo
	s_or_b32 s7, s7, s24
	s_or_b32 exec_lo, exec_lo, s25
	s_and_saveexec_b32 s24, s7
	s_cbranch_execnz .LBB6_6636
	s_branch .LBB6_6637
.LBB6_7954:                             ;   in Loop: Header=BB6_5432 Depth=2
	s_mov_b32 s7, -1
	s_mov_b32 s26, exec_lo
                                        ; implicit-def: $sgpr24
	v_cmpx_eq_u16_e64 0x80, v181
; %bb.7955:                             ;   in Loop: Header=BB6_5432 Depth=2
	s_mov_b32 s24, 0x7f800001
	s_xor_b32 s7, exec_lo, -1
; %bb.7956:                             ;   in Loop: Header=BB6_5432 Depth=2
	s_or_b32 exec_lo, exec_lo, s26
	s_delay_alu instid0(SALU_CYCLE_1)
	s_and_b32 s7, s7, exec_lo
	s_or_saveexec_b32 s25, s25
	v_mov_b32_e32 v182, s24
	s_xor_b32 exec_lo, exec_lo, s25
	s_cbranch_execz .LBB6_6639
.LBB6_7957:                             ;   in Loop: Header=BB6_5432 Depth=2
	v_cmp_ne_u16_e64 vcc_lo, 0, v181
	v_mov_b32_e32 v182, 0
	s_and_not1_b32 s7, s7, exec_lo
	s_delay_alu instid0(VALU_DEP_2) | instskip(NEXT) | instid1(SALU_CYCLE_1)
	s_and_b32 s24, vcc_lo, exec_lo
	s_or_b32 s7, s7, s24
	s_or_b32 exec_lo, exec_lo, s25
	s_and_saveexec_b32 s24, s7
	s_cbranch_execnz .LBB6_6640
	s_branch .LBB6_6641
.LBB6_7958:                             ;   in Loop: Header=BB6_5432 Depth=2
	s_mov_b32 s7, -1
	s_mov_b32 s26, exec_lo
                                        ; implicit-def: $sgpr24
	v_cmpx_eq_u16_e32 0x80, v41
; %bb.7959:                             ;   in Loop: Header=BB6_5432 Depth=2
	s_mov_b32 s24, 0x7f800001
	s_xor_b32 s7, exec_lo, -1
; %bb.7960:                             ;   in Loop: Header=BB6_5432 Depth=2
	s_or_b32 exec_lo, exec_lo, s26
	s_delay_alu instid0(SALU_CYCLE_1)
	s_and_b32 s7, s7, exec_lo
                                        ; implicit-def: $vgpr41
	s_or_saveexec_b32 s25, s25
	v_mov_b32_e32 v40, s24
	s_xor_b32 exec_lo, exec_lo, s25
	s_cbranch_execz .LBB6_6653
.LBB6_7961:                             ;   in Loop: Header=BB6_5432 Depth=2
	v_cmp_ne_u16_e32 vcc_lo, 0, v41
	v_mov_b32_e32 v40, 0
	s_and_not1_b32 s7, s7, exec_lo
	s_and_b32 s24, vcc_lo, exec_lo
	s_delay_alu instid0(SALU_CYCLE_1)
	s_or_b32 s7, s7, s24
	s_or_b32 exec_lo, exec_lo, s25
	s_and_saveexec_b32 s24, s7
	s_cbranch_execnz .LBB6_6654
	s_branch .LBB6_6655
.LBB6_7962:                             ;   in Loop: Header=BB6_5432 Depth=2
	s_mov_b32 s7, -1
	s_mov_b32 s26, exec_lo
                                        ; implicit-def: $sgpr24
	v_cmpx_eq_u16_e32 0x80, v42
; %bb.7963:                             ;   in Loop: Header=BB6_5432 Depth=2
	s_mov_b32 s24, 0x7f800001
	s_xor_b32 s7, exec_lo, -1
; %bb.7964:                             ;   in Loop: Header=BB6_5432 Depth=2
	s_or_b32 exec_lo, exec_lo, s26
	s_delay_alu instid0(SALU_CYCLE_1)
	s_and_b32 s7, s7, exec_lo
                                        ; implicit-def: $vgpr42
	s_or_saveexec_b32 s25, s25
	v_mov_b32_e32 v41, s24
	s_xor_b32 exec_lo, exec_lo, s25
	s_cbranch_execz .LBB6_6657
.LBB6_7965:                             ;   in Loop: Header=BB6_5432 Depth=2
	v_cmp_ne_u16_e32 vcc_lo, 0, v42
	v_mov_b32_e32 v41, 0
	s_and_not1_b32 s7, s7, exec_lo
	s_and_b32 s24, vcc_lo, exec_lo
	s_delay_alu instid0(SALU_CYCLE_1)
	s_or_b32 s7, s7, s24
	s_or_b32 exec_lo, exec_lo, s25
	s_and_saveexec_b32 s24, s7
	s_cbranch_execnz .LBB6_6658
	s_branch .LBB6_6659
.LBB6_7966:                             ;   in Loop: Header=BB6_5432 Depth=2
	s_mov_b32 s7, -1
	s_mov_b32 s26, exec_lo
                                        ; implicit-def: $sgpr24
	v_cmpx_eq_u16_e32 0x80, v41
; %bb.7967:                             ;   in Loop: Header=BB6_5432 Depth=2
	s_mov_b32 s24, 0x7f800001
	s_xor_b32 s7, exec_lo, -1
; %bb.7968:                             ;   in Loop: Header=BB6_5432 Depth=2
	s_or_b32 exec_lo, exec_lo, s26
	s_delay_alu instid0(SALU_CYCLE_1)
	s_and_b32 s7, s7, exec_lo
                                        ; implicit-def: $vgpr41
	s_or_saveexec_b32 s25, s25
	v_mov_b32_e32 v40, s24
	s_xor_b32 exec_lo, exec_lo, s25
	s_cbranch_execz .LBB6_6664
.LBB6_7969:                             ;   in Loop: Header=BB6_5432 Depth=2
	v_cmp_ne_u16_e32 vcc_lo, 0, v41
	v_mov_b32_e32 v40, 0
	s_and_not1_b32 s7, s7, exec_lo
	s_and_b32 s24, vcc_lo, exec_lo
	s_delay_alu instid0(SALU_CYCLE_1)
	s_or_b32 s7, s7, s24
	s_or_b32 exec_lo, exec_lo, s25
	s_and_saveexec_b32 s24, s7
	s_cbranch_execnz .LBB6_6665
	s_branch .LBB6_6666
.LBB6_7970:                             ;   in Loop: Header=BB6_5432 Depth=2
	s_mov_b32 s7, -1
	s_mov_b32 s26, exec_lo
                                        ; implicit-def: $sgpr24
	v_cmpx_eq_u16_e32 0x80, v41
; %bb.7971:                             ;   in Loop: Header=BB6_5432 Depth=2
	s_mov_b32 s24, 0x7f800001
	s_xor_b32 s7, exec_lo, -1
; %bb.7972:                             ;   in Loop: Header=BB6_5432 Depth=2
	s_or_b32 exec_lo, exec_lo, s26
	s_delay_alu instid0(SALU_CYCLE_1)
	s_and_b32 s7, s7, exec_lo
                                        ; implicit-def: $vgpr41
	s_or_saveexec_b32 s25, s25
	v_mov_b32_e32 v183, s24
	s_xor_b32 exec_lo, exec_lo, s25
	s_cbranch_execz .LBB6_6668
.LBB6_7973:                             ;   in Loop: Header=BB6_5432 Depth=2
	v_cmp_ne_u16_e32 vcc_lo, 0, v41
	v_mov_b32_e32 v183, 0
	s_and_not1_b32 s7, s7, exec_lo
	s_and_b32 s24, vcc_lo, exec_lo
	s_delay_alu instid0(SALU_CYCLE_1)
	s_or_b32 s7, s7, s24
	s_or_b32 exec_lo, exec_lo, s25
	s_and_saveexec_b32 s24, s7
	s_cbranch_execnz .LBB6_6669
	s_branch .LBB6_6670
.LBB6_7974:                             ;   in Loop: Header=BB6_5432 Depth=2
	s_mov_b32 s7, -1
	s_mov_b32 s26, exec_lo
                                        ; implicit-def: $sgpr24
	v_cmpx_eq_u16_e32 0x80, v40
; %bb.7975:                             ;   in Loop: Header=BB6_5432 Depth=2
	s_mov_b32 s24, 0x7f800001
	s_xor_b32 s7, exec_lo, -1
; %bb.7976:                             ;   in Loop: Header=BB6_5432 Depth=2
	s_or_b32 exec_lo, exec_lo, s26
	s_delay_alu instid0(SALU_CYCLE_1)
	s_and_b32 s7, s7, exec_lo
	s_or_saveexec_b32 s25, s25
	v_mov_b32_e32 v41, s24
	s_xor_b32 exec_lo, exec_lo, s25
	s_cbranch_execz .LBB6_6682
.LBB6_7977:                             ;   in Loop: Header=BB6_5432 Depth=2
	v_cmp_ne_u16_e32 vcc_lo, 0, v40
	v_mov_b32_e32 v41, 0
	s_and_not1_b32 s7, s7, exec_lo
	s_and_b32 s24, vcc_lo, exec_lo
	s_delay_alu instid0(SALU_CYCLE_1)
	s_or_b32 s7, s7, s24
	s_or_b32 exec_lo, exec_lo, s25
	s_and_saveexec_b32 s24, s7
	s_cbranch_execnz .LBB6_6683
	s_branch .LBB6_6684
.LBB6_7978:                             ;   in Loop: Header=BB6_5432 Depth=2
	s_mov_b32 s7, -1
	s_mov_b32 s26, exec_lo
                                        ; implicit-def: $sgpr24
	v_cmpx_eq_u16_e64 0x80, v183
; %bb.7979:                             ;   in Loop: Header=BB6_5432 Depth=2
	s_mov_b32 s24, 0x7f800001
	s_xor_b32 s7, exec_lo, -1
; %bb.7980:                             ;   in Loop: Header=BB6_5432 Depth=2
	s_or_b32 exec_lo, exec_lo, s26
	s_delay_alu instid0(SALU_CYCLE_1)
	s_and_b32 s7, s7, exec_lo
	s_or_saveexec_b32 s25, s25
	v_mov_b32_e32 v42, s24
	s_xor_b32 exec_lo, exec_lo, s25
	s_cbranch_execz .LBB6_6686
.LBB6_7981:                             ;   in Loop: Header=BB6_5432 Depth=2
	v_cmp_ne_u16_e64 vcc_lo, 0, v183
	v_mov_b32_e32 v42, 0
	s_and_not1_b32 s7, s7, exec_lo
	s_delay_alu instid0(VALU_DEP_2) | instskip(NEXT) | instid1(SALU_CYCLE_1)
	s_and_b32 s24, vcc_lo, exec_lo
	s_or_b32 s7, s7, s24
	s_or_b32 exec_lo, exec_lo, s25
	s_and_saveexec_b32 s24, s7
	s_cbranch_execnz .LBB6_6687
	s_branch .LBB6_6688
.LBB6_7982:                             ;   in Loop: Header=BB6_5432 Depth=2
	s_mov_b32 s7, -1
	s_mov_b32 s26, exec_lo
                                        ; implicit-def: $sgpr24
	v_cmpx_eq_u16_e32 0x80, v40
; %bb.7983:                             ;   in Loop: Header=BB6_5432 Depth=2
	s_mov_b32 s24, 0x7f800001
	s_xor_b32 s7, exec_lo, -1
; %bb.7984:                             ;   in Loop: Header=BB6_5432 Depth=2
	s_or_b32 exec_lo, exec_lo, s26
	s_delay_alu instid0(SALU_CYCLE_1)
	s_and_b32 s7, s7, exec_lo
	s_or_saveexec_b32 s25, s25
	v_mov_b32_e32 v41, s24
	s_xor_b32 exec_lo, exec_lo, s25
	s_cbranch_execz .LBB6_6693
.LBB6_7985:                             ;   in Loop: Header=BB6_5432 Depth=2
	v_cmp_ne_u16_e32 vcc_lo, 0, v40
	v_mov_b32_e32 v41, 0
	s_and_not1_b32 s7, s7, exec_lo
	s_and_b32 s24, vcc_lo, exec_lo
	s_delay_alu instid0(SALU_CYCLE_1)
	s_or_b32 s7, s7, s24
	s_or_b32 exec_lo, exec_lo, s25
	s_and_saveexec_b32 s24, s7
	s_cbranch_execnz .LBB6_6694
	s_branch .LBB6_6695
.LBB6_7986:                             ;   in Loop: Header=BB6_5432 Depth=2
	s_mov_b32 s7, -1
	s_mov_b32 s26, exec_lo
                                        ; implicit-def: $sgpr24
	v_cmpx_eq_u16_e64 0x80, v183
; %bb.7987:                             ;   in Loop: Header=BB6_5432 Depth=2
	s_mov_b32 s24, 0x7f800001
	s_xor_b32 s7, exec_lo, -1
; %bb.7988:                             ;   in Loop: Header=BB6_5432 Depth=2
	s_or_b32 exec_lo, exec_lo, s26
	s_delay_alu instid0(SALU_CYCLE_1)
	s_and_b32 s7, s7, exec_lo
	s_or_saveexec_b32 s25, s25
	v_mov_b32_e32 v24, s24
	s_xor_b32 exec_lo, exec_lo, s25
	s_cbranch_execz .LBB6_6697
.LBB6_7989:                             ;   in Loop: Header=BB6_5432 Depth=2
	v_cmp_ne_u16_e64 vcc_lo, 0, v183
	v_mov_b32_e32 v24, 0
	s_and_not1_b32 s7, s7, exec_lo
	s_delay_alu instid0(VALU_DEP_2) | instskip(NEXT) | instid1(SALU_CYCLE_1)
	s_and_b32 s24, vcc_lo, exec_lo
	s_or_b32 s7, s7, s24
	s_or_b32 exec_lo, exec_lo, s25
	s_and_saveexec_b32 s24, s7
	s_cbranch_execnz .LBB6_6698
	s_branch .LBB6_6699
.LBB6_7990:                             ;   in Loop: Header=BB6_5432 Depth=2
	s_mov_b32 s7, -1
	s_mov_b32 s26, exec_lo
                                        ; implicit-def: $sgpr24
	v_cmpx_eq_u16_e64 0x80, v183
; %bb.7991:                             ;   in Loop: Header=BB6_5432 Depth=2
	s_mov_b32 s24, 0x7f800001
	s_xor_b32 s7, exec_lo, -1
; %bb.7992:                             ;   in Loop: Header=BB6_5432 Depth=2
	s_or_b32 exec_lo, exec_lo, s26
	s_delay_alu instid0(SALU_CYCLE_1)
	s_and_b32 s7, s7, exec_lo
                                        ; implicit-def: $vgpr183
	s_or_saveexec_b32 s25, s25
	v_mov_b32_e32 v24, s24
	s_xor_b32 exec_lo, exec_lo, s25
	s_cbranch_execz .LBB6_6711
.LBB6_7993:                             ;   in Loop: Header=BB6_5432 Depth=2
	v_cmp_ne_u16_e64 vcc_lo, 0, v183
	v_mov_b32_e32 v24, 0
	s_and_not1_b32 s7, s7, exec_lo
	s_delay_alu instid0(VALU_DEP_2) | instskip(NEXT) | instid1(SALU_CYCLE_1)
	s_and_b32 s24, vcc_lo, exec_lo
	s_or_b32 s7, s7, s24
	s_or_b32 exec_lo, exec_lo, s25
	s_and_saveexec_b32 s24, s7
	s_cbranch_execnz .LBB6_6712
	s_branch .LBB6_6713
.LBB6_7994:                             ;   in Loop: Header=BB6_5432 Depth=2
	s_mov_b32 s7, -1
	s_mov_b32 s26, exec_lo
                                        ; implicit-def: $sgpr24
	v_cmpx_eq_u16_e32 0x80, v40
; %bb.7995:                             ;   in Loop: Header=BB6_5432 Depth=2
	s_mov_b32 s24, 0x7f800001
	s_xor_b32 s7, exec_lo, -1
; %bb.7996:                             ;   in Loop: Header=BB6_5432 Depth=2
	s_or_b32 exec_lo, exec_lo, s26
	s_delay_alu instid0(SALU_CYCLE_1)
	s_and_b32 s7, s7, exec_lo
                                        ; implicit-def: $vgpr40
	s_or_saveexec_b32 s25, s25
	v_mov_b32_e32 v183, s24
	s_xor_b32 exec_lo, exec_lo, s25
	s_cbranch_execz .LBB6_6715
.LBB6_7997:                             ;   in Loop: Header=BB6_5432 Depth=2
	v_cmp_ne_u16_e32 vcc_lo, 0, v40
	v_mov_b32_e32 v183, 0
	s_and_not1_b32 s7, s7, exec_lo
	s_and_b32 s24, vcc_lo, exec_lo
	s_delay_alu instid0(SALU_CYCLE_1)
	s_or_b32 s7, s7, s24
	s_or_b32 exec_lo, exec_lo, s25
	s_and_saveexec_b32 s24, s7
	s_cbranch_execnz .LBB6_6716
	s_branch .LBB6_6717
.LBB6_7998:                             ;   in Loop: Header=BB6_5432 Depth=2
	s_mov_b32 s7, -1
	s_mov_b32 s26, exec_lo
                                        ; implicit-def: $sgpr24
	v_cmpx_eq_u16_e64 0x80, v183
; %bb.7999:                             ;   in Loop: Header=BB6_5432 Depth=2
	s_mov_b32 s24, 0x7f800001
	s_xor_b32 s7, exec_lo, -1
; %bb.8000:                             ;   in Loop: Header=BB6_5432 Depth=2
	s_or_b32 exec_lo, exec_lo, s26
	s_delay_alu instid0(SALU_CYCLE_1)
	s_and_b32 s7, s7, exec_lo
                                        ; implicit-def: $vgpr183
	s_or_saveexec_b32 s25, s25
	v_mov_b32_e32 v24, s24
	s_xor_b32 exec_lo, exec_lo, s25
	s_cbranch_execz .LBB6_6722
.LBB6_8001:                             ;   in Loop: Header=BB6_5432 Depth=2
	v_cmp_ne_u16_e64 vcc_lo, 0, v183
	v_mov_b32_e32 v24, 0
	s_and_not1_b32 s7, s7, exec_lo
	s_delay_alu instid0(VALU_DEP_2) | instskip(NEXT) | instid1(SALU_CYCLE_1)
	s_and_b32 s24, vcc_lo, exec_lo
	s_or_b32 s7, s7, s24
	s_or_b32 exec_lo, exec_lo, s25
	s_and_saveexec_b32 s24, s7
	s_cbranch_execnz .LBB6_6723
	s_branch .LBB6_6724
.LBB6_8002:                             ;   in Loop: Header=BB6_5432 Depth=2
	s_mov_b32 s7, -1
	s_mov_b32 s26, exec_lo
                                        ; implicit-def: $sgpr24
	v_cmpx_eq_u16_e32 0x80, v40
; %bb.8003:                             ;   in Loop: Header=BB6_5432 Depth=2
	s_mov_b32 s24, 0x7f800001
	s_xor_b32 s7, exec_lo, -1
; %bb.8004:                             ;   in Loop: Header=BB6_5432 Depth=2
	s_or_b32 exec_lo, exec_lo, s26
	s_delay_alu instid0(SALU_CYCLE_1)
	s_and_b32 s7, s7, exec_lo
                                        ; implicit-def: $vgpr40
	s_or_saveexec_b32 s25, s25
	v_mov_b32_e32 v183, s24
	s_xor_b32 exec_lo, exec_lo, s25
	s_cbranch_execz .LBB6_6726
.LBB6_8005:                             ;   in Loop: Header=BB6_5432 Depth=2
	v_cmp_ne_u16_e32 vcc_lo, 0, v40
	v_mov_b32_e32 v183, 0
	s_and_not1_b32 s7, s7, exec_lo
	s_and_b32 s24, vcc_lo, exec_lo
	s_delay_alu instid0(SALU_CYCLE_1)
	s_or_b32 s7, s7, s24
	s_or_b32 exec_lo, exec_lo, s25
	s_and_saveexec_b32 s24, s7
	s_cbranch_execnz .LBB6_6727
	s_branch .LBB6_6728
.LBB6_8006:                             ;   in Loop: Header=BB6_5432 Depth=2
	s_mov_b32 s7, -1
	s_mov_b32 s26, exec_lo
                                        ; implicit-def: $sgpr24
	v_cmpx_eq_u16_e32 0x80, v40
; %bb.8007:                             ;   in Loop: Header=BB6_5432 Depth=2
	s_mov_b32 s24, 0x7f800001
	s_xor_b32 s7, exec_lo, -1
; %bb.8008:                             ;   in Loop: Header=BB6_5432 Depth=2
	s_or_b32 exec_lo, exec_lo, s26
	s_delay_alu instid0(SALU_CYCLE_1)
	s_and_b32 s7, s7, exec_lo
	s_or_saveexec_b32 s25, s25
	v_mov_b32_e32 v41, s24
	s_xor_b32 exec_lo, exec_lo, s25
	s_cbranch_execz .LBB6_6740
.LBB6_8009:                             ;   in Loop: Header=BB6_5432 Depth=2
	v_cmp_ne_u16_e32 vcc_lo, 0, v40
	v_mov_b32_e32 v41, 0
	s_and_not1_b32 s7, s7, exec_lo
	s_and_b32 s24, vcc_lo, exec_lo
	s_delay_alu instid0(SALU_CYCLE_1)
	s_or_b32 s7, s7, s24
	s_or_b32 exec_lo, exec_lo, s25
	s_and_saveexec_b32 s24, s7
	s_cbranch_execnz .LBB6_6741
	s_branch .LBB6_6742
.LBB6_8010:                             ;   in Loop: Header=BB6_5432 Depth=2
	s_mov_b32 s7, -1
	s_mov_b32 s26, exec_lo
                                        ; implicit-def: $sgpr24
	v_cmpx_eq_u16_e64 0x80, v183
; %bb.8011:                             ;   in Loop: Header=BB6_5432 Depth=2
	s_mov_b32 s24, 0x7f800001
	s_xor_b32 s7, exec_lo, -1
; %bb.8012:                             ;   in Loop: Header=BB6_5432 Depth=2
	s_or_b32 exec_lo, exec_lo, s26
	s_delay_alu instid0(SALU_CYCLE_1)
	s_and_b32 s7, s7, exec_lo
	s_or_saveexec_b32 s25, s25
	v_mov_b32_e32 v42, s24
	s_xor_b32 exec_lo, exec_lo, s25
	s_cbranch_execz .LBB6_6744
.LBB6_8013:                             ;   in Loop: Header=BB6_5432 Depth=2
	v_cmp_ne_u16_e64 vcc_lo, 0, v183
	v_mov_b32_e32 v42, 0
	s_and_not1_b32 s7, s7, exec_lo
	s_delay_alu instid0(VALU_DEP_2) | instskip(NEXT) | instid1(SALU_CYCLE_1)
	s_and_b32 s24, vcc_lo, exec_lo
	s_or_b32 s7, s7, s24
	s_or_b32 exec_lo, exec_lo, s25
	s_and_saveexec_b32 s24, s7
	s_cbranch_execnz .LBB6_6745
	s_branch .LBB6_6746
.LBB6_8014:                             ;   in Loop: Header=BB6_5432 Depth=2
	s_mov_b32 s7, -1
	s_mov_b32 s26, exec_lo
                                        ; implicit-def: $sgpr24
	v_cmpx_eq_u16_e32 0x80, v40
; %bb.8015:                             ;   in Loop: Header=BB6_5432 Depth=2
	s_mov_b32 s24, 0x7f800001
	s_xor_b32 s7, exec_lo, -1
; %bb.8016:                             ;   in Loop: Header=BB6_5432 Depth=2
	s_or_b32 exec_lo, exec_lo, s26
	s_delay_alu instid0(SALU_CYCLE_1)
	s_and_b32 s7, s7, exec_lo
	s_or_saveexec_b32 s25, s25
	v_mov_b32_e32 v41, s24
	s_xor_b32 exec_lo, exec_lo, s25
	s_cbranch_execz .LBB6_6751
.LBB6_8017:                             ;   in Loop: Header=BB6_5432 Depth=2
	v_cmp_ne_u16_e32 vcc_lo, 0, v40
	v_mov_b32_e32 v41, 0
	s_and_not1_b32 s7, s7, exec_lo
	s_and_b32 s24, vcc_lo, exec_lo
	s_delay_alu instid0(SALU_CYCLE_1)
	s_or_b32 s7, s7, s24
	s_or_b32 exec_lo, exec_lo, s25
	s_and_saveexec_b32 s24, s7
	s_cbranch_execnz .LBB6_6752
	s_branch .LBB6_6753
.LBB6_8018:                             ;   in Loop: Header=BB6_5432 Depth=2
	s_mov_b32 s7, -1
	s_mov_b32 s26, exec_lo
                                        ; implicit-def: $sgpr24
	v_cmpx_eq_u16_e64 0x80, v183
; %bb.8019:                             ;   in Loop: Header=BB6_5432 Depth=2
	s_mov_b32 s24, 0x7f800001
	s_xor_b32 s7, exec_lo, -1
; %bb.8020:                             ;   in Loop: Header=BB6_5432 Depth=2
	s_or_b32 exec_lo, exec_lo, s26
	s_delay_alu instid0(SALU_CYCLE_1)
	s_and_b32 s7, s7, exec_lo
	s_or_saveexec_b32 s25, s25
	v_mov_b32_e32 v40, s24
	s_xor_b32 exec_lo, exec_lo, s25
	s_cbranch_execz .LBB6_6755
.LBB6_8021:                             ;   in Loop: Header=BB6_5432 Depth=2
	v_cmp_ne_u16_e64 vcc_lo, 0, v183
	v_mov_b32_e32 v40, 0
	s_and_not1_b32 s7, s7, exec_lo
	s_delay_alu instid0(VALU_DEP_2) | instskip(NEXT) | instid1(SALU_CYCLE_1)
	s_and_b32 s24, vcc_lo, exec_lo
	s_or_b32 s7, s7, s24
	s_or_b32 exec_lo, exec_lo, s25
	s_and_saveexec_b32 s24, s7
	s_cbranch_execnz .LBB6_6756
	s_branch .LBB6_6757
.LBB6_8022:                             ;   in Loop: Header=BB6_5432 Depth=2
	s_mov_b32 s7, -1
	s_mov_b32 s26, exec_lo
                                        ; implicit-def: $sgpr24
	v_cmpx_eq_u16_e32 0x80, v43
; %bb.8023:                             ;   in Loop: Header=BB6_5432 Depth=2
	s_mov_b32 s24, 0x7f800001
	s_xor_b32 s7, exec_lo, -1
; %bb.8024:                             ;   in Loop: Header=BB6_5432 Depth=2
	s_or_b32 exec_lo, exec_lo, s26
	s_delay_alu instid0(SALU_CYCLE_1)
	s_and_b32 s7, s7, exec_lo
                                        ; implicit-def: $vgpr43
	s_or_saveexec_b32 s25, s25
	v_mov_b32_e32 v42, s24
	s_xor_b32 exec_lo, exec_lo, s25
	s_cbranch_execz .LBB6_6769
.LBB6_8025:                             ;   in Loop: Header=BB6_5432 Depth=2
	v_cmp_ne_u16_e32 vcc_lo, 0, v43
	v_mov_b32_e32 v42, 0
	s_and_not1_b32 s7, s7, exec_lo
	s_and_b32 s24, vcc_lo, exec_lo
	s_delay_alu instid0(SALU_CYCLE_1)
	s_or_b32 s7, s7, s24
	s_or_b32 exec_lo, exec_lo, s25
	s_and_saveexec_b32 s24, s7
	s_cbranch_execnz .LBB6_6770
	s_branch .LBB6_6771
.LBB6_8026:                             ;   in Loop: Header=BB6_5432 Depth=2
	s_mov_b32 s7, -1
	s_mov_b32 s26, exec_lo
                                        ; implicit-def: $sgpr24
	v_cmpx_eq_u16_e32 0x80, v44
; %bb.8027:                             ;   in Loop: Header=BB6_5432 Depth=2
	s_mov_b32 s24, 0x7f800001
	s_xor_b32 s7, exec_lo, -1
; %bb.8028:                             ;   in Loop: Header=BB6_5432 Depth=2
	s_or_b32 exec_lo, exec_lo, s26
	s_delay_alu instid0(SALU_CYCLE_1)
	s_and_b32 s7, s7, exec_lo
                                        ; implicit-def: $vgpr44
	s_or_saveexec_b32 s25, s25
	v_mov_b32_e32 v43, s24
	s_xor_b32 exec_lo, exec_lo, s25
	s_cbranch_execz .LBB6_6773
.LBB6_8029:                             ;   in Loop: Header=BB6_5432 Depth=2
	v_cmp_ne_u16_e32 vcc_lo, 0, v44
	v_mov_b32_e32 v43, 0
	s_and_not1_b32 s7, s7, exec_lo
	s_and_b32 s24, vcc_lo, exec_lo
	s_delay_alu instid0(SALU_CYCLE_1)
	s_or_b32 s7, s7, s24
	s_or_b32 exec_lo, exec_lo, s25
	s_and_saveexec_b32 s24, s7
	s_cbranch_execnz .LBB6_6774
	s_branch .LBB6_6775
.LBB6_8030:                             ;   in Loop: Header=BB6_5432 Depth=2
	s_mov_b32 s7, -1
	s_mov_b32 s26, exec_lo
                                        ; implicit-def: $sgpr24
	v_cmpx_eq_u16_e32 0x80, v43
; %bb.8031:                             ;   in Loop: Header=BB6_5432 Depth=2
	s_mov_b32 s24, 0x7f800001
	s_xor_b32 s7, exec_lo, -1
; %bb.8032:                             ;   in Loop: Header=BB6_5432 Depth=2
	s_or_b32 exec_lo, exec_lo, s26
	s_delay_alu instid0(SALU_CYCLE_1)
	s_and_b32 s7, s7, exec_lo
                                        ; implicit-def: $vgpr43
	s_or_saveexec_b32 s25, s25
	v_mov_b32_e32 v42, s24
	s_xor_b32 exec_lo, exec_lo, s25
	s_cbranch_execz .LBB6_6780
.LBB6_8033:                             ;   in Loop: Header=BB6_5432 Depth=2
	v_cmp_ne_u16_e32 vcc_lo, 0, v43
	v_mov_b32_e32 v42, 0
	s_and_not1_b32 s7, s7, exec_lo
	s_and_b32 s24, vcc_lo, exec_lo
	s_delay_alu instid0(SALU_CYCLE_1)
	s_or_b32 s7, s7, s24
	s_or_b32 exec_lo, exec_lo, s25
	s_and_saveexec_b32 s24, s7
	s_cbranch_execnz .LBB6_6781
	s_branch .LBB6_6782
.LBB6_8034:                             ;   in Loop: Header=BB6_5432 Depth=2
	s_mov_b32 s7, -1
	s_mov_b32 s26, exec_lo
                                        ; implicit-def: $sgpr24
	v_cmpx_eq_u16_e32 0x80, v43
; %bb.8035:                             ;   in Loop: Header=BB6_5432 Depth=2
	s_mov_b32 s24, 0x7f800001
	s_xor_b32 s7, exec_lo, -1
; %bb.8036:                             ;   in Loop: Header=BB6_5432 Depth=2
	s_or_b32 exec_lo, exec_lo, s26
	s_delay_alu instid0(SALU_CYCLE_1)
	s_and_b32 s7, s7, exec_lo
                                        ; implicit-def: $vgpr43
	s_or_saveexec_b32 s25, s25
	v_mov_b32_e32 v41, s24
	s_xor_b32 exec_lo, exec_lo, s25
	s_cbranch_execz .LBB6_6784
.LBB6_8037:                             ;   in Loop: Header=BB6_5432 Depth=2
	v_cmp_ne_u16_e32 vcc_lo, 0, v43
	v_mov_b32_e32 v41, 0
	s_and_not1_b32 s7, s7, exec_lo
	s_and_b32 s24, vcc_lo, exec_lo
	s_delay_alu instid0(SALU_CYCLE_1)
	s_or_b32 s7, s7, s24
	s_or_b32 exec_lo, exec_lo, s25
	s_and_saveexec_b32 s24, s7
	s_cbranch_execnz .LBB6_6785
	s_branch .LBB6_6786
.LBB6_8038:                             ;   in Loop: Header=BB6_5432 Depth=2
	s_mov_b32 s7, -1
	s_mov_b32 s26, exec_lo
                                        ; implicit-def: $sgpr24
	v_cmpx_eq_u16_e32 0x80, v42
; %bb.8039:                             ;   in Loop: Header=BB6_5432 Depth=2
	s_mov_b32 s24, 0x7f800001
	s_xor_b32 s7, exec_lo, -1
; %bb.8040:                             ;   in Loop: Header=BB6_5432 Depth=2
	s_or_b32 exec_lo, exec_lo, s26
	s_delay_alu instid0(SALU_CYCLE_1)
	s_and_b32 s7, s7, exec_lo
	s_or_saveexec_b32 s25, s25
	v_mov_b32_e32 v43, s24
	s_xor_b32 exec_lo, exec_lo, s25
	s_cbranch_execz .LBB6_6798
.LBB6_8041:                             ;   in Loop: Header=BB6_5432 Depth=2
	v_cmp_ne_u16_e32 vcc_lo, 0, v42
	v_mov_b32_e32 v43, 0
	s_and_not1_b32 s7, s7, exec_lo
	s_and_b32 s24, vcc_lo, exec_lo
	s_delay_alu instid0(SALU_CYCLE_1)
	s_or_b32 s7, s7, s24
	s_or_b32 exec_lo, exec_lo, s25
	s_and_saveexec_b32 s24, s7
	s_cbranch_execnz .LBB6_6799
	s_branch .LBB6_6800
.LBB6_8042:                             ;   in Loop: Header=BB6_5432 Depth=2
	s_mov_b32 s7, -1
	s_mov_b32 s26, exec_lo
                                        ; implicit-def: $sgpr24
	v_cmpx_eq_u16_e32 0x80, v41
; %bb.8043:                             ;   in Loop: Header=BB6_5432 Depth=2
	s_mov_b32 s24, 0x7f800001
	s_xor_b32 s7, exec_lo, -1
; %bb.8044:                             ;   in Loop: Header=BB6_5432 Depth=2
	s_or_b32 exec_lo, exec_lo, s26
	s_delay_alu instid0(SALU_CYCLE_1)
	s_and_b32 s7, s7, exec_lo
	s_or_saveexec_b32 s25, s25
	v_mov_b32_e32 v44, s24
	s_xor_b32 exec_lo, exec_lo, s25
	s_cbranch_execz .LBB6_6802
.LBB6_8045:                             ;   in Loop: Header=BB6_5432 Depth=2
	v_cmp_ne_u16_e32 vcc_lo, 0, v41
	v_mov_b32_e32 v44, 0
	s_and_not1_b32 s7, s7, exec_lo
	s_and_b32 s24, vcc_lo, exec_lo
	s_delay_alu instid0(SALU_CYCLE_1)
	s_or_b32 s7, s7, s24
	s_or_b32 exec_lo, exec_lo, s25
	s_and_saveexec_b32 s24, s7
	s_cbranch_execnz .LBB6_6803
	s_branch .LBB6_6804
.LBB6_8046:                             ;   in Loop: Header=BB6_5432 Depth=2
	s_mov_b32 s7, -1
	s_mov_b32 s26, exec_lo
                                        ; implicit-def: $sgpr24
	v_cmpx_eq_u16_e32 0x80, v42
; %bb.8047:                             ;   in Loop: Header=BB6_5432 Depth=2
	s_mov_b32 s24, 0x7f800001
	s_xor_b32 s7, exec_lo, -1
; %bb.8048:                             ;   in Loop: Header=BB6_5432 Depth=2
	s_or_b32 exec_lo, exec_lo, s26
	s_delay_alu instid0(SALU_CYCLE_1)
	s_and_b32 s7, s7, exec_lo
	s_or_saveexec_b32 s25, s25
	v_mov_b32_e32 v43, s24
	s_xor_b32 exec_lo, exec_lo, s25
	s_cbranch_execz .LBB6_6809
.LBB6_8049:                             ;   in Loop: Header=BB6_5432 Depth=2
	v_cmp_ne_u16_e32 vcc_lo, 0, v42
	v_mov_b32_e32 v43, 0
	s_and_not1_b32 s7, s7, exec_lo
	s_and_b32 s24, vcc_lo, exec_lo
	s_delay_alu instid0(SALU_CYCLE_1)
	s_or_b32 s7, s7, s24
	s_or_b32 exec_lo, exec_lo, s25
	s_and_saveexec_b32 s24, s7
	s_cbranch_execnz .LBB6_6810
	s_branch .LBB6_6811
.LBB6_8050:                             ;   in Loop: Header=BB6_5432 Depth=2
	s_mov_b32 s7, -1
	s_mov_b32 s26, exec_lo
                                        ; implicit-def: $sgpr24
	v_cmpx_eq_u16_e32 0x80, v41
; %bb.8051:                             ;   in Loop: Header=BB6_5432 Depth=2
	s_mov_b32 s24, 0x7f800001
	s_xor_b32 s7, exec_lo, -1
; %bb.8052:                             ;   in Loop: Header=BB6_5432 Depth=2
	s_or_b32 exec_lo, exec_lo, s26
	s_delay_alu instid0(SALU_CYCLE_1)
	s_and_b32 s7, s7, exec_lo
	s_or_saveexec_b32 s25, s25
	v_mov_b32_e32 v25, s24
	s_xor_b32 exec_lo, exec_lo, s25
	s_cbranch_execz .LBB6_6813
.LBB6_8053:                             ;   in Loop: Header=BB6_5432 Depth=2
	v_cmp_ne_u16_e32 vcc_lo, 0, v41
	v_mov_b32_e32 v25, 0
	s_and_not1_b32 s7, s7, exec_lo
	s_and_b32 s24, vcc_lo, exec_lo
	s_delay_alu instid0(SALU_CYCLE_1)
	s_or_b32 s7, s7, s24
	s_or_b32 exec_lo, exec_lo, s25
	s_and_saveexec_b32 s24, s7
	s_cbranch_execnz .LBB6_6814
	s_branch .LBB6_6815
.LBB6_8054:                             ;   in Loop: Header=BB6_5432 Depth=2
	s_mov_b32 s7, -1
	s_mov_b32 s26, exec_lo
                                        ; implicit-def: $sgpr24
	v_cmpx_eq_u16_e32 0x80, v41
; %bb.8055:                             ;   in Loop: Header=BB6_5432 Depth=2
	s_mov_b32 s24, 0x7f800001
	s_xor_b32 s7, exec_lo, -1
; %bb.8056:                             ;   in Loop: Header=BB6_5432 Depth=2
	s_or_b32 exec_lo, exec_lo, s26
	s_delay_alu instid0(SALU_CYCLE_1)
	s_and_b32 s7, s7, exec_lo
                                        ; implicit-def: $vgpr41
	s_or_saveexec_b32 s25, s25
	v_mov_b32_e32 v25, s24
	s_xor_b32 exec_lo, exec_lo, s25
	s_cbranch_execz .LBB6_6827
.LBB6_8057:                             ;   in Loop: Header=BB6_5432 Depth=2
	v_cmp_ne_u16_e32 vcc_lo, 0, v41
	v_mov_b32_e32 v25, 0
	s_and_not1_b32 s7, s7, exec_lo
	s_and_b32 s24, vcc_lo, exec_lo
	s_delay_alu instid0(SALU_CYCLE_1)
	s_or_b32 s7, s7, s24
	s_or_b32 exec_lo, exec_lo, s25
	s_and_saveexec_b32 s24, s7
	s_cbranch_execnz .LBB6_6828
	s_branch .LBB6_6829
.LBB6_8058:                             ;   in Loop: Header=BB6_5432 Depth=2
	s_mov_b32 s7, -1
	s_mov_b32 s26, exec_lo
                                        ; implicit-def: $sgpr24
	v_cmpx_eq_u16_e32 0x80, v42
; %bb.8059:                             ;   in Loop: Header=BB6_5432 Depth=2
	s_mov_b32 s24, 0x7f800001
	s_xor_b32 s7, exec_lo, -1
; %bb.8060:                             ;   in Loop: Header=BB6_5432 Depth=2
	s_or_b32 exec_lo, exec_lo, s26
	s_delay_alu instid0(SALU_CYCLE_1)
	s_and_b32 s7, s7, exec_lo
                                        ; implicit-def: $vgpr42
	s_or_saveexec_b32 s25, s25
	v_mov_b32_e32 v41, s24
	s_xor_b32 exec_lo, exec_lo, s25
	s_cbranch_execz .LBB6_6831
.LBB6_8061:                             ;   in Loop: Header=BB6_5432 Depth=2
	v_cmp_ne_u16_e32 vcc_lo, 0, v42
	v_mov_b32_e32 v41, 0
	s_and_not1_b32 s7, s7, exec_lo
	s_and_b32 s24, vcc_lo, exec_lo
	s_delay_alu instid0(SALU_CYCLE_1)
	s_or_b32 s7, s7, s24
	s_or_b32 exec_lo, exec_lo, s25
	s_and_saveexec_b32 s24, s7
	s_cbranch_execnz .LBB6_6832
	s_branch .LBB6_6833
.LBB6_8062:                             ;   in Loop: Header=BB6_5432 Depth=2
	s_mov_b32 s7, -1
	s_mov_b32 s26, exec_lo
                                        ; implicit-def: $sgpr24
	v_cmpx_eq_u16_e32 0x80, v41
; %bb.8063:                             ;   in Loop: Header=BB6_5432 Depth=2
	s_mov_b32 s24, 0x7f800001
	s_xor_b32 s7, exec_lo, -1
; %bb.8064:                             ;   in Loop: Header=BB6_5432 Depth=2
	s_or_b32 exec_lo, exec_lo, s26
	s_delay_alu instid0(SALU_CYCLE_1)
	s_and_b32 s7, s7, exec_lo
                                        ; implicit-def: $vgpr41
	s_or_saveexec_b32 s25, s25
	v_mov_b32_e32 v25, s24
	s_xor_b32 exec_lo, exec_lo, s25
	s_cbranch_execz .LBB6_6838
.LBB6_8065:                             ;   in Loop: Header=BB6_5432 Depth=2
	v_cmp_ne_u16_e32 vcc_lo, 0, v41
	v_mov_b32_e32 v25, 0
	s_and_not1_b32 s7, s7, exec_lo
	s_and_b32 s24, vcc_lo, exec_lo
	s_delay_alu instid0(SALU_CYCLE_1)
	s_or_b32 s7, s7, s24
	s_or_b32 exec_lo, exec_lo, s25
	s_and_saveexec_b32 s24, s7
	s_cbranch_execnz .LBB6_6839
	s_branch .LBB6_6840
.LBB6_8066:                             ;   in Loop: Header=BB6_5432 Depth=2
	s_mov_b32 s7, -1
	s_mov_b32 s26, exec_lo
                                        ; implicit-def: $sgpr24
	v_cmpx_eq_u16_e32 0x80, v42
; %bb.8067:                             ;   in Loop: Header=BB6_5432 Depth=2
	s_mov_b32 s24, 0x7f800001
	s_xor_b32 s7, exec_lo, -1
; %bb.8068:                             ;   in Loop: Header=BB6_5432 Depth=2
	s_or_b32 exec_lo, exec_lo, s26
	s_delay_alu instid0(SALU_CYCLE_1)
	s_and_b32 s7, s7, exec_lo
                                        ; implicit-def: $vgpr42
	s_or_saveexec_b32 s25, s25
	v_mov_b32_e32 v41, s24
	s_xor_b32 exec_lo, exec_lo, s25
	s_cbranch_execz .LBB6_6842
.LBB6_8069:                             ;   in Loop: Header=BB6_5432 Depth=2
	v_cmp_ne_u16_e32 vcc_lo, 0, v42
	v_mov_b32_e32 v41, 0
	s_and_not1_b32 s7, s7, exec_lo
	s_and_b32 s24, vcc_lo, exec_lo
	s_delay_alu instid0(SALU_CYCLE_1)
	s_or_b32 s7, s7, s24
	s_or_b32 exec_lo, exec_lo, s25
	s_and_saveexec_b32 s24, s7
	s_cbranch_execnz .LBB6_6843
	s_branch .LBB6_6844
.LBB6_8070:                             ;   in Loop: Header=BB6_5432 Depth=2
	s_mov_b32 s7, -1
	s_mov_b32 s26, exec_lo
                                        ; implicit-def: $sgpr24
	v_cmpx_eq_u16_e32 0x80, v42
; %bb.8071:                             ;   in Loop: Header=BB6_5432 Depth=2
	s_mov_b32 s24, 0x7f800001
	s_xor_b32 s7, exec_lo, -1
; %bb.8072:                             ;   in Loop: Header=BB6_5432 Depth=2
	s_or_b32 exec_lo, exec_lo, s26
	s_delay_alu instid0(SALU_CYCLE_1)
	s_and_b32 s7, s7, exec_lo
	s_or_saveexec_b32 s25, s25
	v_mov_b32_e32 v43, s24
	s_xor_b32 exec_lo, exec_lo, s25
	s_cbranch_execz .LBB6_6856
.LBB6_8073:                             ;   in Loop: Header=BB6_5432 Depth=2
	v_cmp_ne_u16_e32 vcc_lo, 0, v42
	v_mov_b32_e32 v43, 0
	s_and_not1_b32 s7, s7, exec_lo
	s_and_b32 s24, vcc_lo, exec_lo
	s_delay_alu instid0(SALU_CYCLE_1)
	s_or_b32 s7, s7, s24
	s_or_b32 exec_lo, exec_lo, s25
	s_and_saveexec_b32 s24, s7
	s_cbranch_execnz .LBB6_6857
	s_branch .LBB6_6858
.LBB6_8074:                             ;   in Loop: Header=BB6_5432 Depth=2
	s_mov_b32 s7, -1
	s_mov_b32 s26, exec_lo
                                        ; implicit-def: $sgpr24
	v_cmpx_eq_u16_e32 0x80, v41
; %bb.8075:                             ;   in Loop: Header=BB6_5432 Depth=2
	s_mov_b32 s24, 0x7f800001
	s_xor_b32 s7, exec_lo, -1
; %bb.8076:                             ;   in Loop: Header=BB6_5432 Depth=2
	s_or_b32 exec_lo, exec_lo, s26
	s_delay_alu instid0(SALU_CYCLE_1)
	s_and_b32 s7, s7, exec_lo
	s_or_saveexec_b32 s25, s25
	v_mov_b32_e32 v44, s24
	s_xor_b32 exec_lo, exec_lo, s25
	s_cbranch_execz .LBB6_6860
.LBB6_8077:                             ;   in Loop: Header=BB6_5432 Depth=2
	v_cmp_ne_u16_e32 vcc_lo, 0, v41
	v_mov_b32_e32 v44, 0
	s_and_not1_b32 s7, s7, exec_lo
	s_and_b32 s24, vcc_lo, exec_lo
	s_delay_alu instid0(SALU_CYCLE_1)
	s_or_b32 s7, s7, s24
	s_or_b32 exec_lo, exec_lo, s25
	s_and_saveexec_b32 s24, s7
	s_cbranch_execnz .LBB6_6861
	s_branch .LBB6_6862
.LBB6_8078:                             ;   in Loop: Header=BB6_5432 Depth=2
	s_mov_b32 s7, -1
	s_mov_b32 s26, exec_lo
                                        ; implicit-def: $sgpr24
	v_cmpx_eq_u16_e32 0x80, v42
; %bb.8079:                             ;   in Loop: Header=BB6_5432 Depth=2
	s_mov_b32 s24, 0x7f800001
	s_xor_b32 s7, exec_lo, -1
; %bb.8080:                             ;   in Loop: Header=BB6_5432 Depth=2
	s_or_b32 exec_lo, exec_lo, s26
	s_delay_alu instid0(SALU_CYCLE_1)
	s_and_b32 s7, s7, exec_lo
	s_or_saveexec_b32 s25, s25
	v_mov_b32_e32 v43, s24
	s_xor_b32 exec_lo, exec_lo, s25
	s_cbranch_execz .LBB6_6867
.LBB6_8081:                             ;   in Loop: Header=BB6_5432 Depth=2
	v_cmp_ne_u16_e32 vcc_lo, 0, v42
	v_mov_b32_e32 v43, 0
	s_and_not1_b32 s7, s7, exec_lo
	s_and_b32 s24, vcc_lo, exec_lo
	s_delay_alu instid0(SALU_CYCLE_1)
	s_or_b32 s7, s7, s24
	s_or_b32 exec_lo, exec_lo, s25
	s_and_saveexec_b32 s24, s7
	s_cbranch_execnz .LBB6_6868
	s_branch .LBB6_6869
.LBB6_8082:                             ;   in Loop: Header=BB6_5432 Depth=2
	s_mov_b32 s7, -1
	s_mov_b32 s26, exec_lo
                                        ; implicit-def: $sgpr24
	v_cmpx_eq_u16_e32 0x80, v41
; %bb.8083:                             ;   in Loop: Header=BB6_5432 Depth=2
	s_mov_b32 s24, 0x7f800001
	s_xor_b32 s7, exec_lo, -1
; %bb.8084:                             ;   in Loop: Header=BB6_5432 Depth=2
	s_or_b32 exec_lo, exec_lo, s26
	s_delay_alu instid0(SALU_CYCLE_1)
	s_and_b32 s7, s7, exec_lo
	s_or_saveexec_b32 s25, s25
	v_mov_b32_e32 v42, s24
	s_xor_b32 exec_lo, exec_lo, s25
	s_cbranch_execz .LBB6_6871
.LBB6_8085:                             ;   in Loop: Header=BB6_5432 Depth=2
	v_cmp_ne_u16_e32 vcc_lo, 0, v41
	v_mov_b32_e32 v42, 0
	s_and_not1_b32 s7, s7, exec_lo
	s_and_b32 s24, vcc_lo, exec_lo
	s_delay_alu instid0(SALU_CYCLE_1)
	s_or_b32 s7, s7, s24
	s_or_b32 exec_lo, exec_lo, s25
	s_and_saveexec_b32 s24, s7
	s_cbranch_execnz .LBB6_6872
	s_branch .LBB6_6873
.LBB6_8086:                             ;   in Loop: Header=BB6_5432 Depth=2
	s_mov_b32 s7, -1
	s_mov_b32 s26, exec_lo
                                        ; implicit-def: $sgpr24
	v_cmpx_eq_u16_e32 0x80, v45
; %bb.8087:                             ;   in Loop: Header=BB6_5432 Depth=2
	s_mov_b32 s24, 0x7f800001
	s_xor_b32 s7, exec_lo, -1
; %bb.8088:                             ;   in Loop: Header=BB6_5432 Depth=2
	s_or_b32 exec_lo, exec_lo, s26
	s_delay_alu instid0(SALU_CYCLE_1)
	s_and_b32 s7, s7, exec_lo
                                        ; implicit-def: $vgpr45
	s_or_saveexec_b32 s25, s25
	v_mov_b32_e32 v44, s24
	s_xor_b32 exec_lo, exec_lo, s25
	s_cbranch_execz .LBB6_6885
.LBB6_8089:                             ;   in Loop: Header=BB6_5432 Depth=2
	v_cmp_ne_u16_e32 vcc_lo, 0, v45
	v_mov_b32_e32 v44, 0
	s_and_not1_b32 s7, s7, exec_lo
	s_and_b32 s24, vcc_lo, exec_lo
	s_delay_alu instid0(SALU_CYCLE_1)
	s_or_b32 s7, s7, s24
	s_or_b32 exec_lo, exec_lo, s25
	s_and_saveexec_b32 s24, s7
	s_cbranch_execnz .LBB6_6886
	s_branch .LBB6_6887
.LBB6_8090:                             ;   in Loop: Header=BB6_5432 Depth=2
	s_mov_b32 s7, -1
	s_mov_b32 s26, exec_lo
                                        ; implicit-def: $sgpr24
	v_cmpx_eq_u16_e32 0x80, v46
; %bb.8091:                             ;   in Loop: Header=BB6_5432 Depth=2
	s_mov_b32 s24, 0x7f800001
	s_xor_b32 s7, exec_lo, -1
; %bb.8092:                             ;   in Loop: Header=BB6_5432 Depth=2
	s_or_b32 exec_lo, exec_lo, s26
	s_delay_alu instid0(SALU_CYCLE_1)
	s_and_b32 s7, s7, exec_lo
                                        ; implicit-def: $vgpr46
	s_or_saveexec_b32 s25, s25
	v_mov_b32_e32 v45, s24
	s_xor_b32 exec_lo, exec_lo, s25
	s_cbranch_execz .LBB6_6889
.LBB6_8093:                             ;   in Loop: Header=BB6_5432 Depth=2
	v_cmp_ne_u16_e32 vcc_lo, 0, v46
	v_mov_b32_e32 v45, 0
	s_and_not1_b32 s7, s7, exec_lo
	s_and_b32 s24, vcc_lo, exec_lo
	s_delay_alu instid0(SALU_CYCLE_1)
	s_or_b32 s7, s7, s24
	s_or_b32 exec_lo, exec_lo, s25
	s_and_saveexec_b32 s24, s7
	s_cbranch_execnz .LBB6_6890
	s_branch .LBB6_6891
.LBB6_8094:                             ;   in Loop: Header=BB6_5432 Depth=2
	s_mov_b32 s7, -1
	s_mov_b32 s26, exec_lo
                                        ; implicit-def: $sgpr24
	v_cmpx_eq_u16_e32 0x80, v45
; %bb.8095:                             ;   in Loop: Header=BB6_5432 Depth=2
	s_mov_b32 s24, 0x7f800001
	s_xor_b32 s7, exec_lo, -1
; %bb.8096:                             ;   in Loop: Header=BB6_5432 Depth=2
	s_or_b32 exec_lo, exec_lo, s26
	s_delay_alu instid0(SALU_CYCLE_1)
	s_and_b32 s7, s7, exec_lo
                                        ; implicit-def: $vgpr45
	s_or_saveexec_b32 s25, s25
	v_mov_b32_e32 v44, s24
	s_xor_b32 exec_lo, exec_lo, s25
	s_cbranch_execz .LBB6_6896
.LBB6_8097:                             ;   in Loop: Header=BB6_5432 Depth=2
	v_cmp_ne_u16_e32 vcc_lo, 0, v45
	v_mov_b32_e32 v44, 0
	s_and_not1_b32 s7, s7, exec_lo
	s_and_b32 s24, vcc_lo, exec_lo
	s_delay_alu instid0(SALU_CYCLE_1)
	s_or_b32 s7, s7, s24
	s_or_b32 exec_lo, exec_lo, s25
	s_and_saveexec_b32 s24, s7
	s_cbranch_execnz .LBB6_6897
	s_branch .LBB6_6898
.LBB6_8098:                             ;   in Loop: Header=BB6_5432 Depth=2
	s_mov_b32 s7, -1
	s_mov_b32 s26, exec_lo
                                        ; implicit-def: $sgpr24
	v_cmpx_eq_u16_e32 0x80, v45
; %bb.8099:                             ;   in Loop: Header=BB6_5432 Depth=2
	s_mov_b32 s24, 0x7f800001
	s_xor_b32 s7, exec_lo, -1
; %bb.8100:                             ;   in Loop: Header=BB6_5432 Depth=2
	s_or_b32 exec_lo, exec_lo, s26
	s_delay_alu instid0(SALU_CYCLE_1)
	s_and_b32 s7, s7, exec_lo
                                        ; implicit-def: $vgpr45
	s_or_saveexec_b32 s25, s25
	v_mov_b32_e32 v43, s24
	s_xor_b32 exec_lo, exec_lo, s25
	s_cbranch_execz .LBB6_6900
.LBB6_8101:                             ;   in Loop: Header=BB6_5432 Depth=2
	v_cmp_ne_u16_e32 vcc_lo, 0, v45
	v_mov_b32_e32 v43, 0
	s_and_not1_b32 s7, s7, exec_lo
	s_and_b32 s24, vcc_lo, exec_lo
	s_delay_alu instid0(SALU_CYCLE_1)
	s_or_b32 s7, s7, s24
	s_or_b32 exec_lo, exec_lo, s25
	s_and_saveexec_b32 s24, s7
	s_cbranch_execnz .LBB6_6901
	s_branch .LBB6_6902
.LBB6_8102:                             ;   in Loop: Header=BB6_5432 Depth=2
	s_mov_b32 s7, -1
	s_mov_b32 s26, exec_lo
                                        ; implicit-def: $sgpr24
	v_cmpx_eq_u16_e32 0x80, v44
; %bb.8103:                             ;   in Loop: Header=BB6_5432 Depth=2
	s_mov_b32 s24, 0x7f800001
	s_xor_b32 s7, exec_lo, -1
; %bb.8104:                             ;   in Loop: Header=BB6_5432 Depth=2
	s_or_b32 exec_lo, exec_lo, s26
	s_delay_alu instid0(SALU_CYCLE_1)
	s_and_b32 s7, s7, exec_lo
	s_or_saveexec_b32 s25, s25
	v_mov_b32_e32 v45, s24
	s_xor_b32 exec_lo, exec_lo, s25
	s_cbranch_execz .LBB6_6914
.LBB6_8105:                             ;   in Loop: Header=BB6_5432 Depth=2
	v_cmp_ne_u16_e32 vcc_lo, 0, v44
	v_mov_b32_e32 v45, 0
	s_and_not1_b32 s7, s7, exec_lo
	s_and_b32 s24, vcc_lo, exec_lo
	s_delay_alu instid0(SALU_CYCLE_1)
	s_or_b32 s7, s7, s24
	s_or_b32 exec_lo, exec_lo, s25
	s_and_saveexec_b32 s24, s7
	s_cbranch_execnz .LBB6_6915
	s_branch .LBB6_6916
.LBB6_8106:                             ;   in Loop: Header=BB6_5432 Depth=2
	s_mov_b32 s7, -1
	s_mov_b32 s26, exec_lo
                                        ; implicit-def: $sgpr24
	v_cmpx_eq_u16_e32 0x80, v43
; %bb.8107:                             ;   in Loop: Header=BB6_5432 Depth=2
	s_mov_b32 s24, 0x7f800001
	s_xor_b32 s7, exec_lo, -1
; %bb.8108:                             ;   in Loop: Header=BB6_5432 Depth=2
	s_or_b32 exec_lo, exec_lo, s26
	s_delay_alu instid0(SALU_CYCLE_1)
	s_and_b32 s7, s7, exec_lo
	s_or_saveexec_b32 s25, s25
	v_mov_b32_e32 v46, s24
	s_xor_b32 exec_lo, exec_lo, s25
	s_cbranch_execz .LBB6_6918
.LBB6_8109:                             ;   in Loop: Header=BB6_5432 Depth=2
	v_cmp_ne_u16_e32 vcc_lo, 0, v43
	v_mov_b32_e32 v46, 0
	s_and_not1_b32 s7, s7, exec_lo
	s_and_b32 s24, vcc_lo, exec_lo
	s_delay_alu instid0(SALU_CYCLE_1)
	s_or_b32 s7, s7, s24
	s_or_b32 exec_lo, exec_lo, s25
	s_and_saveexec_b32 s24, s7
	s_cbranch_execnz .LBB6_6919
	s_branch .LBB6_6920
.LBB6_8110:                             ;   in Loop: Header=BB6_5432 Depth=2
	s_mov_b32 s7, -1
	s_mov_b32 s26, exec_lo
                                        ; implicit-def: $sgpr24
	v_cmpx_eq_u16_e32 0x80, v44
; %bb.8111:                             ;   in Loop: Header=BB6_5432 Depth=2
	s_mov_b32 s24, 0x7f800001
	s_xor_b32 s7, exec_lo, -1
; %bb.8112:                             ;   in Loop: Header=BB6_5432 Depth=2
	s_or_b32 exec_lo, exec_lo, s26
	s_delay_alu instid0(SALU_CYCLE_1)
	s_and_b32 s7, s7, exec_lo
	s_or_saveexec_b32 s25, s25
	v_mov_b32_e32 v45, s24
	s_xor_b32 exec_lo, exec_lo, s25
	s_cbranch_execz .LBB6_6925
.LBB6_8113:                             ;   in Loop: Header=BB6_5432 Depth=2
	v_cmp_ne_u16_e32 vcc_lo, 0, v44
	v_mov_b32_e32 v45, 0
	s_and_not1_b32 s7, s7, exec_lo
	s_and_b32 s24, vcc_lo, exec_lo
	s_delay_alu instid0(SALU_CYCLE_1)
	s_or_b32 s7, s7, s24
	s_or_b32 exec_lo, exec_lo, s25
	s_and_saveexec_b32 s24, s7
	s_cbranch_execnz .LBB6_6926
	s_branch .LBB6_6927
.LBB6_8114:                             ;   in Loop: Header=BB6_5432 Depth=2
	s_mov_b32 s7, -1
	s_mov_b32 s26, exec_lo
                                        ; implicit-def: $sgpr24
	v_cmpx_eq_u16_e32 0x80, v43
; %bb.8115:                             ;   in Loop: Header=BB6_5432 Depth=2
	s_mov_b32 s24, 0x7f800001
	s_xor_b32 s7, exec_lo, -1
; %bb.8116:                             ;   in Loop: Header=BB6_5432 Depth=2
	s_or_b32 exec_lo, exec_lo, s26
	s_delay_alu instid0(SALU_CYCLE_1)
	s_and_b32 s7, s7, exec_lo
	s_or_saveexec_b32 s25, s25
	v_mov_b32_e32 v14, s24
	s_xor_b32 exec_lo, exec_lo, s25
	s_cbranch_execz .LBB6_6929
.LBB6_8117:                             ;   in Loop: Header=BB6_5432 Depth=2
	v_cmp_ne_u16_e32 vcc_lo, 0, v43
	v_mov_b32_e32 v14, 0
	s_and_not1_b32 s7, s7, exec_lo
	s_and_b32 s24, vcc_lo, exec_lo
	s_delay_alu instid0(SALU_CYCLE_1)
	s_or_b32 s7, s7, s24
	s_or_b32 exec_lo, exec_lo, s25
	s_and_saveexec_b32 s24, s7
	s_cbranch_execnz .LBB6_6930
	s_branch .LBB6_6931
.LBB6_8118:                             ;   in Loop: Header=BB6_5432 Depth=2
	s_mov_b32 s7, -1
	s_mov_b32 s26, exec_lo
                                        ; implicit-def: $sgpr24
	v_cmpx_eq_u16_e32 0x80, v43
; %bb.8119:                             ;   in Loop: Header=BB6_5432 Depth=2
	s_mov_b32 s24, 0x7f800001
	s_xor_b32 s7, exec_lo, -1
; %bb.8120:                             ;   in Loop: Header=BB6_5432 Depth=2
	s_or_b32 exec_lo, exec_lo, s26
	s_delay_alu instid0(SALU_CYCLE_1)
	s_and_b32 s7, s7, exec_lo
                                        ; implicit-def: $vgpr43
	s_or_saveexec_b32 s25, s25
	v_mov_b32_e32 v14, s24
	s_xor_b32 exec_lo, exec_lo, s25
	s_cbranch_execz .LBB6_6943
.LBB6_8121:                             ;   in Loop: Header=BB6_5432 Depth=2
	v_cmp_ne_u16_e32 vcc_lo, 0, v43
	v_mov_b32_e32 v14, 0
	s_and_not1_b32 s7, s7, exec_lo
	s_and_b32 s24, vcc_lo, exec_lo
	s_delay_alu instid0(SALU_CYCLE_1)
	s_or_b32 s7, s7, s24
	s_or_b32 exec_lo, exec_lo, s25
	s_and_saveexec_b32 s24, s7
	s_cbranch_execnz .LBB6_6944
	s_branch .LBB6_6945
.LBB6_8122:                             ;   in Loop: Header=BB6_5432 Depth=2
	s_mov_b32 s7, -1
	s_mov_b32 s26, exec_lo
                                        ; implicit-def: $sgpr24
	v_cmpx_eq_u16_e32 0x80, v44
; %bb.8123:                             ;   in Loop: Header=BB6_5432 Depth=2
	s_mov_b32 s24, 0x7f800001
	s_xor_b32 s7, exec_lo, -1
; %bb.8124:                             ;   in Loop: Header=BB6_5432 Depth=2
	s_or_b32 exec_lo, exec_lo, s26
	s_delay_alu instid0(SALU_CYCLE_1)
	s_and_b32 s7, s7, exec_lo
                                        ; implicit-def: $vgpr44
	s_or_saveexec_b32 s25, s25
	v_mov_b32_e32 v43, s24
	s_xor_b32 exec_lo, exec_lo, s25
	s_cbranch_execz .LBB6_6947
.LBB6_8125:                             ;   in Loop: Header=BB6_5432 Depth=2
	v_cmp_ne_u16_e32 vcc_lo, 0, v44
	v_mov_b32_e32 v43, 0
	s_and_not1_b32 s7, s7, exec_lo
	s_and_b32 s24, vcc_lo, exec_lo
	s_delay_alu instid0(SALU_CYCLE_1)
	s_or_b32 s7, s7, s24
	s_or_b32 exec_lo, exec_lo, s25
	s_and_saveexec_b32 s24, s7
	s_cbranch_execnz .LBB6_6948
	s_branch .LBB6_6949
.LBB6_8126:                             ;   in Loop: Header=BB6_5432 Depth=2
	s_mov_b32 s7, -1
	s_mov_b32 s26, exec_lo
                                        ; implicit-def: $sgpr24
	v_cmpx_eq_u16_e32 0x80, v43
; %bb.8127:                             ;   in Loop: Header=BB6_5432 Depth=2
	s_mov_b32 s24, 0x7f800001
	s_xor_b32 s7, exec_lo, -1
; %bb.8128:                             ;   in Loop: Header=BB6_5432 Depth=2
	s_or_b32 exec_lo, exec_lo, s26
	s_delay_alu instid0(SALU_CYCLE_1)
	s_and_b32 s7, s7, exec_lo
                                        ; implicit-def: $vgpr43
	s_or_saveexec_b32 s25, s25
	v_mov_b32_e32 v14, s24
	s_xor_b32 exec_lo, exec_lo, s25
	s_cbranch_execz .LBB6_6954
.LBB6_8129:                             ;   in Loop: Header=BB6_5432 Depth=2
	v_cmp_ne_u16_e32 vcc_lo, 0, v43
	v_mov_b32_e32 v14, 0
	s_and_not1_b32 s7, s7, exec_lo
	s_and_b32 s24, vcc_lo, exec_lo
	s_delay_alu instid0(SALU_CYCLE_1)
	s_or_b32 s7, s7, s24
	s_or_b32 exec_lo, exec_lo, s25
	s_and_saveexec_b32 s24, s7
	s_cbranch_execnz .LBB6_6955
	s_branch .LBB6_6956
.LBB6_8130:                             ;   in Loop: Header=BB6_5432 Depth=2
	s_mov_b32 s7, -1
	s_mov_b32 s26, exec_lo
                                        ; implicit-def: $sgpr24
	v_cmpx_eq_u16_e32 0x80, v44
; %bb.8131:                             ;   in Loop: Header=BB6_5432 Depth=2
	s_mov_b32 s24, 0x7f800001
	s_xor_b32 s7, exec_lo, -1
; %bb.8132:                             ;   in Loop: Header=BB6_5432 Depth=2
	s_or_b32 exec_lo, exec_lo, s26
	s_delay_alu instid0(SALU_CYCLE_1)
	s_and_b32 s7, s7, exec_lo
                                        ; implicit-def: $vgpr44
	s_or_saveexec_b32 s25, s25
	v_mov_b32_e32 v43, s24
	s_xor_b32 exec_lo, exec_lo, s25
	s_cbranch_execz .LBB6_6958
.LBB6_8133:                             ;   in Loop: Header=BB6_5432 Depth=2
	v_cmp_ne_u16_e32 vcc_lo, 0, v44
	v_mov_b32_e32 v43, 0
	s_and_not1_b32 s7, s7, exec_lo
	s_and_b32 s24, vcc_lo, exec_lo
	s_delay_alu instid0(SALU_CYCLE_1)
	s_or_b32 s7, s7, s24
	s_or_b32 exec_lo, exec_lo, s25
	s_and_saveexec_b32 s24, s7
	s_cbranch_execnz .LBB6_6959
	s_branch .LBB6_6960
.LBB6_8134:                             ;   in Loop: Header=BB6_5432 Depth=2
	s_mov_b32 s7, -1
	s_mov_b32 s26, exec_lo
                                        ; implicit-def: $sgpr24
	v_cmpx_eq_u16_e32 0x80, v44
; %bb.8135:                             ;   in Loop: Header=BB6_5432 Depth=2
	s_mov_b32 s24, 0x7f800001
	s_xor_b32 s7, exec_lo, -1
; %bb.8136:                             ;   in Loop: Header=BB6_5432 Depth=2
	s_or_b32 exec_lo, exec_lo, s26
	s_delay_alu instid0(SALU_CYCLE_1)
	s_and_b32 s7, s7, exec_lo
	s_or_saveexec_b32 s25, s25
	v_mov_b32_e32 v45, s24
	s_xor_b32 exec_lo, exec_lo, s25
	s_cbranch_execz .LBB6_6972
.LBB6_8137:                             ;   in Loop: Header=BB6_5432 Depth=2
	v_cmp_ne_u16_e32 vcc_lo, 0, v44
	v_mov_b32_e32 v45, 0
	s_and_not1_b32 s7, s7, exec_lo
	s_and_b32 s24, vcc_lo, exec_lo
	s_delay_alu instid0(SALU_CYCLE_1)
	s_or_b32 s7, s7, s24
	s_or_b32 exec_lo, exec_lo, s25
	s_and_saveexec_b32 s24, s7
	s_cbranch_execnz .LBB6_6973
	s_branch .LBB6_6974
.LBB6_8138:                             ;   in Loop: Header=BB6_5432 Depth=2
	s_mov_b32 s7, -1
	s_mov_b32 s26, exec_lo
                                        ; implicit-def: $sgpr24
	v_cmpx_eq_u16_e32 0x80, v43
; %bb.8139:                             ;   in Loop: Header=BB6_5432 Depth=2
	s_mov_b32 s24, 0x7f800001
	s_xor_b32 s7, exec_lo, -1
; %bb.8140:                             ;   in Loop: Header=BB6_5432 Depth=2
	s_or_b32 exec_lo, exec_lo, s26
	s_delay_alu instid0(SALU_CYCLE_1)
	s_and_b32 s7, s7, exec_lo
	s_or_saveexec_b32 s25, s25
	v_mov_b32_e32 v46, s24
	s_xor_b32 exec_lo, exec_lo, s25
	s_cbranch_execz .LBB6_6976
.LBB6_8141:                             ;   in Loop: Header=BB6_5432 Depth=2
	v_cmp_ne_u16_e32 vcc_lo, 0, v43
	v_mov_b32_e32 v46, 0
	s_and_not1_b32 s7, s7, exec_lo
	s_and_b32 s24, vcc_lo, exec_lo
	s_delay_alu instid0(SALU_CYCLE_1)
	s_or_b32 s7, s7, s24
	s_or_b32 exec_lo, exec_lo, s25
	s_and_saveexec_b32 s24, s7
	s_cbranch_execnz .LBB6_6977
	s_branch .LBB6_6978
.LBB6_8142:                             ;   in Loop: Header=BB6_5432 Depth=2
	s_mov_b32 s7, -1
	s_mov_b32 s26, exec_lo
                                        ; implicit-def: $sgpr24
	v_cmpx_eq_u16_e32 0x80, v44
; %bb.8143:                             ;   in Loop: Header=BB6_5432 Depth=2
	s_mov_b32 s24, 0x7f800001
	s_xor_b32 s7, exec_lo, -1
; %bb.8144:                             ;   in Loop: Header=BB6_5432 Depth=2
	s_or_b32 exec_lo, exec_lo, s26
	s_delay_alu instid0(SALU_CYCLE_1)
	s_and_b32 s7, s7, exec_lo
	s_or_saveexec_b32 s25, s25
	v_mov_b32_e32 v45, s24
	s_xor_b32 exec_lo, exec_lo, s25
	s_cbranch_execz .LBB6_6983
.LBB6_8145:                             ;   in Loop: Header=BB6_5432 Depth=2
	v_cmp_ne_u16_e32 vcc_lo, 0, v44
	v_mov_b32_e32 v45, 0
	s_and_not1_b32 s7, s7, exec_lo
	s_and_b32 s24, vcc_lo, exec_lo
	s_delay_alu instid0(SALU_CYCLE_1)
	s_or_b32 s7, s7, s24
	s_or_b32 exec_lo, exec_lo, s25
	s_and_saveexec_b32 s24, s7
	s_cbranch_execnz .LBB6_6984
	s_branch .LBB6_6985
.LBB6_8146:                             ;   in Loop: Header=BB6_5432 Depth=2
	s_mov_b32 s7, -1
	s_mov_b32 s26, exec_lo
                                        ; implicit-def: $sgpr24
	v_cmpx_eq_u16_e32 0x80, v43
; %bb.8147:                             ;   in Loop: Header=BB6_5432 Depth=2
	s_mov_b32 s24, 0x7f800001
	s_xor_b32 s7, exec_lo, -1
; %bb.8148:                             ;   in Loop: Header=BB6_5432 Depth=2
	s_or_b32 exec_lo, exec_lo, s26
	s_delay_alu instid0(SALU_CYCLE_1)
	s_and_b32 s7, s7, exec_lo
	s_or_saveexec_b32 s25, s25
	v_mov_b32_e32 v44, s24
	s_xor_b32 exec_lo, exec_lo, s25
	s_cbranch_execz .LBB6_6987
.LBB6_8149:                             ;   in Loop: Header=BB6_5432 Depth=2
	v_cmp_ne_u16_e32 vcc_lo, 0, v43
	v_mov_b32_e32 v44, 0
	s_and_not1_b32 s7, s7, exec_lo
	s_and_b32 s24, vcc_lo, exec_lo
	s_delay_alu instid0(SALU_CYCLE_1)
	s_or_b32 s7, s7, s24
	s_or_b32 exec_lo, exec_lo, s25
	s_and_saveexec_b32 s24, s7
	s_cbranch_execnz .LBB6_6988
	s_branch .LBB6_6989
.LBB6_8150:                             ;   in Loop: Header=BB6_5432 Depth=2
	s_mov_b32 s7, -1
	s_mov_b32 s26, exec_lo
                                        ; implicit-def: $sgpr24
	v_cmpx_eq_u16_e32 0x80, v47
; %bb.8151:                             ;   in Loop: Header=BB6_5432 Depth=2
	s_mov_b32 s24, 0x7f800001
	s_xor_b32 s7, exec_lo, -1
; %bb.8152:                             ;   in Loop: Header=BB6_5432 Depth=2
	s_or_b32 exec_lo, exec_lo, s26
	s_delay_alu instid0(SALU_CYCLE_1)
	s_and_b32 s7, s7, exec_lo
                                        ; implicit-def: $vgpr47
	s_or_saveexec_b32 s25, s25
	v_mov_b32_e32 v46, s24
	s_xor_b32 exec_lo, exec_lo, s25
	s_cbranch_execz .LBB6_7001
.LBB6_8153:                             ;   in Loop: Header=BB6_5432 Depth=2
	v_cmp_ne_u16_e32 vcc_lo, 0, v47
	v_mov_b32_e32 v46, 0
	s_and_not1_b32 s7, s7, exec_lo
	s_and_b32 s24, vcc_lo, exec_lo
	s_delay_alu instid0(SALU_CYCLE_1)
	s_or_b32 s7, s7, s24
	s_or_b32 exec_lo, exec_lo, s25
	s_and_saveexec_b32 s24, s7
	s_cbranch_execnz .LBB6_7002
	s_branch .LBB6_7003
.LBB6_8154:                             ;   in Loop: Header=BB6_5432 Depth=2
	s_mov_b32 s7, -1
	s_mov_b32 s26, exec_lo
                                        ; implicit-def: $sgpr24
	v_cmpx_eq_u16_e32 0x80, v56
; %bb.8155:                             ;   in Loop: Header=BB6_5432 Depth=2
	s_mov_b32 s24, 0x7f800001
	s_xor_b32 s7, exec_lo, -1
; %bb.8156:                             ;   in Loop: Header=BB6_5432 Depth=2
	s_or_b32 exec_lo, exec_lo, s26
	s_delay_alu instid0(SALU_CYCLE_1)
	s_and_b32 s7, s7, exec_lo
                                        ; implicit-def: $vgpr56
	s_or_saveexec_b32 s25, s25
	v_mov_b32_e32 v47, s24
	s_xor_b32 exec_lo, exec_lo, s25
	s_cbranch_execz .LBB6_7005
.LBB6_8157:                             ;   in Loop: Header=BB6_5432 Depth=2
	v_cmp_ne_u16_e32 vcc_lo, 0, v56
	v_mov_b32_e32 v47, 0
	s_and_not1_b32 s7, s7, exec_lo
	s_and_b32 s24, vcc_lo, exec_lo
	s_delay_alu instid0(SALU_CYCLE_1)
	s_or_b32 s7, s7, s24
	s_or_b32 exec_lo, exec_lo, s25
	s_and_saveexec_b32 s24, s7
	s_cbranch_execnz .LBB6_7006
	s_branch .LBB6_7007
.LBB6_8158:                             ;   in Loop: Header=BB6_5432 Depth=2
	s_mov_b32 s7, -1
	s_mov_b32 s26, exec_lo
                                        ; implicit-def: $sgpr24
	v_cmpx_eq_u16_e32 0x80, v47
; %bb.8159:                             ;   in Loop: Header=BB6_5432 Depth=2
	s_mov_b32 s24, 0x7f800001
	s_xor_b32 s7, exec_lo, -1
; %bb.8160:                             ;   in Loop: Header=BB6_5432 Depth=2
	s_or_b32 exec_lo, exec_lo, s26
	s_delay_alu instid0(SALU_CYCLE_1)
	s_and_b32 s7, s7, exec_lo
                                        ; implicit-def: $vgpr47
	s_or_saveexec_b32 s25, s25
	v_mov_b32_e32 v46, s24
	s_xor_b32 exec_lo, exec_lo, s25
	s_cbranch_execz .LBB6_7012
.LBB6_8161:                             ;   in Loop: Header=BB6_5432 Depth=2
	v_cmp_ne_u16_e32 vcc_lo, 0, v47
	v_mov_b32_e32 v46, 0
	s_and_not1_b32 s7, s7, exec_lo
	s_and_b32 s24, vcc_lo, exec_lo
	s_delay_alu instid0(SALU_CYCLE_1)
	s_or_b32 s7, s7, s24
	s_or_b32 exec_lo, exec_lo, s25
	s_and_saveexec_b32 s24, s7
	s_cbranch_execnz .LBB6_7013
	s_branch .LBB6_7014
.LBB6_8162:                             ;   in Loop: Header=BB6_5432 Depth=2
	s_mov_b32 s7, -1
	s_mov_b32 s26, exec_lo
                                        ; implicit-def: $sgpr24
	v_cmpx_eq_u16_e32 0x80, v47
; %bb.8163:                             ;   in Loop: Header=BB6_5432 Depth=2
	s_mov_b32 s24, 0x7f800001
	s_xor_b32 s7, exec_lo, -1
; %bb.8164:                             ;   in Loop: Header=BB6_5432 Depth=2
	s_or_b32 exec_lo, exec_lo, s26
	s_delay_alu instid0(SALU_CYCLE_1)
	s_and_b32 s7, s7, exec_lo
                                        ; implicit-def: $vgpr47
	s_or_saveexec_b32 s25, s25
	v_mov_b32_e32 v45, s24
	s_xor_b32 exec_lo, exec_lo, s25
	s_cbranch_execz .LBB6_7016
.LBB6_8165:                             ;   in Loop: Header=BB6_5432 Depth=2
	v_cmp_ne_u16_e32 vcc_lo, 0, v47
	v_mov_b32_e32 v45, 0
	s_and_not1_b32 s7, s7, exec_lo
	s_and_b32 s24, vcc_lo, exec_lo
	s_delay_alu instid0(SALU_CYCLE_1)
	s_or_b32 s7, s7, s24
	s_or_b32 exec_lo, exec_lo, s25
	s_and_saveexec_b32 s24, s7
	s_cbranch_execnz .LBB6_7017
	s_branch .LBB6_7018
.LBB6_8166:                             ;   in Loop: Header=BB6_5432 Depth=2
	s_mov_b32 s7, -1
	s_mov_b32 s26, exec_lo
                                        ; implicit-def: $sgpr24
	v_cmpx_eq_u16_e32 0x80, v46
; %bb.8167:                             ;   in Loop: Header=BB6_5432 Depth=2
	s_mov_b32 s24, 0x7f800001
	s_xor_b32 s7, exec_lo, -1
; %bb.8168:                             ;   in Loop: Header=BB6_5432 Depth=2
	s_or_b32 exec_lo, exec_lo, s26
	s_delay_alu instid0(SALU_CYCLE_1)
	s_and_b32 s7, s7, exec_lo
	s_or_saveexec_b32 s25, s25
	v_mov_b32_e32 v47, s24
	s_xor_b32 exec_lo, exec_lo, s25
	s_cbranch_execz .LBB6_7030
.LBB6_8169:                             ;   in Loop: Header=BB6_5432 Depth=2
	v_cmp_ne_u16_e32 vcc_lo, 0, v46
	v_mov_b32_e32 v47, 0
	s_and_not1_b32 s7, s7, exec_lo
	s_and_b32 s24, vcc_lo, exec_lo
	s_delay_alu instid0(SALU_CYCLE_1)
	s_or_b32 s7, s7, s24
	s_or_b32 exec_lo, exec_lo, s25
	s_and_saveexec_b32 s24, s7
	s_cbranch_execnz .LBB6_7031
	s_branch .LBB6_7032
.LBB6_8170:                             ;   in Loop: Header=BB6_5432 Depth=2
	s_mov_b32 s7, -1
	s_mov_b32 s26, exec_lo
                                        ; implicit-def: $sgpr24
	v_cmpx_eq_u16_e32 0x80, v45
; %bb.8171:                             ;   in Loop: Header=BB6_5432 Depth=2
	s_mov_b32 s24, 0x7f800001
	s_xor_b32 s7, exec_lo, -1
; %bb.8172:                             ;   in Loop: Header=BB6_5432 Depth=2
	s_or_b32 exec_lo, exec_lo, s26
	s_delay_alu instid0(SALU_CYCLE_1)
	s_and_b32 s7, s7, exec_lo
	s_or_saveexec_b32 s25, s25
	v_mov_b32_e32 v56, s24
	s_xor_b32 exec_lo, exec_lo, s25
	s_cbranch_execz .LBB6_7034
.LBB6_8173:                             ;   in Loop: Header=BB6_5432 Depth=2
	v_cmp_ne_u16_e32 vcc_lo, 0, v45
	v_mov_b32_e32 v56, 0
	s_and_not1_b32 s7, s7, exec_lo
	s_and_b32 s24, vcc_lo, exec_lo
	s_delay_alu instid0(SALU_CYCLE_1)
	s_or_b32 s7, s7, s24
	s_or_b32 exec_lo, exec_lo, s25
	s_and_saveexec_b32 s24, s7
	s_cbranch_execnz .LBB6_7035
	s_branch .LBB6_7036
.LBB6_8174:                             ;   in Loop: Header=BB6_5432 Depth=2
	s_mov_b32 s7, -1
	s_mov_b32 s26, exec_lo
                                        ; implicit-def: $sgpr24
	v_cmpx_eq_u16_e32 0x80, v46
; %bb.8175:                             ;   in Loop: Header=BB6_5432 Depth=2
	s_mov_b32 s24, 0x7f800001
	s_xor_b32 s7, exec_lo, -1
; %bb.8176:                             ;   in Loop: Header=BB6_5432 Depth=2
	s_or_b32 exec_lo, exec_lo, s26
	s_delay_alu instid0(SALU_CYCLE_1)
	s_and_b32 s7, s7, exec_lo
	s_or_saveexec_b32 s25, s25
	v_mov_b32_e32 v47, s24
	s_xor_b32 exec_lo, exec_lo, s25
	s_cbranch_execz .LBB6_7041
.LBB6_8177:                             ;   in Loop: Header=BB6_5432 Depth=2
	v_cmp_ne_u16_e32 vcc_lo, 0, v46
	v_mov_b32_e32 v47, 0
	s_and_not1_b32 s7, s7, exec_lo
	s_and_b32 s24, vcc_lo, exec_lo
	s_delay_alu instid0(SALU_CYCLE_1)
	s_or_b32 s7, s7, s24
	s_or_b32 exec_lo, exec_lo, s25
	s_and_saveexec_b32 s24, s7
	s_cbranch_execnz .LBB6_7042
	s_branch .LBB6_7043
.LBB6_8178:                             ;   in Loop: Header=BB6_5432 Depth=2
	s_mov_b32 s7, -1
	s_mov_b32 s26, exec_lo
                                        ; implicit-def: $sgpr24
	v_cmpx_eq_u16_e32 0x80, v45
; %bb.8179:                             ;   in Loop: Header=BB6_5432 Depth=2
	s_mov_b32 s24, 0x7f800001
	s_xor_b32 s7, exec_lo, -1
; %bb.8180:                             ;   in Loop: Header=BB6_5432 Depth=2
	s_or_b32 exec_lo, exec_lo, s26
	s_delay_alu instid0(SALU_CYCLE_1)
	s_and_b32 s7, s7, exec_lo
	s_or_saveexec_b32 s25, s25
	v_mov_b32_e32 v15, s24
	s_xor_b32 exec_lo, exec_lo, s25
	s_cbranch_execz .LBB6_7045
.LBB6_8181:                             ;   in Loop: Header=BB6_5432 Depth=2
	v_cmp_ne_u16_e32 vcc_lo, 0, v45
	v_mov_b32_e32 v15, 0
	s_and_not1_b32 s7, s7, exec_lo
	s_and_b32 s24, vcc_lo, exec_lo
	s_delay_alu instid0(SALU_CYCLE_1)
	s_or_b32 s7, s7, s24
	s_or_b32 exec_lo, exec_lo, s25
	s_and_saveexec_b32 s24, s7
	s_cbranch_execnz .LBB6_7046
	s_branch .LBB6_7047
.LBB6_8182:                             ;   in Loop: Header=BB6_5432 Depth=2
	s_mov_b32 s7, -1
	s_mov_b32 s26, exec_lo
                                        ; implicit-def: $sgpr24
	v_cmpx_eq_u16_e32 0x80, v45
; %bb.8183:                             ;   in Loop: Header=BB6_5432 Depth=2
	s_mov_b32 s24, 0x7f800001
	s_xor_b32 s7, exec_lo, -1
; %bb.8184:                             ;   in Loop: Header=BB6_5432 Depth=2
	s_or_b32 exec_lo, exec_lo, s26
	s_delay_alu instid0(SALU_CYCLE_1)
	s_and_b32 s7, s7, exec_lo
                                        ; implicit-def: $vgpr45
	s_or_saveexec_b32 s25, s25
	v_mov_b32_e32 v15, s24
	s_xor_b32 exec_lo, exec_lo, s25
	s_cbranch_execz .LBB6_7059
.LBB6_8185:                             ;   in Loop: Header=BB6_5432 Depth=2
	v_cmp_ne_u16_e32 vcc_lo, 0, v45
	v_mov_b32_e32 v15, 0
	s_and_not1_b32 s7, s7, exec_lo
	s_and_b32 s24, vcc_lo, exec_lo
	s_delay_alu instid0(SALU_CYCLE_1)
	s_or_b32 s7, s7, s24
	s_or_b32 exec_lo, exec_lo, s25
	s_and_saveexec_b32 s24, s7
	s_cbranch_execnz .LBB6_7060
	s_branch .LBB6_7061
.LBB6_8186:                             ;   in Loop: Header=BB6_5432 Depth=2
	s_mov_b32 s7, -1
	s_mov_b32 s26, exec_lo
                                        ; implicit-def: $sgpr24
	v_cmpx_eq_u16_e32 0x80, v46
; %bb.8187:                             ;   in Loop: Header=BB6_5432 Depth=2
	s_mov_b32 s24, 0x7f800001
	s_xor_b32 s7, exec_lo, -1
; %bb.8188:                             ;   in Loop: Header=BB6_5432 Depth=2
	s_or_b32 exec_lo, exec_lo, s26
	s_delay_alu instid0(SALU_CYCLE_1)
	s_and_b32 s7, s7, exec_lo
                                        ; implicit-def: $vgpr46
	s_or_saveexec_b32 s25, s25
	v_mov_b32_e32 v45, s24
	s_xor_b32 exec_lo, exec_lo, s25
	s_cbranch_execz .LBB6_7063
.LBB6_8189:                             ;   in Loop: Header=BB6_5432 Depth=2
	v_cmp_ne_u16_e32 vcc_lo, 0, v46
	v_mov_b32_e32 v45, 0
	s_and_not1_b32 s7, s7, exec_lo
	s_and_b32 s24, vcc_lo, exec_lo
	s_delay_alu instid0(SALU_CYCLE_1)
	s_or_b32 s7, s7, s24
	s_or_b32 exec_lo, exec_lo, s25
	s_and_saveexec_b32 s24, s7
	s_cbranch_execnz .LBB6_7064
	s_branch .LBB6_7065
.LBB6_8190:                             ;   in Loop: Header=BB6_5432 Depth=2
	s_mov_b32 s7, -1
	s_mov_b32 s26, exec_lo
                                        ; implicit-def: $sgpr24
	v_cmpx_eq_u16_e32 0x80, v45
; %bb.8191:                             ;   in Loop: Header=BB6_5432 Depth=2
	s_mov_b32 s24, 0x7f800001
	s_xor_b32 s7, exec_lo, -1
; %bb.8192:                             ;   in Loop: Header=BB6_5432 Depth=2
	s_or_b32 exec_lo, exec_lo, s26
	s_delay_alu instid0(SALU_CYCLE_1)
	s_and_b32 s7, s7, exec_lo
                                        ; implicit-def: $vgpr45
	s_or_saveexec_b32 s25, s25
	v_mov_b32_e32 v15, s24
	s_xor_b32 exec_lo, exec_lo, s25
	s_cbranch_execz .LBB6_7070
.LBB6_8193:                             ;   in Loop: Header=BB6_5432 Depth=2
	v_cmp_ne_u16_e32 vcc_lo, 0, v45
	v_mov_b32_e32 v15, 0
	s_and_not1_b32 s7, s7, exec_lo
	s_and_b32 s24, vcc_lo, exec_lo
	s_delay_alu instid0(SALU_CYCLE_1)
	s_or_b32 s7, s7, s24
	s_or_b32 exec_lo, exec_lo, s25
	s_and_saveexec_b32 s24, s7
	s_cbranch_execnz .LBB6_7071
	s_branch .LBB6_7072
.LBB6_8194:                             ;   in Loop: Header=BB6_5432 Depth=2
	s_mov_b32 s7, -1
	s_mov_b32 s26, exec_lo
                                        ; implicit-def: $sgpr24
	v_cmpx_eq_u16_e32 0x80, v46
; %bb.8195:                             ;   in Loop: Header=BB6_5432 Depth=2
	s_mov_b32 s24, 0x7f800001
	s_xor_b32 s7, exec_lo, -1
; %bb.8196:                             ;   in Loop: Header=BB6_5432 Depth=2
	s_or_b32 exec_lo, exec_lo, s26
	s_delay_alu instid0(SALU_CYCLE_1)
	s_and_b32 s7, s7, exec_lo
                                        ; implicit-def: $vgpr46
	s_or_saveexec_b32 s25, s25
	v_mov_b32_e32 v45, s24
	s_xor_b32 exec_lo, exec_lo, s25
	s_cbranch_execz .LBB6_7074
.LBB6_8197:                             ;   in Loop: Header=BB6_5432 Depth=2
	v_cmp_ne_u16_e32 vcc_lo, 0, v46
	v_mov_b32_e32 v45, 0
	s_and_not1_b32 s7, s7, exec_lo
	s_and_b32 s24, vcc_lo, exec_lo
	s_delay_alu instid0(SALU_CYCLE_1)
	s_or_b32 s7, s7, s24
	s_or_b32 exec_lo, exec_lo, s25
	s_and_saveexec_b32 s24, s7
	s_cbranch_execnz .LBB6_7075
	s_branch .LBB6_7076
.LBB6_8198:                             ;   in Loop: Header=BB6_5432 Depth=2
	s_mov_b32 s7, -1
	s_mov_b32 s26, exec_lo
                                        ; implicit-def: $sgpr24
	v_cmpx_eq_u16_e32 0x80, v46
; %bb.8199:                             ;   in Loop: Header=BB6_5432 Depth=2
	s_mov_b32 s24, 0x7f800001
	s_xor_b32 s7, exec_lo, -1
; %bb.8200:                             ;   in Loop: Header=BB6_5432 Depth=2
	s_or_b32 exec_lo, exec_lo, s26
	s_delay_alu instid0(SALU_CYCLE_1)
	s_and_b32 s7, s7, exec_lo
	s_or_saveexec_b32 s25, s25
	v_mov_b32_e32 v47, s24
	s_xor_b32 exec_lo, exec_lo, s25
	s_cbranch_execz .LBB6_7088
.LBB6_8201:                             ;   in Loop: Header=BB6_5432 Depth=2
	v_cmp_ne_u16_e32 vcc_lo, 0, v46
	v_mov_b32_e32 v47, 0
	s_and_not1_b32 s7, s7, exec_lo
	s_and_b32 s24, vcc_lo, exec_lo
	s_delay_alu instid0(SALU_CYCLE_1)
	s_or_b32 s7, s7, s24
	s_or_b32 exec_lo, exec_lo, s25
	s_and_saveexec_b32 s24, s7
	s_cbranch_execnz .LBB6_7089
	s_branch .LBB6_7090
.LBB6_8202:                             ;   in Loop: Header=BB6_5432 Depth=2
	s_mov_b32 s7, -1
	s_mov_b32 s26, exec_lo
                                        ; implicit-def: $sgpr24
	v_cmpx_eq_u16_e32 0x80, v45
; %bb.8203:                             ;   in Loop: Header=BB6_5432 Depth=2
	s_mov_b32 s24, 0x7f800001
	s_xor_b32 s7, exec_lo, -1
; %bb.8204:                             ;   in Loop: Header=BB6_5432 Depth=2
	s_or_b32 exec_lo, exec_lo, s26
	s_delay_alu instid0(SALU_CYCLE_1)
	s_and_b32 s7, s7, exec_lo
	s_or_saveexec_b32 s25, s25
	v_mov_b32_e32 v56, s24
	s_xor_b32 exec_lo, exec_lo, s25
	s_cbranch_execz .LBB6_7092
.LBB6_8205:                             ;   in Loop: Header=BB6_5432 Depth=2
	v_cmp_ne_u16_e32 vcc_lo, 0, v45
	v_mov_b32_e32 v56, 0
	s_and_not1_b32 s7, s7, exec_lo
	s_and_b32 s24, vcc_lo, exec_lo
	s_delay_alu instid0(SALU_CYCLE_1)
	s_or_b32 s7, s7, s24
	s_or_b32 exec_lo, exec_lo, s25
	s_and_saveexec_b32 s24, s7
	s_cbranch_execnz .LBB6_7093
	s_branch .LBB6_7094
.LBB6_8206:                             ;   in Loop: Header=BB6_5432 Depth=2
	s_mov_b32 s7, -1
	s_mov_b32 s26, exec_lo
                                        ; implicit-def: $sgpr24
	v_cmpx_eq_u16_e32 0x80, v46
; %bb.8207:                             ;   in Loop: Header=BB6_5432 Depth=2
	s_mov_b32 s24, 0x7f800001
	s_xor_b32 s7, exec_lo, -1
; %bb.8208:                             ;   in Loop: Header=BB6_5432 Depth=2
	s_or_b32 exec_lo, exec_lo, s26
	s_delay_alu instid0(SALU_CYCLE_1)
	s_and_b32 s7, s7, exec_lo
	s_or_saveexec_b32 s25, s25
	v_mov_b32_e32 v47, s24
	s_xor_b32 exec_lo, exec_lo, s25
	s_cbranch_execz .LBB6_7099
.LBB6_8209:                             ;   in Loop: Header=BB6_5432 Depth=2
	v_cmp_ne_u16_e32 vcc_lo, 0, v46
	v_mov_b32_e32 v47, 0
	s_and_not1_b32 s7, s7, exec_lo
	s_and_b32 s24, vcc_lo, exec_lo
	s_delay_alu instid0(SALU_CYCLE_1)
	s_or_b32 s7, s7, s24
	s_or_b32 exec_lo, exec_lo, s25
	s_and_saveexec_b32 s24, s7
	s_cbranch_execnz .LBB6_7100
	s_branch .LBB6_7101
.LBB6_8210:                             ;   in Loop: Header=BB6_5432 Depth=2
	s_mov_b32 s7, -1
	s_mov_b32 s26, exec_lo
                                        ; implicit-def: $sgpr24
	v_cmpx_eq_u16_e32 0x80, v45
; %bb.8211:                             ;   in Loop: Header=BB6_5432 Depth=2
	s_mov_b32 s24, 0x7f800001
	s_xor_b32 s7, exec_lo, -1
; %bb.8212:                             ;   in Loop: Header=BB6_5432 Depth=2
	s_or_b32 exec_lo, exec_lo, s26
	s_delay_alu instid0(SALU_CYCLE_1)
	s_and_b32 s7, s7, exec_lo
	s_or_saveexec_b32 s25, s25
	v_mov_b32_e32 v46, s24
	s_xor_b32 exec_lo, exec_lo, s25
	s_cbranch_execz .LBB6_7103
.LBB6_8213:                             ;   in Loop: Header=BB6_5432 Depth=2
	v_cmp_ne_u16_e32 vcc_lo, 0, v45
	v_mov_b32_e32 v46, 0
	s_and_not1_b32 s7, s7, exec_lo
	s_and_b32 s24, vcc_lo, exec_lo
	s_delay_alu instid0(SALU_CYCLE_1)
	s_or_b32 s7, s7, s24
	s_or_b32 exec_lo, exec_lo, s25
	s_and_saveexec_b32 s24, s7
	s_cbranch_execnz .LBB6_7104
	s_branch .LBB6_7105
.LBB6_8214:                             ;   in Loop: Header=BB6_5432 Depth=2
	s_mov_b32 s7, -1
	s_mov_b32 s26, exec_lo
                                        ; implicit-def: $sgpr24
	v_cmpx_eq_u16_e32 0x80, v57
; %bb.8215:                             ;   in Loop: Header=BB6_5432 Depth=2
	s_mov_b32 s24, 0x7f800001
	s_xor_b32 s7, exec_lo, -1
; %bb.8216:                             ;   in Loop: Header=BB6_5432 Depth=2
	s_or_b32 exec_lo, exec_lo, s26
	s_delay_alu instid0(SALU_CYCLE_1)
	s_and_b32 s7, s7, exec_lo
                                        ; implicit-def: $vgpr57
	s_or_saveexec_b32 s25, s25
	v_mov_b32_e32 v56, s24
	s_xor_b32 exec_lo, exec_lo, s25
	s_cbranch_execz .LBB6_7117
.LBB6_8217:                             ;   in Loop: Header=BB6_5432 Depth=2
	v_cmp_ne_u16_e32 vcc_lo, 0, v57
	v_mov_b32_e32 v56, 0
	s_and_not1_b32 s7, s7, exec_lo
	s_and_b32 s24, vcc_lo, exec_lo
	s_delay_alu instid0(SALU_CYCLE_1)
	s_or_b32 s7, s7, s24
	s_or_b32 exec_lo, exec_lo, s25
	s_and_saveexec_b32 s24, s7
	s_cbranch_execnz .LBB6_7118
	s_branch .LBB6_7119
.LBB6_8218:                             ;   in Loop: Header=BB6_5432 Depth=2
	s_mov_b32 s7, -1
	s_mov_b32 s26, exec_lo
                                        ; implicit-def: $sgpr24
	v_cmpx_eq_u16_e32 0x80, v58
; %bb.8219:                             ;   in Loop: Header=BB6_5432 Depth=2
	s_mov_b32 s24, 0x7f800001
	s_xor_b32 s7, exec_lo, -1
; %bb.8220:                             ;   in Loop: Header=BB6_5432 Depth=2
	s_or_b32 exec_lo, exec_lo, s26
	s_delay_alu instid0(SALU_CYCLE_1)
	s_and_b32 s7, s7, exec_lo
                                        ; implicit-def: $vgpr58
	s_or_saveexec_b32 s25, s25
	v_mov_b32_e32 v57, s24
	s_xor_b32 exec_lo, exec_lo, s25
	s_cbranch_execz .LBB6_7121
.LBB6_8221:                             ;   in Loop: Header=BB6_5432 Depth=2
	v_cmp_ne_u16_e32 vcc_lo, 0, v58
	v_mov_b32_e32 v57, 0
	s_and_not1_b32 s7, s7, exec_lo
	s_and_b32 s24, vcc_lo, exec_lo
	s_delay_alu instid0(SALU_CYCLE_1)
	s_or_b32 s7, s7, s24
	s_or_b32 exec_lo, exec_lo, s25
	s_and_saveexec_b32 s24, s7
	s_cbranch_execnz .LBB6_7122
	s_branch .LBB6_7123
.LBB6_8222:                             ;   in Loop: Header=BB6_5432 Depth=2
	s_mov_b32 s7, -1
	s_mov_b32 s26, exec_lo
                                        ; implicit-def: $sgpr24
	v_cmpx_eq_u16_e32 0x80, v57
; %bb.8223:                             ;   in Loop: Header=BB6_5432 Depth=2
	s_mov_b32 s24, 0x7f800001
	s_xor_b32 s7, exec_lo, -1
; %bb.8224:                             ;   in Loop: Header=BB6_5432 Depth=2
	s_or_b32 exec_lo, exec_lo, s26
	s_delay_alu instid0(SALU_CYCLE_1)
	s_and_b32 s7, s7, exec_lo
                                        ; implicit-def: $vgpr57
	s_or_saveexec_b32 s25, s25
	v_mov_b32_e32 v56, s24
	s_xor_b32 exec_lo, exec_lo, s25
	s_cbranch_execz .LBB6_7128
.LBB6_8225:                             ;   in Loop: Header=BB6_5432 Depth=2
	v_cmp_ne_u16_e32 vcc_lo, 0, v57
	v_mov_b32_e32 v56, 0
	s_and_not1_b32 s7, s7, exec_lo
	s_and_b32 s24, vcc_lo, exec_lo
	s_delay_alu instid0(SALU_CYCLE_1)
	s_or_b32 s7, s7, s24
	s_or_b32 exec_lo, exec_lo, s25
	s_and_saveexec_b32 s24, s7
	s_cbranch_execnz .LBB6_7129
	s_branch .LBB6_7130
.LBB6_8226:                             ;   in Loop: Header=BB6_5432 Depth=2
	s_mov_b32 s7, -1
	s_mov_b32 s26, exec_lo
                                        ; implicit-def: $sgpr24
	v_cmpx_eq_u16_e32 0x80, v57
; %bb.8227:                             ;   in Loop: Header=BB6_5432 Depth=2
	s_mov_b32 s24, 0x7f800001
	s_xor_b32 s7, exec_lo, -1
; %bb.8228:                             ;   in Loop: Header=BB6_5432 Depth=2
	s_or_b32 exec_lo, exec_lo, s26
	s_delay_alu instid0(SALU_CYCLE_1)
	s_and_b32 s7, s7, exec_lo
                                        ; implicit-def: $vgpr57
	s_or_saveexec_b32 s25, s25
	v_mov_b32_e32 v47, s24
	s_xor_b32 exec_lo, exec_lo, s25
	s_cbranch_execz .LBB6_7132
.LBB6_8229:                             ;   in Loop: Header=BB6_5432 Depth=2
	v_cmp_ne_u16_e32 vcc_lo, 0, v57
	v_mov_b32_e32 v47, 0
	s_and_not1_b32 s7, s7, exec_lo
	s_and_b32 s24, vcc_lo, exec_lo
	s_delay_alu instid0(SALU_CYCLE_1)
	s_or_b32 s7, s7, s24
	s_or_b32 exec_lo, exec_lo, s25
	s_and_saveexec_b32 s24, s7
	s_cbranch_execnz .LBB6_7133
	s_branch .LBB6_7134
.LBB6_8230:                             ;   in Loop: Header=BB6_5432 Depth=2
	s_mov_b32 s7, -1
	s_mov_b32 s26, exec_lo
                                        ; implicit-def: $sgpr24
	v_cmpx_eq_u16_e32 0x80, v56
; %bb.8231:                             ;   in Loop: Header=BB6_5432 Depth=2
	s_mov_b32 s24, 0x7f800001
	s_xor_b32 s7, exec_lo, -1
; %bb.8232:                             ;   in Loop: Header=BB6_5432 Depth=2
	s_or_b32 exec_lo, exec_lo, s26
	s_delay_alu instid0(SALU_CYCLE_1)
	s_and_b32 s7, s7, exec_lo
	s_or_saveexec_b32 s25, s25
	v_mov_b32_e32 v57, s24
	s_xor_b32 exec_lo, exec_lo, s25
	s_cbranch_execz .LBB6_7146
.LBB6_8233:                             ;   in Loop: Header=BB6_5432 Depth=2
	v_cmp_ne_u16_e32 vcc_lo, 0, v56
	v_mov_b32_e32 v57, 0
	s_and_not1_b32 s7, s7, exec_lo
	s_and_b32 s24, vcc_lo, exec_lo
	s_delay_alu instid0(SALU_CYCLE_1)
	s_or_b32 s7, s7, s24
	s_or_b32 exec_lo, exec_lo, s25
	s_and_saveexec_b32 s24, s7
	s_cbranch_execnz .LBB6_7147
	s_branch .LBB6_7148
.LBB6_8234:                             ;   in Loop: Header=BB6_5432 Depth=2
	s_mov_b32 s7, -1
	s_mov_b32 s26, exec_lo
                                        ; implicit-def: $sgpr24
	v_cmpx_eq_u16_e32 0x80, v47
; %bb.8235:                             ;   in Loop: Header=BB6_5432 Depth=2
	s_mov_b32 s24, 0x7f800001
	s_xor_b32 s7, exec_lo, -1
; %bb.8236:                             ;   in Loop: Header=BB6_5432 Depth=2
	s_or_b32 exec_lo, exec_lo, s26
	s_delay_alu instid0(SALU_CYCLE_1)
	s_and_b32 s7, s7, exec_lo
	s_or_saveexec_b32 s25, s25
	v_mov_b32_e32 v58, s24
	s_xor_b32 exec_lo, exec_lo, s25
	s_cbranch_execz .LBB6_7150
.LBB6_8237:                             ;   in Loop: Header=BB6_5432 Depth=2
	v_cmp_ne_u16_e32 vcc_lo, 0, v47
	v_mov_b32_e32 v58, 0
	s_and_not1_b32 s7, s7, exec_lo
	s_and_b32 s24, vcc_lo, exec_lo
	s_delay_alu instid0(SALU_CYCLE_1)
	s_or_b32 s7, s7, s24
	s_or_b32 exec_lo, exec_lo, s25
	s_and_saveexec_b32 s24, s7
	s_cbranch_execnz .LBB6_7151
	s_branch .LBB6_7152
.LBB6_8238:                             ;   in Loop: Header=BB6_5432 Depth=2
	s_mov_b32 s7, -1
	s_mov_b32 s26, exec_lo
                                        ; implicit-def: $sgpr24
	v_cmpx_eq_u16_e32 0x80, v56
; %bb.8239:                             ;   in Loop: Header=BB6_5432 Depth=2
	s_mov_b32 s24, 0x7f800001
	s_xor_b32 s7, exec_lo, -1
; %bb.8240:                             ;   in Loop: Header=BB6_5432 Depth=2
	s_or_b32 exec_lo, exec_lo, s26
	s_delay_alu instid0(SALU_CYCLE_1)
	s_and_b32 s7, s7, exec_lo
	s_or_saveexec_b32 s25, s25
	v_mov_b32_e32 v57, s24
	s_xor_b32 exec_lo, exec_lo, s25
	s_cbranch_execz .LBB6_7157
.LBB6_8241:                             ;   in Loop: Header=BB6_5432 Depth=2
	v_cmp_ne_u16_e32 vcc_lo, 0, v56
	v_mov_b32_e32 v57, 0
	s_and_not1_b32 s7, s7, exec_lo
	s_and_b32 s24, vcc_lo, exec_lo
	s_delay_alu instid0(SALU_CYCLE_1)
	s_or_b32 s7, s7, s24
	s_or_b32 exec_lo, exec_lo, s25
	s_and_saveexec_b32 s24, s7
	s_cbranch_execnz .LBB6_7158
	s_branch .LBB6_7159
.LBB6_8242:                             ;   in Loop: Header=BB6_5432 Depth=2
	s_mov_b32 s7, -1
	s_mov_b32 s26, exec_lo
                                        ; implicit-def: $sgpr24
	v_cmpx_eq_u16_e32 0x80, v47
; %bb.8243:                             ;   in Loop: Header=BB6_5432 Depth=2
	s_mov_b32 s24, 0x7f800001
	s_xor_b32 s7, exec_lo, -1
; %bb.8244:                             ;   in Loop: Header=BB6_5432 Depth=2
	s_or_b32 exec_lo, exec_lo, s26
	s_delay_alu instid0(SALU_CYCLE_1)
	s_and_b32 s7, s7, exec_lo
	s_or_saveexec_b32 s25, s25
	v_mov_b32_e32 v16, s24
	s_xor_b32 exec_lo, exec_lo, s25
	s_cbranch_execz .LBB6_7161
.LBB6_8245:                             ;   in Loop: Header=BB6_5432 Depth=2
	v_cmp_ne_u16_e32 vcc_lo, 0, v47
	v_mov_b32_e32 v16, 0
	s_and_not1_b32 s7, s7, exec_lo
	s_and_b32 s24, vcc_lo, exec_lo
	s_delay_alu instid0(SALU_CYCLE_1)
	s_or_b32 s7, s7, s24
	s_or_b32 exec_lo, exec_lo, s25
	s_and_saveexec_b32 s24, s7
	s_cbranch_execnz .LBB6_7162
	s_branch .LBB6_7163
.LBB6_8246:                             ;   in Loop: Header=BB6_5432 Depth=2
	s_mov_b32 s7, -1
	s_mov_b32 s26, exec_lo
                                        ; implicit-def: $sgpr24
	v_cmpx_eq_u16_e32 0x80, v47
; %bb.8247:                             ;   in Loop: Header=BB6_5432 Depth=2
	s_mov_b32 s24, 0x7f800001
	s_xor_b32 s7, exec_lo, -1
; %bb.8248:                             ;   in Loop: Header=BB6_5432 Depth=2
	s_or_b32 exec_lo, exec_lo, s26
	s_delay_alu instid0(SALU_CYCLE_1)
	s_and_b32 s7, s7, exec_lo
                                        ; implicit-def: $vgpr47
	s_or_saveexec_b32 s25, s25
	v_mov_b32_e32 v16, s24
	s_xor_b32 exec_lo, exec_lo, s25
	s_cbranch_execz .LBB6_7175
.LBB6_8249:                             ;   in Loop: Header=BB6_5432 Depth=2
	v_cmp_ne_u16_e32 vcc_lo, 0, v47
	v_mov_b32_e32 v16, 0
	s_and_not1_b32 s7, s7, exec_lo
	s_and_b32 s24, vcc_lo, exec_lo
	s_delay_alu instid0(SALU_CYCLE_1)
	s_or_b32 s7, s7, s24
	s_or_b32 exec_lo, exec_lo, s25
	s_and_saveexec_b32 s24, s7
	s_cbranch_execnz .LBB6_7176
	s_branch .LBB6_7177
.LBB6_8250:                             ;   in Loop: Header=BB6_5432 Depth=2
	s_mov_b32 s7, -1
	s_mov_b32 s26, exec_lo
                                        ; implicit-def: $sgpr24
	v_cmpx_eq_u16_e32 0x80, v56
; %bb.8251:                             ;   in Loop: Header=BB6_5432 Depth=2
	s_mov_b32 s24, 0x7f800001
	s_xor_b32 s7, exec_lo, -1
; %bb.8252:                             ;   in Loop: Header=BB6_5432 Depth=2
	s_or_b32 exec_lo, exec_lo, s26
	s_delay_alu instid0(SALU_CYCLE_1)
	s_and_b32 s7, s7, exec_lo
                                        ; implicit-def: $vgpr56
	s_or_saveexec_b32 s25, s25
	v_mov_b32_e32 v47, s24
	s_xor_b32 exec_lo, exec_lo, s25
	s_cbranch_execz .LBB6_7179
.LBB6_8253:                             ;   in Loop: Header=BB6_5432 Depth=2
	v_cmp_ne_u16_e32 vcc_lo, 0, v56
	v_mov_b32_e32 v47, 0
	s_and_not1_b32 s7, s7, exec_lo
	s_and_b32 s24, vcc_lo, exec_lo
	s_delay_alu instid0(SALU_CYCLE_1)
	s_or_b32 s7, s7, s24
	s_or_b32 exec_lo, exec_lo, s25
	s_and_saveexec_b32 s24, s7
	s_cbranch_execnz .LBB6_7180
	s_branch .LBB6_7181
.LBB6_8254:                             ;   in Loop: Header=BB6_5432 Depth=2
	s_mov_b32 s7, -1
	s_mov_b32 s26, exec_lo
                                        ; implicit-def: $sgpr24
	v_cmpx_eq_u16_e32 0x80, v47
; %bb.8255:                             ;   in Loop: Header=BB6_5432 Depth=2
	s_mov_b32 s24, 0x7f800001
	s_xor_b32 s7, exec_lo, -1
; %bb.8256:                             ;   in Loop: Header=BB6_5432 Depth=2
	s_or_b32 exec_lo, exec_lo, s26
	s_delay_alu instid0(SALU_CYCLE_1)
	s_and_b32 s7, s7, exec_lo
                                        ; implicit-def: $vgpr47
	s_or_saveexec_b32 s25, s25
	v_mov_b32_e32 v16, s24
	s_xor_b32 exec_lo, exec_lo, s25
	s_cbranch_execz .LBB6_7186
.LBB6_8257:                             ;   in Loop: Header=BB6_5432 Depth=2
	v_cmp_ne_u16_e32 vcc_lo, 0, v47
	v_mov_b32_e32 v16, 0
	s_and_not1_b32 s7, s7, exec_lo
	s_and_b32 s24, vcc_lo, exec_lo
	s_delay_alu instid0(SALU_CYCLE_1)
	s_or_b32 s7, s7, s24
	s_or_b32 exec_lo, exec_lo, s25
	s_and_saveexec_b32 s24, s7
	s_cbranch_execnz .LBB6_7187
	s_branch .LBB6_7188
.LBB6_8258:                             ;   in Loop: Header=BB6_5432 Depth=2
	s_mov_b32 s7, -1
	s_mov_b32 s26, exec_lo
                                        ; implicit-def: $sgpr24
	v_cmpx_eq_u16_e32 0x80, v56
; %bb.8259:                             ;   in Loop: Header=BB6_5432 Depth=2
	s_mov_b32 s24, 0x7f800001
	s_xor_b32 s7, exec_lo, -1
; %bb.8260:                             ;   in Loop: Header=BB6_5432 Depth=2
	s_or_b32 exec_lo, exec_lo, s26
	s_delay_alu instid0(SALU_CYCLE_1)
	s_and_b32 s7, s7, exec_lo
                                        ; implicit-def: $vgpr56
	s_or_saveexec_b32 s25, s25
	v_mov_b32_e32 v47, s24
	s_xor_b32 exec_lo, exec_lo, s25
	s_cbranch_execz .LBB6_7190
.LBB6_8261:                             ;   in Loop: Header=BB6_5432 Depth=2
	v_cmp_ne_u16_e32 vcc_lo, 0, v56
	v_mov_b32_e32 v47, 0
	s_and_not1_b32 s7, s7, exec_lo
	s_and_b32 s24, vcc_lo, exec_lo
	s_delay_alu instid0(SALU_CYCLE_1)
	s_or_b32 s7, s7, s24
	s_or_b32 exec_lo, exec_lo, s25
	s_and_saveexec_b32 s24, s7
	s_cbranch_execnz .LBB6_7191
	s_branch .LBB6_7192
.LBB6_8262:                             ;   in Loop: Header=BB6_5432 Depth=2
	s_mov_b32 s7, -1
	s_mov_b32 s26, exec_lo
                                        ; implicit-def: $sgpr24
	v_cmpx_eq_u16_e32 0x80, v56
; %bb.8263:                             ;   in Loop: Header=BB6_5432 Depth=2
	s_mov_b32 s24, 0x7f800001
	s_xor_b32 s7, exec_lo, -1
; %bb.8264:                             ;   in Loop: Header=BB6_5432 Depth=2
	s_or_b32 exec_lo, exec_lo, s26
	s_delay_alu instid0(SALU_CYCLE_1)
	s_and_b32 s7, s7, exec_lo
	s_or_saveexec_b32 s25, s25
	v_mov_b32_e32 v57, s24
	s_xor_b32 exec_lo, exec_lo, s25
	s_cbranch_execz .LBB6_7204
.LBB6_8265:                             ;   in Loop: Header=BB6_5432 Depth=2
	v_cmp_ne_u16_e32 vcc_lo, 0, v56
	v_mov_b32_e32 v57, 0
	s_and_not1_b32 s7, s7, exec_lo
	s_and_b32 s24, vcc_lo, exec_lo
	s_delay_alu instid0(SALU_CYCLE_1)
	s_or_b32 s7, s7, s24
	s_or_b32 exec_lo, exec_lo, s25
	s_and_saveexec_b32 s24, s7
	s_cbranch_execnz .LBB6_7205
	s_branch .LBB6_7206
.LBB6_8266:                             ;   in Loop: Header=BB6_5432 Depth=2
	s_mov_b32 s7, -1
	s_mov_b32 s26, exec_lo
                                        ; implicit-def: $sgpr24
	v_cmpx_eq_u16_e32 0x80, v47
; %bb.8267:                             ;   in Loop: Header=BB6_5432 Depth=2
	s_mov_b32 s24, 0x7f800001
	s_xor_b32 s7, exec_lo, -1
; %bb.8268:                             ;   in Loop: Header=BB6_5432 Depth=2
	s_or_b32 exec_lo, exec_lo, s26
	s_delay_alu instid0(SALU_CYCLE_1)
	s_and_b32 s7, s7, exec_lo
	s_or_saveexec_b32 s25, s25
	v_mov_b32_e32 v58, s24
	s_xor_b32 exec_lo, exec_lo, s25
	s_cbranch_execz .LBB6_7208
.LBB6_8269:                             ;   in Loop: Header=BB6_5432 Depth=2
	v_cmp_ne_u16_e32 vcc_lo, 0, v47
	v_mov_b32_e32 v58, 0
	s_and_not1_b32 s7, s7, exec_lo
	s_and_b32 s24, vcc_lo, exec_lo
	s_delay_alu instid0(SALU_CYCLE_1)
	s_or_b32 s7, s7, s24
	s_or_b32 exec_lo, exec_lo, s25
	s_and_saveexec_b32 s24, s7
	s_cbranch_execnz .LBB6_7209
	s_branch .LBB6_7210
.LBB6_8270:                             ;   in Loop: Header=BB6_5432 Depth=2
	s_mov_b32 s7, -1
	s_mov_b32 s26, exec_lo
                                        ; implicit-def: $sgpr24
	v_cmpx_eq_u16_e32 0x80, v56
; %bb.8271:                             ;   in Loop: Header=BB6_5432 Depth=2
	s_mov_b32 s24, 0x7f800001
	s_xor_b32 s7, exec_lo, -1
; %bb.8272:                             ;   in Loop: Header=BB6_5432 Depth=2
	s_or_b32 exec_lo, exec_lo, s26
	s_delay_alu instid0(SALU_CYCLE_1)
	s_and_b32 s7, s7, exec_lo
	s_or_saveexec_b32 s25, s25
	v_mov_b32_e32 v57, s24
	s_xor_b32 exec_lo, exec_lo, s25
	s_cbranch_execz .LBB6_7215
.LBB6_8273:                             ;   in Loop: Header=BB6_5432 Depth=2
	v_cmp_ne_u16_e32 vcc_lo, 0, v56
	v_mov_b32_e32 v57, 0
	s_and_not1_b32 s7, s7, exec_lo
	s_and_b32 s24, vcc_lo, exec_lo
	s_delay_alu instid0(SALU_CYCLE_1)
	s_or_b32 s7, s7, s24
	s_or_b32 exec_lo, exec_lo, s25
	s_and_saveexec_b32 s24, s7
	s_cbranch_execnz .LBB6_7216
	s_branch .LBB6_7217
.LBB6_8274:                             ;   in Loop: Header=BB6_5432 Depth=2
	s_mov_b32 s7, -1
	s_mov_b32 s26, exec_lo
                                        ; implicit-def: $sgpr24
	v_cmpx_eq_u16_e32 0x80, v47
; %bb.8275:                             ;   in Loop: Header=BB6_5432 Depth=2
	s_mov_b32 s24, 0x7f800001
	s_xor_b32 s7, exec_lo, -1
; %bb.8276:                             ;   in Loop: Header=BB6_5432 Depth=2
	s_or_b32 exec_lo, exec_lo, s26
	s_delay_alu instid0(SALU_CYCLE_1)
	s_and_b32 s7, s7, exec_lo
	s_or_saveexec_b32 s25, s25
	v_mov_b32_e32 v56, s24
	s_xor_b32 exec_lo, exec_lo, s25
	s_cbranch_execz .LBB6_7219
.LBB6_8277:                             ;   in Loop: Header=BB6_5432 Depth=2
	v_cmp_ne_u16_e32 vcc_lo, 0, v47
	v_mov_b32_e32 v56, 0
	s_and_not1_b32 s7, s7, exec_lo
	s_and_b32 s24, vcc_lo, exec_lo
	s_delay_alu instid0(SALU_CYCLE_1)
	s_or_b32 s7, s7, s24
	s_or_b32 exec_lo, exec_lo, s25
	s_and_saveexec_b32 s24, s7
	s_cbranch_execnz .LBB6_7220
	s_branch .LBB6_7221
.LBB6_8278:                             ;   in Loop: Header=BB6_5432 Depth=2
	s_mov_b32 s7, -1
	s_mov_b32 s26, exec_lo
                                        ; implicit-def: $sgpr24
	v_cmpx_eq_u16_e32 0x80, v59
; %bb.8279:                             ;   in Loop: Header=BB6_5432 Depth=2
	s_mov_b32 s24, 0x7f800001
	s_xor_b32 s7, exec_lo, -1
; %bb.8280:                             ;   in Loop: Header=BB6_5432 Depth=2
	s_or_b32 exec_lo, exec_lo, s26
	s_delay_alu instid0(SALU_CYCLE_1)
	s_and_b32 s7, s7, exec_lo
                                        ; implicit-def: $vgpr59
	s_or_saveexec_b32 s25, s25
	v_mov_b32_e32 v58, s24
	s_xor_b32 exec_lo, exec_lo, s25
	s_cbranch_execz .LBB6_7233
.LBB6_8281:                             ;   in Loop: Header=BB6_5432 Depth=2
	v_cmp_ne_u16_e32 vcc_lo, 0, v59
	v_mov_b32_e32 v58, 0
	s_and_not1_b32 s7, s7, exec_lo
	s_and_b32 s24, vcc_lo, exec_lo
	s_delay_alu instid0(SALU_CYCLE_1)
	s_or_b32 s7, s7, s24
	s_or_b32 exec_lo, exec_lo, s25
	s_and_saveexec_b32 s24, s7
	s_cbranch_execnz .LBB6_7234
	s_branch .LBB6_7235
.LBB6_8282:                             ;   in Loop: Header=BB6_5432 Depth=2
	s_mov_b32 s7, -1
	s_mov_b32 s26, exec_lo
                                        ; implicit-def: $sgpr24
	v_cmpx_eq_u16_e32 0x80, v60
; %bb.8283:                             ;   in Loop: Header=BB6_5432 Depth=2
	s_mov_b32 s24, 0x7f800001
	s_xor_b32 s7, exec_lo, -1
; %bb.8284:                             ;   in Loop: Header=BB6_5432 Depth=2
	s_or_b32 exec_lo, exec_lo, s26
	s_delay_alu instid0(SALU_CYCLE_1)
	s_and_b32 s7, s7, exec_lo
                                        ; implicit-def: $vgpr60
	s_or_saveexec_b32 s25, s25
	v_mov_b32_e32 v59, s24
	s_xor_b32 exec_lo, exec_lo, s25
	s_cbranch_execz .LBB6_7237
.LBB6_8285:                             ;   in Loop: Header=BB6_5432 Depth=2
	v_cmp_ne_u16_e32 vcc_lo, 0, v60
	v_mov_b32_e32 v59, 0
	s_and_not1_b32 s7, s7, exec_lo
	s_and_b32 s24, vcc_lo, exec_lo
	s_delay_alu instid0(SALU_CYCLE_1)
	s_or_b32 s7, s7, s24
	s_or_b32 exec_lo, exec_lo, s25
	s_and_saveexec_b32 s24, s7
	s_cbranch_execnz .LBB6_7238
	s_branch .LBB6_7239
.LBB6_8286:                             ;   in Loop: Header=BB6_5432 Depth=2
	s_mov_b32 s7, -1
	s_mov_b32 s26, exec_lo
                                        ; implicit-def: $sgpr24
	v_cmpx_eq_u16_e32 0x80, v59
; %bb.8287:                             ;   in Loop: Header=BB6_5432 Depth=2
	s_mov_b32 s24, 0x7f800001
	s_xor_b32 s7, exec_lo, -1
; %bb.8288:                             ;   in Loop: Header=BB6_5432 Depth=2
	s_or_b32 exec_lo, exec_lo, s26
	s_delay_alu instid0(SALU_CYCLE_1)
	s_and_b32 s7, s7, exec_lo
                                        ; implicit-def: $vgpr59
	s_or_saveexec_b32 s25, s25
	v_mov_b32_e32 v58, s24
	s_xor_b32 exec_lo, exec_lo, s25
	s_cbranch_execz .LBB6_7244
.LBB6_8289:                             ;   in Loop: Header=BB6_5432 Depth=2
	v_cmp_ne_u16_e32 vcc_lo, 0, v59
	v_mov_b32_e32 v58, 0
	s_and_not1_b32 s7, s7, exec_lo
	s_and_b32 s24, vcc_lo, exec_lo
	s_delay_alu instid0(SALU_CYCLE_1)
	s_or_b32 s7, s7, s24
	s_or_b32 exec_lo, exec_lo, s25
	s_and_saveexec_b32 s24, s7
	s_cbranch_execnz .LBB6_7245
	s_branch .LBB6_7246
.LBB6_8290:                             ;   in Loop: Header=BB6_5432 Depth=2
	s_mov_b32 s7, -1
	s_mov_b32 s26, exec_lo
                                        ; implicit-def: $sgpr24
	v_cmpx_eq_u16_e32 0x80, v59
; %bb.8291:                             ;   in Loop: Header=BB6_5432 Depth=2
	s_mov_b32 s24, 0x7f800001
	s_xor_b32 s7, exec_lo, -1
; %bb.8292:                             ;   in Loop: Header=BB6_5432 Depth=2
	s_or_b32 exec_lo, exec_lo, s26
	s_delay_alu instid0(SALU_CYCLE_1)
	s_and_b32 s7, s7, exec_lo
                                        ; implicit-def: $vgpr59
	s_or_saveexec_b32 s25, s25
	v_mov_b32_e32 v57, s24
	s_xor_b32 exec_lo, exec_lo, s25
	s_cbranch_execz .LBB6_7248
.LBB6_8293:                             ;   in Loop: Header=BB6_5432 Depth=2
	v_cmp_ne_u16_e32 vcc_lo, 0, v59
	v_mov_b32_e32 v57, 0
	s_and_not1_b32 s7, s7, exec_lo
	s_and_b32 s24, vcc_lo, exec_lo
	s_delay_alu instid0(SALU_CYCLE_1)
	s_or_b32 s7, s7, s24
	s_or_b32 exec_lo, exec_lo, s25
	s_and_saveexec_b32 s24, s7
	s_cbranch_execnz .LBB6_7249
	s_branch .LBB6_7250
.LBB6_8294:                             ;   in Loop: Header=BB6_5432 Depth=2
	s_mov_b32 s7, -1
	s_mov_b32 s26, exec_lo
                                        ; implicit-def: $sgpr24
	v_cmpx_eq_u16_e32 0x80, v58
; %bb.8295:                             ;   in Loop: Header=BB6_5432 Depth=2
	s_mov_b32 s24, 0x7f800001
	s_xor_b32 s7, exec_lo, -1
; %bb.8296:                             ;   in Loop: Header=BB6_5432 Depth=2
	s_or_b32 exec_lo, exec_lo, s26
	s_delay_alu instid0(SALU_CYCLE_1)
	s_and_b32 s7, s7, exec_lo
	s_or_saveexec_b32 s25, s25
	v_mov_b32_e32 v59, s24
	s_xor_b32 exec_lo, exec_lo, s25
	s_cbranch_execz .LBB6_7262
.LBB6_8297:                             ;   in Loop: Header=BB6_5432 Depth=2
	v_cmp_ne_u16_e32 vcc_lo, 0, v58
	v_mov_b32_e32 v59, 0
	s_and_not1_b32 s7, s7, exec_lo
	s_and_b32 s24, vcc_lo, exec_lo
	s_delay_alu instid0(SALU_CYCLE_1)
	s_or_b32 s7, s7, s24
	s_or_b32 exec_lo, exec_lo, s25
	s_and_saveexec_b32 s24, s7
	s_cbranch_execnz .LBB6_7263
	s_branch .LBB6_7264
.LBB6_8298:                             ;   in Loop: Header=BB6_5432 Depth=2
	s_mov_b32 s7, -1
	s_mov_b32 s26, exec_lo
                                        ; implicit-def: $sgpr24
	v_cmpx_eq_u16_e32 0x80, v57
; %bb.8299:                             ;   in Loop: Header=BB6_5432 Depth=2
	s_mov_b32 s24, 0x7f800001
	s_xor_b32 s7, exec_lo, -1
; %bb.8300:                             ;   in Loop: Header=BB6_5432 Depth=2
	s_or_b32 exec_lo, exec_lo, s26
	s_delay_alu instid0(SALU_CYCLE_1)
	s_and_b32 s7, s7, exec_lo
	s_or_saveexec_b32 s25, s25
	v_mov_b32_e32 v60, s24
	s_xor_b32 exec_lo, exec_lo, s25
	s_cbranch_execz .LBB6_7266
.LBB6_8301:                             ;   in Loop: Header=BB6_5432 Depth=2
	v_cmp_ne_u16_e32 vcc_lo, 0, v57
	v_mov_b32_e32 v60, 0
	s_and_not1_b32 s7, s7, exec_lo
	s_and_b32 s24, vcc_lo, exec_lo
	s_delay_alu instid0(SALU_CYCLE_1)
	s_or_b32 s7, s7, s24
	s_or_b32 exec_lo, exec_lo, s25
	s_and_saveexec_b32 s24, s7
	s_cbranch_execnz .LBB6_7267
	s_branch .LBB6_7268
.LBB6_8302:                             ;   in Loop: Header=BB6_5432 Depth=2
	s_mov_b32 s7, -1
	s_mov_b32 s26, exec_lo
                                        ; implicit-def: $sgpr24
	v_cmpx_eq_u16_e32 0x80, v58
; %bb.8303:                             ;   in Loop: Header=BB6_5432 Depth=2
	s_mov_b32 s24, 0x7f800001
	s_xor_b32 s7, exec_lo, -1
; %bb.8304:                             ;   in Loop: Header=BB6_5432 Depth=2
	s_or_b32 exec_lo, exec_lo, s26
	s_delay_alu instid0(SALU_CYCLE_1)
	s_and_b32 s7, s7, exec_lo
	s_or_saveexec_b32 s25, s25
	v_mov_b32_e32 v59, s24
	s_xor_b32 exec_lo, exec_lo, s25
	s_cbranch_execz .LBB6_7273
.LBB6_8305:                             ;   in Loop: Header=BB6_5432 Depth=2
	v_cmp_ne_u16_e32 vcc_lo, 0, v58
	v_mov_b32_e32 v59, 0
	s_and_not1_b32 s7, s7, exec_lo
	s_and_b32 s24, vcc_lo, exec_lo
	s_delay_alu instid0(SALU_CYCLE_1)
	s_or_b32 s7, s7, s24
	s_or_b32 exec_lo, exec_lo, s25
	s_and_saveexec_b32 s24, s7
	s_cbranch_execnz .LBB6_7274
	s_branch .LBB6_7275
.LBB6_8306:                             ;   in Loop: Header=BB6_5432 Depth=2
	s_mov_b32 s7, -1
	s_mov_b32 s26, exec_lo
                                        ; implicit-def: $sgpr24
	v_cmpx_eq_u16_e32 0x80, v57
; %bb.8307:                             ;   in Loop: Header=BB6_5432 Depth=2
	s_mov_b32 s24, 0x7f800001
	s_xor_b32 s7, exec_lo, -1
; %bb.8308:                             ;   in Loop: Header=BB6_5432 Depth=2
	s_or_b32 exec_lo, exec_lo, s26
	s_delay_alu instid0(SALU_CYCLE_1)
	s_and_b32 s7, s7, exec_lo
	s_or_saveexec_b32 s25, s25
	v_mov_b32_e32 v17, s24
	s_xor_b32 exec_lo, exec_lo, s25
	s_cbranch_execz .LBB6_7277
.LBB6_8309:                             ;   in Loop: Header=BB6_5432 Depth=2
	v_cmp_ne_u16_e32 vcc_lo, 0, v57
	v_mov_b32_e32 v17, 0
	s_and_not1_b32 s7, s7, exec_lo
	s_and_b32 s24, vcc_lo, exec_lo
	s_delay_alu instid0(SALU_CYCLE_1)
	s_or_b32 s7, s7, s24
	s_or_b32 exec_lo, exec_lo, s25
	s_and_saveexec_b32 s24, s7
	s_cbranch_execnz .LBB6_7278
	s_branch .LBB6_7279
.LBB6_8310:                             ;   in Loop: Header=BB6_5345 Depth=1
	s_or_b32 exec_lo, exec_lo, s22
.LBB6_8311:                             ;   in Loop: Header=BB6_5345 Depth=1
	s_delay_alu instid0(SALU_CYCLE_1) | instskip(SKIP_3) | instid1(VALU_DEP_1)
	s_or_b32 exec_lo, exec_lo, s10
	v_dual_mov_b32 v16, 0 :: v_dual_and_b32 v11, 0x3ffff800, v134
	s_mov_b32 s7, 0
	s_mov_b32 s22, exec_lo
                                        ; implicit-def: $vgpr17
                                        ; implicit-def: $vgpr18
                                        ; implicit-def: $vgpr10
	v_cmpx_ne_u32_e64 v11, v134
	s_cbranch_execz .LBB6_9040
; %bb.8312:                             ;   in Loop: Header=BB6_5345 Depth=1
	v_lshlrev_b32_e32 v10, 5, v135
	v_bfe_u32 v15, v134, 9, 2
	s_mov_b32 s23, exec_lo
	s_delay_alu instid0(VALU_DEP_2) | instskip(NEXT) | instid1(VALU_DEP_1)
	v_sub_nc_u32_e32 v10, v102, v10
	v_ashrrev_i32_e32 v12, 31, v10
	s_delay_alu instid0(VALU_DEP_1) | instskip(NEXT) | instid1(VALU_DEP_1)
	v_lshrrev_b32_e32 v12, 27, v12
	v_add_nc_u32_e32 v12, v10, v12
	s_delay_alu instid0(VALU_DEP_1) | instskip(SKIP_1) | instid1(VALU_DEP_2)
	v_and_b32_e32 v13, 0xffffffe0, v12
	v_ashrrev_i32_e32 v12, 5, v12
	v_sub_nc_u32_e32 v24, v10, v13
	v_and_b32_e32 v13, 0x7ff, v134
	v_and_b32_e32 v10, 0x600, v134
	s_delay_alu instid0(VALU_DEP_3) | instskip(NEXT) | instid1(VALU_DEP_2)
	v_lshlrev_b32_e32 v14, 4, v24
	v_sub_nc_u32_e32 v25, v13, v10
	s_delay_alu instid0(VALU_DEP_2) | instskip(NEXT) | instid1(VALU_DEP_2)
	v_lshl_add_u32 v10, v12, 9, v14
	v_cmp_lt_i32_e64 s7, 15, v25
	s_delay_alu instid0(VALU_DEP_2) | instskip(NEXT) | instid1(VALU_DEP_2)
	v_sub_nc_u32_e32 v27, v13, v10
	v_add_co_ci_u32_e64 v14, vcc_lo, 0, v15, s7
	s_delay_alu instid0(VALU_DEP_1) | instskip(NEXT) | instid1(VALU_DEP_3)
	v_sub_nc_u32_e32 v26, v14, v12
	v_cmpx_lt_i32_e32 15, v27
	s_cbranch_execz .LBB6_9037
; %bb.8313:                             ;   in Loop: Header=BB6_5345 Depth=1
	s_cbranch_execnz .LBB6_11079
; %bb.8314:                             ;   in Loop: Header=BB6_5345 Depth=1
	ds_load_b128 v[12:15], v0
	ds_load_b64 v[16:17], v0
	v_add_nc_u32_e32 v10, v10, v11
	s_bitcmp1_b32 s21, 0
	s_mov_b32 s24, 0
	s_cselect_b32 s25, -1, 0
	s_delay_alu instid0(VALU_DEP_1) | instskip(SKIP_3) | instid1(VALU_DEP_2)
	v_ashrrev_i32_e32 v11, 31, v10
	s_waitcnt lgkmcnt(1)
	v_add_co_u32 v18, vcc_lo, v12, v10
	s_waitcnt vmcnt(0)
	v_add_co_ci_u32_e32 v19, vcc_lo, v13, v11, vcc_lo
	v_add_co_u32 v20, vcc_lo, v14, v10
	v_add_co_ci_u32_e32 v21, vcc_lo, v15, v11, vcc_lo
	s_waitcnt lgkmcnt(0)
	v_add_co_u32 v22, vcc_lo, v16, v10
	v_add_co_ci_u32_e32 v23, vcc_lo, v17, v11, vcc_lo
	s_branch .LBB6_8318
.LBB6_8315:                             ;   in Loop: Header=BB6_8318 Depth=2
	s_or_b32 exec_lo, exec_lo, s10
	s_delay_alu instid0(VALU_DEP_1) | instskip(NEXT) | instid1(VALU_DEP_2)
	v_lshrrev_b32_e32 v17, 20, v17
	v_min_i32_e32 v39, 15, v13
	v_cmp_gt_i32_e32 vcc_lo, 16, v13
	v_lshrrev_b32_e32 v48, 24, v49
	s_delay_alu instid0(VALU_DEP_3) | instskip(NEXT) | instid1(VALU_DEP_2)
	v_lshlrev_b32_e32 v39, 3, v39
	v_dual_cndmask_b32 v17, 7, v17 :: v_dual_and_b32 v48, 0x80, v48
	s_delay_alu instid0(VALU_DEP_2) | instskip(NEXT) | instid1(VALU_DEP_2)
	v_and_b32_e32 v39, 0xf8, v39
	v_and_b32_e32 v49, 7, v17
	v_or_b32_e32 v13, v13, v17
	s_delay_alu instid0(VALU_DEP_2) | instskip(NEXT) | instid1(VALU_DEP_2)
	v_or3_b32 v39, v48, v39, v49
	v_cmp_ne_u32_e32 vcc_lo, 0, v13
	s_delay_alu instid0(VALU_DEP_2) | instskip(NEXT) | instid1(VALU_DEP_1)
	v_lshlrev_b32_e32 v17, 8, v39
	v_cndmask_b32_e32 v13, 0, v17, vcc_lo
.LBB6_8316:                             ;   in Loop: Header=BB6_8318 Depth=2
	s_or_b32 exec_lo, exec_lo, s27
.LBB6_8317:                             ;   in Loop: Header=BB6_8318 Depth=2
	s_delay_alu instid0(SALU_CYCLE_1)
	s_or_b32 exec_lo, exec_lo, s26
	v_lshlrev_b32_e32 v17, 8, v33
	v_and_b32_e32 v32, 0xff, v32
	v_or_b32_e32 v11, v11, v34
	v_lshlrev_b32_e32 v29, 8, v29
	v_lshlrev_b32_e32 v33, 8, v35
	v_perm_b32 v14, v17, v14, 0xc0c0500
	v_lshlrev_b32_e32 v17, 16, v32
	v_and_b32_e32 v32, 0xff, v36
	v_lshlrev_b32_e32 v34, 8, v37
	v_lshlrev_b32_e32 v10, 24, v10
	v_perm_b32 v28, v29, v28, 0xc0c0500
	v_lshlrev_b32_e32 v12, 24, v12
	v_lshlrev_b32_e32 v29, 16, v32
	v_perm_b32 v15, v33, v15, 0xc0c0500
	v_perm_b32 v16, v34, v16, 0xc0c0500
	v_or_b32_e32 v13, v13, v38
	v_add_co_u32 v18, vcc_lo, v18, v118
	v_lshl_or_b32 v11, v11, 16, v14
	v_or3_b32 v10, v10, v17, v28
	v_or3_b32 v12, v12, v29, v15
	v_lshl_or_b32 v13, v13, 16, v16
	v_sub_nc_u32_e32 v27, v27, v101
	v_add_co_ci_u32_e32 v19, vcc_lo, v19, v119, vcc_lo
	v_add_co_u32 v20, vcc_lo, v20, v118
	v_add_co_ci_u32_e32 v21, vcc_lo, v21, v119, vcc_lo
	global_store_b128 v[22:23], v[10:13], off glc slc dlc
	v_cmp_gt_i32_e32 vcc_lo, 16, v27
	v_add_co_u32 v22, s10, v22, v118
	s_delay_alu instid0(VALU_DEP_1) | instskip(SKIP_2) | instid1(SALU_CYCLE_1)
	v_add_co_ci_u32_e64 v23, s10, v23, v119, s10
	v_sub_nc_u32_e32 v26, v26, v87
	s_or_b32 s24, vcc_lo, s24
	s_and_not1_b32 exec_lo, exec_lo, s24
	s_cbranch_execz .LBB6_9036
.LBB6_8318:                             ;   Parent Loop BB6_5345 Depth=1
                                        ; =>  This Inner Loop Header: Depth=2
	global_load_b128 v[14:17], v[18:19], off slc dlc
	global_load_b128 v[10:13], v[20:21], off slc dlc
	s_and_b32 vcc_lo, exec_lo, s25
	s_cbranch_vccz .LBB6_8328
; %bb.8319:                             ;   in Loop: Header=BB6_8318 Depth=2
	s_waitcnt vmcnt(1)
	v_and_b32_e32 v29, 0xff, v14
	s_mov_b32 s10, 0
	s_mov_b32 s27, exec_lo
                                        ; implicit-def: $sgpr26
	s_delay_alu instid0(VALU_DEP_1)
	v_cmpx_lt_i16_e32 0x7f, v29
	s_xor_b32 s27, exec_lo, s27
	s_cbranch_execnz .LBB6_8780
; %bb.8320:                             ;   in Loop: Header=BB6_8318 Depth=2
	s_or_saveexec_b32 s27, s27
	v_mov_b32_e32 v28, s26
	s_xor_b32 exec_lo, exec_lo, s27
	s_cbranch_execnz .LBB6_8783
.LBB6_8321:                             ;   in Loop: Header=BB6_8318 Depth=2
	s_or_b32 exec_lo, exec_lo, s27
	s_and_saveexec_b32 s26, s10
	s_cbranch_execz .LBB6_8323
.LBB6_8322:                             ;   in Loop: Header=BB6_8318 Depth=2
	v_bfe_u32 v33, v14, 3, 4
	v_lshlrev_b32_e32 v34, 24, v14
	s_delay_alu instid0(VALU_DEP_2) | instskip(SKIP_1) | instid1(VALU_DEP_1)
	v_cmp_eq_u32_e32 vcc_lo, 0, v33
	v_and_b32_e32 v28, 7, v14
	v_clz_i32_u32_e32 v29, v28
	s_delay_alu instid0(VALU_DEP_1) | instskip(NEXT) | instid1(VALU_DEP_1)
	v_min_u32_e32 v29, 32, v29
	v_subrev_nc_u32_e32 v32, 28, v29
	v_sub_nc_u32_e32 v29, 29, v29
	s_delay_alu instid0(VALU_DEP_1) | instskip(NEXT) | instid1(VALU_DEP_1)
	v_dual_cndmask_b32 v29, v33, v29 :: v_dual_lshlrev_b32 v32, v32, v14
	v_and_b32_e32 v32, 7, v32
	s_delay_alu instid0(VALU_DEP_2) | instskip(NEXT) | instid1(VALU_DEP_2)
	v_lshl_add_u32 v29, v29, 23, 0x3b800000
	v_cndmask_b32_e32 v28, v28, v32, vcc_lo
	v_and_b32_e32 v32, 0x80000000, v34
	s_delay_alu instid0(VALU_DEP_2) | instskip(NEXT) | instid1(VALU_DEP_1)
	v_lshlrev_b32_e32 v28, 20, v28
	v_or3_b32 v28, v32, v29, v28
.LBB6_8323:                             ;   in Loop: Header=BB6_8318 Depth=2
	s_or_b32 exec_lo, exec_lo, s26
	s_waitcnt vmcnt(0)
	v_and_b32_e32 v32, 0xff, v10
	s_mov_b32 s10, 0
	s_mov_b32 s27, exec_lo
                                        ; implicit-def: $sgpr26
	s_delay_alu instid0(VALU_DEP_1)
	v_cmpx_lt_i16_e32 0x7f, v32
	s_xor_b32 s27, exec_lo, s27
	s_cbranch_execnz .LBB6_8784
; %bb.8324:                             ;   in Loop: Header=BB6_8318 Depth=2
	s_or_saveexec_b32 s27, s27
	v_mov_b32_e32 v29, s26
	s_xor_b32 exec_lo, exec_lo, s27
	s_cbranch_execnz .LBB6_8787
.LBB6_8325:                             ;   in Loop: Header=BB6_8318 Depth=2
	s_or_b32 exec_lo, exec_lo, s27
	s_and_saveexec_b32 s26, s10
	s_cbranch_execz .LBB6_8327
.LBB6_8326:                             ;   in Loop: Header=BB6_8318 Depth=2
	v_bfe_u32 v34, v10, 3, 4
	v_lshlrev_b32_e32 v35, 24, v10
	s_delay_alu instid0(VALU_DEP_2) | instskip(SKIP_1) | instid1(VALU_DEP_1)
	v_cmp_eq_u32_e32 vcc_lo, 0, v34
	v_and_b32_e32 v29, 7, v10
	v_clz_i32_u32_e32 v32, v29
	s_delay_alu instid0(VALU_DEP_1) | instskip(NEXT) | instid1(VALU_DEP_1)
	v_min_u32_e32 v32, 32, v32
	v_subrev_nc_u32_e32 v33, 28, v32
	v_sub_nc_u32_e32 v32, 29, v32
	s_delay_alu instid0(VALU_DEP_1) | instskip(NEXT) | instid1(VALU_DEP_1)
	v_dual_cndmask_b32 v32, v34, v32 :: v_dual_lshlrev_b32 v33, v33, v10
	v_and_b32_e32 v33, 7, v33
	s_delay_alu instid0(VALU_DEP_2) | instskip(NEXT) | instid1(VALU_DEP_2)
	v_lshl_add_u32 v32, v32, 23, 0x3b800000
	v_cndmask_b32_e32 v29, v29, v33, vcc_lo
	v_and_b32_e32 v33, 0x80000000, v35
	s_delay_alu instid0(VALU_DEP_2) | instskip(NEXT) | instid1(VALU_DEP_1)
	v_lshlrev_b32_e32 v29, 20, v29
	v_or3_b32 v29, v33, v32, v29
.LBB6_8327:                             ;   in Loop: Header=BB6_8318 Depth=2
	s_or_b32 exec_lo, exec_lo, s26
	s_delay_alu instid0(VALU_DEP_1) | instskip(SKIP_1) | instid1(VALU_DEP_1)
	v_dual_max_f32 v29, v29, v29 :: v_dual_max_f32 v28, v28, v28
	s_mov_b32 s10, 0
	v_max_f32_e32 v29, v28, v29
	s_branch .LBB6_8329
.LBB6_8328:                             ;   in Loop: Header=BB6_8318 Depth=2
	s_mov_b32 s10, -1
                                        ; implicit-def: $vgpr29
.LBB6_8329:                             ;   in Loop: Header=BB6_8318 Depth=2
	s_delay_alu instid0(SALU_CYCLE_1)
	s_and_b32 vcc_lo, exec_lo, s10
	s_cbranch_vccz .LBB6_8339
; %bb.8330:                             ;   in Loop: Header=BB6_8318 Depth=2
	s_waitcnt vmcnt(1)
	v_and_b32_e32 v29, 0xff, v14
	s_mov_b32 s10, 0
	s_mov_b32 s27, exec_lo
                                        ; implicit-def: $sgpr26
	s_delay_alu instid0(VALU_DEP_1)
	v_cmpx_lt_i16_e32 0x7f, v29
	s_xor_b32 s27, exec_lo, s27
	s_cbranch_execnz .LBB6_8788
; %bb.8331:                             ;   in Loop: Header=BB6_8318 Depth=2
	s_or_saveexec_b32 s27, s27
	v_mov_b32_e32 v28, s26
	s_xor_b32 exec_lo, exec_lo, s27
	s_cbranch_execnz .LBB6_8791
.LBB6_8332:                             ;   in Loop: Header=BB6_8318 Depth=2
	s_or_b32 exec_lo, exec_lo, s27
	s_and_saveexec_b32 s26, s10
	s_cbranch_execz .LBB6_8334
.LBB6_8333:                             ;   in Loop: Header=BB6_8318 Depth=2
	v_bfe_u32 v33, v14, 3, 4
	v_lshlrev_b32_e32 v34, 24, v14
	s_delay_alu instid0(VALU_DEP_2) | instskip(SKIP_1) | instid1(VALU_DEP_1)
	v_cmp_eq_u32_e32 vcc_lo, 0, v33
	v_and_b32_e32 v28, 7, v14
	v_clz_i32_u32_e32 v29, v28
	s_delay_alu instid0(VALU_DEP_1) | instskip(NEXT) | instid1(VALU_DEP_1)
	v_min_u32_e32 v29, 32, v29
	v_subrev_nc_u32_e32 v32, 28, v29
	v_sub_nc_u32_e32 v29, 29, v29
	s_delay_alu instid0(VALU_DEP_1) | instskip(NEXT) | instid1(VALU_DEP_1)
	v_dual_cndmask_b32 v29, v33, v29 :: v_dual_lshlrev_b32 v32, v32, v14
	v_and_b32_e32 v32, 7, v32
	s_delay_alu instid0(VALU_DEP_2) | instskip(NEXT) | instid1(VALU_DEP_2)
	v_lshl_add_u32 v29, v29, 23, 0x3b800000
	v_cndmask_b32_e32 v28, v28, v32, vcc_lo
	v_and_b32_e32 v32, 0x80000000, v34
	s_delay_alu instid0(VALU_DEP_2) | instskip(NEXT) | instid1(VALU_DEP_1)
	v_lshlrev_b32_e32 v28, 20, v28
	v_or3_b32 v28, v32, v29, v28
.LBB6_8334:                             ;   in Loop: Header=BB6_8318 Depth=2
	s_or_b32 exec_lo, exec_lo, s26
	s_waitcnt vmcnt(0)
	v_and_b32_e32 v32, 0xff, v10
	s_mov_b32 s10, 0
	s_mov_b32 s27, exec_lo
                                        ; implicit-def: $sgpr26
	s_delay_alu instid0(VALU_DEP_1)
	v_cmpx_lt_i16_e32 0x7f, v32
	s_xor_b32 s27, exec_lo, s27
	s_cbranch_execnz .LBB6_8792
; %bb.8335:                             ;   in Loop: Header=BB6_8318 Depth=2
	s_or_saveexec_b32 s27, s27
	v_mov_b32_e32 v29, s26
	s_xor_b32 exec_lo, exec_lo, s27
	s_cbranch_execnz .LBB6_8795
.LBB6_8336:                             ;   in Loop: Header=BB6_8318 Depth=2
	s_or_b32 exec_lo, exec_lo, s27
	s_and_saveexec_b32 s26, s10
	s_cbranch_execz .LBB6_8338
.LBB6_8337:                             ;   in Loop: Header=BB6_8318 Depth=2
	v_bfe_u32 v34, v10, 3, 4
	v_lshlrev_b32_e32 v35, 24, v10
	s_delay_alu instid0(VALU_DEP_2) | instskip(SKIP_1) | instid1(VALU_DEP_1)
	v_cmp_eq_u32_e32 vcc_lo, 0, v34
	v_and_b32_e32 v29, 7, v10
	v_clz_i32_u32_e32 v32, v29
	s_delay_alu instid0(VALU_DEP_1) | instskip(NEXT) | instid1(VALU_DEP_1)
	v_min_u32_e32 v32, 32, v32
	v_subrev_nc_u32_e32 v33, 28, v32
	v_sub_nc_u32_e32 v32, 29, v32
	s_delay_alu instid0(VALU_DEP_1) | instskip(NEXT) | instid1(VALU_DEP_1)
	v_dual_cndmask_b32 v32, v34, v32 :: v_dual_lshlrev_b32 v33, v33, v10
	v_and_b32_e32 v33, 7, v33
	s_delay_alu instid0(VALU_DEP_2) | instskip(NEXT) | instid1(VALU_DEP_2)
	v_lshl_add_u32 v32, v32, 23, 0x3b800000
	v_cndmask_b32_e32 v29, v29, v33, vcc_lo
	v_and_b32_e32 v33, 0x80000000, v35
	s_delay_alu instid0(VALU_DEP_2) | instskip(NEXT) | instid1(VALU_DEP_1)
	v_lshlrev_b32_e32 v29, 20, v29
	v_or3_b32 v29, v33, v32, v29
.LBB6_8338:                             ;   in Loop: Header=BB6_8318 Depth=2
	s_or_b32 exec_lo, exec_lo, s26
	s_delay_alu instid0(VALU_DEP_1) | instskip(NEXT) | instid1(VALU_DEP_1)
	v_dual_max_f32 v29, v29, v29 :: v_dual_max_f32 v28, v28, v28
	v_min_f32_e32 v29, v28, v29
.LBB6_8339:                             ;   in Loop: Header=BB6_8318 Depth=2
	s_delay_alu instid0(VALU_DEP_1) | instskip(NEXT) | instid1(VALU_DEP_1)
	v_and_b32_e32 v28, 0x7f800000, v29
	v_cmp_ne_u32_e32 vcc_lo, 0x7f800000, v28
	v_mov_b32_e32 v28, 0x80
	s_and_saveexec_b32 s26, vcc_lo
	s_cbranch_execz .LBB6_8347
; %bb.8340:                             ;   in Loop: Header=BB6_8318 Depth=2
	v_mov_b32_e32 v28, 0
	s_mov_b32 s27, exec_lo
	v_cmpx_ne_u32_e32 0, v29
	s_cbranch_execz .LBB6_8346
; %bb.8341:                             ;   in Loop: Header=BB6_8318 Depth=2
	v_bfe_u32 v28, v29, 23, 8
	v_and_b32_e32 v32, 0x7fffff, v29
	s_delay_alu instid0(VALU_DEP_2) | instskip(SKIP_1) | instid1(VALU_DEP_3)
	v_sub_nc_u32_e32 v33, 0x78, v28
	v_cmp_gt_u32_e32 vcc_lo, 0x79, v28
	v_or_b32_e32 v34, 0x800000, v32
	s_delay_alu instid0(VALU_DEP_3) | instskip(SKIP_2) | instid1(VALU_DEP_4)
	v_cndmask_b32_e32 v33, 0, v33, vcc_lo
	v_cmp_eq_u32_e32 vcc_lo, 0, v28
	v_add_nc_u32_e32 v28, 0xffffff89, v28
	v_cndmask_b32_e32 v32, v34, v32, vcc_lo
	s_delay_alu instid0(VALU_DEP_4) | instskip(NEXT) | instid1(VALU_DEP_3)
	v_cndmask_b32_e64 v33, v33, 0x77, vcc_lo
	v_cndmask_b32_e64 v28, v28, 0xffffff8a, vcc_lo
	s_delay_alu instid0(VALU_DEP_2) | instskip(SKIP_2) | instid1(VALU_DEP_4)
	v_lshrrev_b32_e32 v35, v33, v32
	v_lshl_add_u32 v34, 0x100000, v33, -1
	v_lshlrev_b32_e64 v37, v33, 0x80000
	v_add_nc_u32_e32 v33, v33, v28
	s_delay_alu instid0(VALU_DEP_4) | instskip(NEXT) | instid1(VALU_DEP_4)
	v_bfe_u32 v36, v35, 20, 1
	v_and_b32_e32 v32, v34, v32
	s_delay_alu instid0(VALU_DEP_2) | instskip(NEXT) | instid1(VALU_DEP_2)
	v_add_nc_u32_e32 v34, -1, v36
	v_cmp_eq_u32_e64 s10, v32, v37
	s_delay_alu instid0(VALU_DEP_1) | instskip(SKIP_2) | instid1(VALU_DEP_2)
	v_cndmask_b32_e64 v32, 0, v34, s10
	v_lshrrev_b32_e32 v34, 23, v35
	s_mov_b32 s10, exec_lo
	v_add_nc_u32_e32 v32, v32, v35
	s_delay_alu instid0(VALU_DEP_2) | instskip(NEXT) | instid1(VALU_DEP_2)
	v_xor_b32_e32 v34, 1, v34
	v_and_b32_e32 v28, 0xfffff, v32
	s_delay_alu instid0(VALU_DEP_1) | instskip(NEXT) | instid1(VALU_DEP_3)
	v_add_nc_u32_e32 v32, v28, v35
                                        ; implicit-def: $vgpr28
	v_cmpx_ne_u32_e64 v33, v34
	s_xor_b32 s10, exec_lo, s10
; %bb.8342:                             ;   in Loop: Header=BB6_8318 Depth=2
	s_delay_alu instid0(VALU_DEP_2) | instskip(SKIP_2) | instid1(VALU_DEP_2)
	v_cmp_lt_u32_e32 vcc_lo, 0xffffff, v32
	v_sub_nc_u32_e32 v28, v33, v34
	v_cndmask_b32_e64 v33, 0, 1, vcc_lo
	v_add_co_ci_u32_e32 v28, vcc_lo, 0, v28, vcc_lo
	s_delay_alu instid0(VALU_DEP_2)
	v_lshrrev_b32_e32 v32, v33, v32
; %bb.8343:                             ;   in Loop: Header=BB6_8318 Depth=2
	s_and_not1_saveexec_b32 s10, s10
; %bb.8344:                             ;   in Loop: Header=BB6_8318 Depth=2
	s_delay_alu instid0(VALU_DEP_1)
	v_bfe_u32 v28, v32, 23, 1
; %bb.8345:                             ;   in Loop: Header=BB6_8318 Depth=2
	s_or_b32 exec_lo, exec_lo, s10
	v_lshrrev_b32_e32 v32, 20, v32
	s_delay_alu instid0(VALU_DEP_2) | instskip(SKIP_2) | instid1(VALU_DEP_2)
	v_cmp_gt_i32_e32 vcc_lo, 16, v28
	v_lshrrev_b32_e32 v29, 24, v29
	v_min_i32_e32 v33, 15, v28
	v_dual_cndmask_b32 v32, 7, v32 :: v_dual_and_b32 v29, 0x80, v29
	s_delay_alu instid0(VALU_DEP_2) | instskip(NEXT) | instid1(VALU_DEP_2)
	v_lshlrev_b32_e32 v33, 3, v33
	v_and_b32_e32 v34, 7, v32
	v_or_b32_e32 v28, v28, v32
	s_delay_alu instid0(VALU_DEP_2) | instskip(NEXT) | instid1(VALU_DEP_2)
	v_or3_b32 v29, v33, v29, v34
	v_cmp_ne_u32_e32 vcc_lo, 0, v28
	s_delay_alu instid0(VALU_DEP_2)
	v_cndmask_b32_e32 v28, 0, v29, vcc_lo
.LBB6_8346:                             ;   in Loop: Header=BB6_8318 Depth=2
	s_or_b32 exec_lo, exec_lo, s27
.LBB6_8347:                             ;   in Loop: Header=BB6_8318 Depth=2
	s_delay_alu instid0(SALU_CYCLE_1)
	s_or_b32 exec_lo, exec_lo, s26
	s_waitcnt vmcnt(1)
	v_lshrrev_b16 v32, 8, v14
	s_waitcnt vmcnt(0)
	v_lshrrev_b16 v29, 8, v10
	s_and_b32 vcc_lo, exec_lo, s25
	s_cbranch_vccz .LBB6_8357
; %bb.8348:                             ;   in Loop: Header=BB6_8318 Depth=2
	s_mov_b32 s10, 0
	s_mov_b32 s27, exec_lo
                                        ; implicit-def: $sgpr26
	v_cmpx_lt_i16_e32 0x7f, v32
	s_xor_b32 s27, exec_lo, s27
	s_cbranch_execnz .LBB6_8796
; %bb.8349:                             ;   in Loop: Header=BB6_8318 Depth=2
	s_or_saveexec_b32 s27, s27
	v_mov_b32_e32 v33, s26
	s_xor_b32 exec_lo, exec_lo, s27
	s_cbranch_execnz .LBB6_8799
.LBB6_8350:                             ;   in Loop: Header=BB6_8318 Depth=2
	s_or_b32 exec_lo, exec_lo, s27
	s_and_saveexec_b32 s26, s10
	s_cbranch_execz .LBB6_8352
.LBB6_8351:                             ;   in Loop: Header=BB6_8318 Depth=2
	v_and_b32_e32 v33, 0xffff, v32
	s_delay_alu instid0(VALU_DEP_1) | instskip(NEXT) | instid1(VALU_DEP_1)
	v_and_b32_e32 v34, 7, v33
	v_clz_i32_u32_e32 v35, v34
	s_delay_alu instid0(VALU_DEP_1) | instskip(NEXT) | instid1(VALU_DEP_1)
	v_min_u32_e32 v35, 32, v35
	v_subrev_nc_u32_e32 v36, 28, v35
	v_sub_nc_u32_e32 v35, 29, v35
	s_delay_alu instid0(VALU_DEP_2) | instskip(SKIP_1) | instid1(VALU_DEP_2)
	v_lshlrev_b32_e32 v36, v36, v33
	v_bfe_u32 v33, v33, 3, 4
	v_and_b32_e32 v36, 7, v36
	s_delay_alu instid0(VALU_DEP_2) | instskip(SKIP_1) | instid1(VALU_DEP_3)
	v_cmp_eq_u32_e32 vcc_lo, 0, v33
	v_cndmask_b32_e32 v33, v33, v35, vcc_lo
	v_dual_cndmask_b32 v34, v34, v36 :: v_dual_lshlrev_b32 v37, 16, v14
	s_delay_alu instid0(VALU_DEP_2) | instskip(NEXT) | instid1(VALU_DEP_2)
	v_lshl_add_u32 v33, v33, 23, 0x3b800000
	v_and_b32_e32 v35, 0x80000000, v37
	s_delay_alu instid0(VALU_DEP_3) | instskip(NEXT) | instid1(VALU_DEP_1)
	v_lshlrev_b32_e32 v34, 20, v34
	v_or3_b32 v33, v35, v33, v34
.LBB6_8352:                             ;   in Loop: Header=BB6_8318 Depth=2
	s_or_b32 exec_lo, exec_lo, s26
	s_mov_b32 s10, 0
	s_mov_b32 s27, exec_lo
                                        ; implicit-def: $sgpr26
	v_cmpx_lt_i16_e32 0x7f, v29
	s_xor_b32 s27, exec_lo, s27
	s_cbranch_execnz .LBB6_8800
; %bb.8353:                             ;   in Loop: Header=BB6_8318 Depth=2
	s_or_saveexec_b32 s27, s27
	v_mov_b32_e32 v34, s26
	s_xor_b32 exec_lo, exec_lo, s27
	s_cbranch_execnz .LBB6_8803
.LBB6_8354:                             ;   in Loop: Header=BB6_8318 Depth=2
	s_or_b32 exec_lo, exec_lo, s27
	s_and_saveexec_b32 s26, s10
	s_cbranch_execz .LBB6_8356
.LBB6_8355:                             ;   in Loop: Header=BB6_8318 Depth=2
	v_and_b32_e32 v34, 0xffff, v29
	s_delay_alu instid0(VALU_DEP_1) | instskip(NEXT) | instid1(VALU_DEP_1)
	v_and_b32_e32 v35, 7, v34
	v_clz_i32_u32_e32 v36, v35
	s_delay_alu instid0(VALU_DEP_1) | instskip(NEXT) | instid1(VALU_DEP_1)
	v_min_u32_e32 v36, 32, v36
	v_subrev_nc_u32_e32 v37, 28, v36
	v_sub_nc_u32_e32 v36, 29, v36
	s_delay_alu instid0(VALU_DEP_2) | instskip(SKIP_1) | instid1(VALU_DEP_2)
	v_lshlrev_b32_e32 v37, v37, v34
	v_bfe_u32 v34, v34, 3, 4
	v_and_b32_e32 v37, 7, v37
	s_delay_alu instid0(VALU_DEP_2) | instskip(SKIP_1) | instid1(VALU_DEP_3)
	v_cmp_eq_u32_e32 vcc_lo, 0, v34
	v_cndmask_b32_e32 v34, v34, v36, vcc_lo
	v_dual_cndmask_b32 v35, v35, v37 :: v_dual_lshlrev_b32 v38, 16, v10
	s_delay_alu instid0(VALU_DEP_2) | instskip(NEXT) | instid1(VALU_DEP_2)
	v_lshl_add_u32 v34, v34, 23, 0x3b800000
	v_and_b32_e32 v36, 0x80000000, v38
	s_delay_alu instid0(VALU_DEP_3) | instskip(NEXT) | instid1(VALU_DEP_1)
	v_lshlrev_b32_e32 v35, 20, v35
	v_or3_b32 v34, v36, v34, v35
.LBB6_8356:                             ;   in Loop: Header=BB6_8318 Depth=2
	s_or_b32 exec_lo, exec_lo, s26
	s_delay_alu instid0(VALU_DEP_1) | instskip(SKIP_1) | instid1(VALU_DEP_1)
	v_dual_max_f32 v34, v34, v34 :: v_dual_max_f32 v33, v33, v33
	s_mov_b32 s10, 0
	v_max_f32_e32 v33, v33, v34
	s_branch .LBB6_8358
.LBB6_8357:                             ;   in Loop: Header=BB6_8318 Depth=2
	s_mov_b32 s10, -1
                                        ; implicit-def: $vgpr33
.LBB6_8358:                             ;   in Loop: Header=BB6_8318 Depth=2
	s_delay_alu instid0(SALU_CYCLE_1)
	s_and_b32 vcc_lo, exec_lo, s10
	s_cbranch_vccz .LBB6_8368
; %bb.8359:                             ;   in Loop: Header=BB6_8318 Depth=2
	s_mov_b32 s10, 0
	s_mov_b32 s27, exec_lo
                                        ; implicit-def: $sgpr26
	v_cmpx_lt_i16_e32 0x7f, v32
	s_xor_b32 s27, exec_lo, s27
	s_cbranch_execnz .LBB6_8804
; %bb.8360:                             ;   in Loop: Header=BB6_8318 Depth=2
	s_or_saveexec_b32 s27, s27
	v_mov_b32_e32 v33, s26
	s_xor_b32 exec_lo, exec_lo, s27
	s_cbranch_execnz .LBB6_8807
.LBB6_8361:                             ;   in Loop: Header=BB6_8318 Depth=2
	s_or_b32 exec_lo, exec_lo, s27
	s_and_saveexec_b32 s26, s10
	s_cbranch_execz .LBB6_8363
.LBB6_8362:                             ;   in Loop: Header=BB6_8318 Depth=2
	v_and_b32_e32 v32, 0xffff, v32
	v_lshlrev_b32_e32 v36, 16, v14
	s_delay_alu instid0(VALU_DEP_2) | instskip(NEXT) | instid1(VALU_DEP_1)
	v_and_b32_e32 v33, 7, v32
	v_clz_i32_u32_e32 v34, v33
	s_delay_alu instid0(VALU_DEP_1) | instskip(NEXT) | instid1(VALU_DEP_1)
	v_min_u32_e32 v34, 32, v34
	v_subrev_nc_u32_e32 v35, 28, v34
	v_sub_nc_u32_e32 v34, 29, v34
	s_delay_alu instid0(VALU_DEP_2) | instskip(SKIP_1) | instid1(VALU_DEP_2)
	v_lshlrev_b32_e32 v35, v35, v32
	v_bfe_u32 v32, v32, 3, 4
	v_and_b32_e32 v35, 7, v35
	s_delay_alu instid0(VALU_DEP_2) | instskip(NEXT) | instid1(VALU_DEP_2)
	v_cmp_eq_u32_e32 vcc_lo, 0, v32
	v_dual_cndmask_b32 v32, v32, v34 :: v_dual_cndmask_b32 v33, v33, v35
	v_and_b32_e32 v34, 0x80000000, v36
	s_delay_alu instid0(VALU_DEP_2) | instskip(NEXT) | instid1(VALU_DEP_3)
	v_lshl_add_u32 v32, v32, 23, 0x3b800000
	v_lshlrev_b32_e32 v33, 20, v33
	s_delay_alu instid0(VALU_DEP_1)
	v_or3_b32 v33, v34, v32, v33
.LBB6_8363:                             ;   in Loop: Header=BB6_8318 Depth=2
	s_or_b32 exec_lo, exec_lo, s26
	s_mov_b32 s10, 0
	s_mov_b32 s27, exec_lo
                                        ; implicit-def: $sgpr26
	v_cmpx_lt_i16_e32 0x7f, v29
	s_xor_b32 s27, exec_lo, s27
	s_cbranch_execnz .LBB6_8808
; %bb.8364:                             ;   in Loop: Header=BB6_8318 Depth=2
	s_or_saveexec_b32 s27, s27
	v_mov_b32_e32 v32, s26
	s_xor_b32 exec_lo, exec_lo, s27
	s_cbranch_execnz .LBB6_8811
.LBB6_8365:                             ;   in Loop: Header=BB6_8318 Depth=2
	s_or_b32 exec_lo, exec_lo, s27
	s_and_saveexec_b32 s26, s10
	s_cbranch_execz .LBB6_8367
.LBB6_8366:                             ;   in Loop: Header=BB6_8318 Depth=2
	v_and_b32_e32 v29, 0xffff, v29
	v_lshlrev_b32_e32 v36, 16, v10
	s_delay_alu instid0(VALU_DEP_2) | instskip(NEXT) | instid1(VALU_DEP_1)
	v_and_b32_e32 v32, 7, v29
	v_clz_i32_u32_e32 v34, v32
	s_delay_alu instid0(VALU_DEP_1) | instskip(NEXT) | instid1(VALU_DEP_1)
	v_min_u32_e32 v34, 32, v34
	v_subrev_nc_u32_e32 v35, 28, v34
	v_sub_nc_u32_e32 v34, 29, v34
	s_delay_alu instid0(VALU_DEP_2) | instskip(SKIP_1) | instid1(VALU_DEP_2)
	v_lshlrev_b32_e32 v35, v35, v29
	v_bfe_u32 v29, v29, 3, 4
	v_and_b32_e32 v35, 7, v35
	s_delay_alu instid0(VALU_DEP_2) | instskip(NEXT) | instid1(VALU_DEP_2)
	v_cmp_eq_u32_e32 vcc_lo, 0, v29
	v_dual_cndmask_b32 v29, v29, v34 :: v_dual_cndmask_b32 v32, v32, v35
	v_and_b32_e32 v34, 0x80000000, v36
	s_delay_alu instid0(VALU_DEP_2) | instskip(NEXT) | instid1(VALU_DEP_3)
	v_lshl_add_u32 v29, v29, 23, 0x3b800000
	v_lshlrev_b32_e32 v32, 20, v32
	s_delay_alu instid0(VALU_DEP_1)
	v_or3_b32 v32, v34, v29, v32
.LBB6_8367:                             ;   in Loop: Header=BB6_8318 Depth=2
	s_or_b32 exec_lo, exec_lo, s26
	s_delay_alu instid0(VALU_DEP_1) | instskip(NEXT) | instid1(VALU_DEP_1)
	v_dual_max_f32 v29, v32, v32 :: v_dual_max_f32 v32, v33, v33
	v_min_f32_e32 v33, v32, v29
.LBB6_8368:                             ;   in Loop: Header=BB6_8318 Depth=2
	s_delay_alu instid0(VALU_DEP_1) | instskip(NEXT) | instid1(VALU_DEP_1)
	v_and_b32_e32 v29, 0x7f800000, v33
	v_cmp_ne_u32_e32 vcc_lo, 0x7f800000, v29
	v_mov_b32_e32 v29, 0x80
	s_and_saveexec_b32 s26, vcc_lo
	s_cbranch_execz .LBB6_8376
; %bb.8369:                             ;   in Loop: Header=BB6_8318 Depth=2
	v_mov_b32_e32 v29, 0
	s_mov_b32 s27, exec_lo
	v_cmpx_ne_u32_e32 0, v33
	s_cbranch_execz .LBB6_8375
; %bb.8370:                             ;   in Loop: Header=BB6_8318 Depth=2
	v_bfe_u32 v29, v33, 23, 8
	v_and_b32_e32 v32, 0x7fffff, v33
	s_delay_alu instid0(VALU_DEP_2) | instskip(SKIP_1) | instid1(VALU_DEP_3)
	v_sub_nc_u32_e32 v34, 0x78, v29
	v_cmp_gt_u32_e32 vcc_lo, 0x79, v29
	v_or_b32_e32 v35, 0x800000, v32
	s_delay_alu instid0(VALU_DEP_3) | instskip(SKIP_2) | instid1(VALU_DEP_3)
	v_cndmask_b32_e32 v34, 0, v34, vcc_lo
	v_cmp_eq_u32_e32 vcc_lo, 0, v29
	v_add_nc_u32_e32 v29, 0xffffff89, v29
	v_cndmask_b32_e64 v34, v34, 0x77, vcc_lo
	v_cndmask_b32_e32 v32, v35, v32, vcc_lo
	s_delay_alu instid0(VALU_DEP_3) | instskip(NEXT) | instid1(VALU_DEP_3)
	v_cndmask_b32_e64 v29, v29, 0xffffff8a, vcc_lo
	v_lshl_add_u32 v35, 0x100000, v34, -1
	s_delay_alu instid0(VALU_DEP_3) | instskip(SKIP_1) | instid1(VALU_DEP_4)
	v_lshrrev_b32_e32 v36, v34, v32
	v_lshlrev_b32_e64 v38, v34, 0x80000
	v_add_nc_u32_e32 v34, v34, v29
	s_delay_alu instid0(VALU_DEP_4) | instskip(NEXT) | instid1(VALU_DEP_4)
	v_and_b32_e32 v32, v35, v32
	v_bfe_u32 v37, v36, 20, 1
	s_delay_alu instid0(VALU_DEP_2) | instskip(NEXT) | instid1(VALU_DEP_2)
	v_cmp_eq_u32_e64 s10, v32, v38
	v_add_nc_u32_e32 v35, -1, v37
	s_delay_alu instid0(VALU_DEP_1) | instskip(SKIP_2) | instid1(VALU_DEP_2)
	v_cndmask_b32_e64 v32, 0, v35, s10
	v_lshrrev_b32_e32 v35, 23, v36
	s_mov_b32 s10, exec_lo
	v_add_nc_u32_e32 v32, v32, v36
	s_delay_alu instid0(VALU_DEP_2) | instskip(NEXT) | instid1(VALU_DEP_2)
	v_xor_b32_e32 v35, 1, v35
	v_and_b32_e32 v29, 0xfffff, v32
	s_delay_alu instid0(VALU_DEP_1) | instskip(NEXT) | instid1(VALU_DEP_3)
	v_add_nc_u32_e32 v32, v29, v36
                                        ; implicit-def: $vgpr29
	v_cmpx_ne_u32_e64 v34, v35
	s_xor_b32 s10, exec_lo, s10
; %bb.8371:                             ;   in Loop: Header=BB6_8318 Depth=2
	s_delay_alu instid0(VALU_DEP_2) | instskip(SKIP_2) | instid1(VALU_DEP_2)
	v_cmp_lt_u32_e32 vcc_lo, 0xffffff, v32
	v_sub_nc_u32_e32 v29, v34, v35
	v_cndmask_b32_e64 v34, 0, 1, vcc_lo
	v_add_co_ci_u32_e32 v29, vcc_lo, 0, v29, vcc_lo
	s_delay_alu instid0(VALU_DEP_2)
	v_lshrrev_b32_e32 v32, v34, v32
; %bb.8372:                             ;   in Loop: Header=BB6_8318 Depth=2
	s_and_not1_saveexec_b32 s10, s10
; %bb.8373:                             ;   in Loop: Header=BB6_8318 Depth=2
	s_delay_alu instid0(VALU_DEP_1)
	v_bfe_u32 v29, v32, 23, 1
; %bb.8374:                             ;   in Loop: Header=BB6_8318 Depth=2
	s_or_b32 exec_lo, exec_lo, s10
	v_lshrrev_b32_e32 v32, 20, v32
	s_delay_alu instid0(VALU_DEP_2) | instskip(SKIP_2) | instid1(VALU_DEP_2)
	v_cmp_gt_i32_e32 vcc_lo, 16, v29
	v_lshrrev_b32_e32 v33, 24, v33
	v_min_i32_e32 v34, 15, v29
	v_dual_cndmask_b32 v32, 7, v32 :: v_dual_and_b32 v33, 0x80, v33
	s_delay_alu instid0(VALU_DEP_1) | instskip(SKIP_1) | instid1(VALU_DEP_2)
	v_or_b32_e32 v29, v29, v32
	v_and_b32_e32 v35, 7, v32
	v_cmp_ne_u32_e32 vcc_lo, 0, v29
	v_lshlrev_b32_e32 v34, 3, v34
	s_delay_alu instid0(VALU_DEP_1) | instskip(NEXT) | instid1(VALU_DEP_1)
	v_or3_b32 v32, v34, v33, v35
	v_cndmask_b32_e32 v29, 0, v32, vcc_lo
.LBB6_8375:                             ;   in Loop: Header=BB6_8318 Depth=2
	s_or_b32 exec_lo, exec_lo, s27
.LBB6_8376:                             ;   in Loop: Header=BB6_8318 Depth=2
	s_delay_alu instid0(SALU_CYCLE_1)
	s_or_b32 exec_lo, exec_lo, s26
	v_lshrrev_b32_e32 v33, 16, v14
	v_lshrrev_b32_e32 v32, 16, v10
	s_and_b32 vcc_lo, exec_lo, s25
	s_cbranch_vccz .LBB6_8386
; %bb.8377:                             ;   in Loop: Header=BB6_8318 Depth=2
	s_delay_alu instid0(VALU_DEP_2) | instskip(SKIP_2) | instid1(VALU_DEP_1)
	v_and_b32_e32 v35, 0xff, v33
	s_mov_b32 s10, 0
	s_mov_b32 s27, exec_lo
                                        ; implicit-def: $sgpr26
	v_cmpx_lt_i16_e32 0x7f, v35
	s_xor_b32 s27, exec_lo, s27
	s_cbranch_execnz .LBB6_8812
; %bb.8378:                             ;   in Loop: Header=BB6_8318 Depth=2
	s_or_saveexec_b32 s27, s27
	v_mov_b32_e32 v34, s26
	s_xor_b32 exec_lo, exec_lo, s27
	s_cbranch_execnz .LBB6_8815
.LBB6_8379:                             ;   in Loop: Header=BB6_8318 Depth=2
	s_or_b32 exec_lo, exec_lo, s27
	s_and_saveexec_b32 s26, s10
	s_cbranch_execz .LBB6_8381
.LBB6_8380:                             ;   in Loop: Header=BB6_8318 Depth=2
	v_bfe_u32 v34, v14, 16, 3
	v_bfe_u32 v37, v14, 19, 4
	v_lshlrev_b32_e32 v38, 24, v33
	s_delay_alu instid0(VALU_DEP_3) | instskip(NEXT) | instid1(VALU_DEP_3)
	v_clz_i32_u32_e32 v35, v34
	v_cmp_eq_u32_e32 vcc_lo, 0, v37
	s_delay_alu instid0(VALU_DEP_2) | instskip(NEXT) | instid1(VALU_DEP_1)
	v_min_u32_e32 v35, 32, v35
	v_subrev_nc_u32_e32 v36, 28, v35
	v_sub_nc_u32_e32 v35, 29, v35
	s_delay_alu instid0(VALU_DEP_1) | instskip(NEXT) | instid1(VALU_DEP_1)
	v_dual_cndmask_b32 v35, v37, v35 :: v_dual_lshlrev_b32 v36, v36, v33
	v_and_b32_e32 v36, 7, v36
	s_delay_alu instid0(VALU_DEP_2) | instskip(NEXT) | instid1(VALU_DEP_2)
	v_lshl_add_u32 v35, v35, 23, 0x3b800000
	v_cndmask_b32_e32 v34, v34, v36, vcc_lo
	v_and_b32_e32 v36, 0x80000000, v38
	s_delay_alu instid0(VALU_DEP_2) | instskip(NEXT) | instid1(VALU_DEP_1)
	v_lshlrev_b32_e32 v34, 20, v34
	v_or3_b32 v34, v36, v35, v34
.LBB6_8381:                             ;   in Loop: Header=BB6_8318 Depth=2
	s_or_b32 exec_lo, exec_lo, s26
	v_and_b32_e32 v36, 0xff, v32
	s_mov_b32 s10, 0
	s_mov_b32 s27, exec_lo
                                        ; implicit-def: $sgpr26
	s_delay_alu instid0(VALU_DEP_1)
	v_cmpx_lt_i16_e32 0x7f, v36
	s_xor_b32 s27, exec_lo, s27
	s_cbranch_execnz .LBB6_8816
; %bb.8382:                             ;   in Loop: Header=BB6_8318 Depth=2
	s_or_saveexec_b32 s27, s27
	v_mov_b32_e32 v35, s26
	s_xor_b32 exec_lo, exec_lo, s27
	s_cbranch_execnz .LBB6_8819
.LBB6_8383:                             ;   in Loop: Header=BB6_8318 Depth=2
	s_or_b32 exec_lo, exec_lo, s27
	s_and_saveexec_b32 s26, s10
	s_cbranch_execz .LBB6_8385
.LBB6_8384:                             ;   in Loop: Header=BB6_8318 Depth=2
	v_bfe_u32 v35, v10, 16, 3
	v_bfe_u32 v38, v10, 19, 4
	v_lshlrev_b32_e32 v39, 24, v32
	s_delay_alu instid0(VALU_DEP_3) | instskip(NEXT) | instid1(VALU_DEP_3)
	v_clz_i32_u32_e32 v36, v35
	v_cmp_eq_u32_e32 vcc_lo, 0, v38
	s_delay_alu instid0(VALU_DEP_2) | instskip(NEXT) | instid1(VALU_DEP_1)
	v_min_u32_e32 v36, 32, v36
	v_subrev_nc_u32_e32 v37, 28, v36
	v_sub_nc_u32_e32 v36, 29, v36
	s_delay_alu instid0(VALU_DEP_2) | instskip(NEXT) | instid1(VALU_DEP_1)
	v_lshlrev_b32_e32 v37, v37, v32
	v_dual_cndmask_b32 v36, v38, v36 :: v_dual_and_b32 v37, 7, v37
	s_delay_alu instid0(VALU_DEP_1) | instskip(NEXT) | instid1(VALU_DEP_2)
	v_lshl_add_u32 v36, v36, 23, 0x3b800000
	v_cndmask_b32_e32 v35, v35, v37, vcc_lo
	v_and_b32_e32 v37, 0x80000000, v39
	s_delay_alu instid0(VALU_DEP_2) | instskip(NEXT) | instid1(VALU_DEP_1)
	v_lshlrev_b32_e32 v35, 20, v35
	v_or3_b32 v35, v37, v36, v35
.LBB6_8385:                             ;   in Loop: Header=BB6_8318 Depth=2
	s_or_b32 exec_lo, exec_lo, s26
	s_delay_alu instid0(VALU_DEP_1) | instskip(SKIP_1) | instid1(VALU_DEP_1)
	v_dual_max_f32 v35, v35, v35 :: v_dual_max_f32 v34, v34, v34
	s_mov_b32 s10, 0
	v_max_f32_e32 v34, v34, v35
	s_branch .LBB6_8387
.LBB6_8386:                             ;   in Loop: Header=BB6_8318 Depth=2
	s_mov_b32 s10, -1
                                        ; implicit-def: $vgpr34
.LBB6_8387:                             ;   in Loop: Header=BB6_8318 Depth=2
	s_delay_alu instid0(SALU_CYCLE_1)
	s_and_b32 vcc_lo, exec_lo, s10
	s_cbranch_vccz .LBB6_8397
; %bb.8388:                             ;   in Loop: Header=BB6_8318 Depth=2
	v_and_b32_e32 v35, 0xff, v33
	s_mov_b32 s10, 0
	s_mov_b32 s27, exec_lo
                                        ; implicit-def: $sgpr26
	s_delay_alu instid0(VALU_DEP_1)
	v_cmpx_lt_i16_e32 0x7f, v35
	s_xor_b32 s27, exec_lo, s27
	s_cbranch_execnz .LBB6_8820
; %bb.8389:                             ;   in Loop: Header=BB6_8318 Depth=2
	s_or_saveexec_b32 s27, s27
	v_mov_b32_e32 v34, s26
	s_xor_b32 exec_lo, exec_lo, s27
	s_cbranch_execnz .LBB6_8823
.LBB6_8390:                             ;   in Loop: Header=BB6_8318 Depth=2
	s_or_b32 exec_lo, exec_lo, s27
	s_and_saveexec_b32 s26, s10
	s_cbranch_execz .LBB6_8392
.LBB6_8391:                             ;   in Loop: Header=BB6_8318 Depth=2
	v_bfe_u32 v34, v14, 16, 3
	v_bfe_u32 v37, v14, 19, 4
	s_delay_alu instid0(VALU_DEP_2) | instskip(NEXT) | instid1(VALU_DEP_2)
	v_clz_i32_u32_e32 v35, v34
	v_cmp_eq_u32_e32 vcc_lo, 0, v37
	s_delay_alu instid0(VALU_DEP_2) | instskip(NEXT) | instid1(VALU_DEP_1)
	v_min_u32_e32 v35, 32, v35
	v_subrev_nc_u32_e32 v36, 28, v35
	v_sub_nc_u32_e32 v35, 29, v35
	s_delay_alu instid0(VALU_DEP_1) | instskip(NEXT) | instid1(VALU_DEP_1)
	v_dual_cndmask_b32 v35, v37, v35 :: v_dual_lshlrev_b32 v36, v36, v33
	v_and_b32_e32 v36, 7, v36
	v_lshlrev_b32_e32 v33, 24, v33
	s_delay_alu instid0(VALU_DEP_3) | instskip(NEXT) | instid1(VALU_DEP_2)
	v_lshl_add_u32 v35, v35, 23, 0x3b800000
	v_dual_cndmask_b32 v34, v34, v36 :: v_dual_and_b32 v33, 0x80000000, v33
	s_delay_alu instid0(VALU_DEP_1) | instskip(NEXT) | instid1(VALU_DEP_1)
	v_lshlrev_b32_e32 v34, 20, v34
	v_or3_b32 v34, v33, v35, v34
.LBB6_8392:                             ;   in Loop: Header=BB6_8318 Depth=2
	s_or_b32 exec_lo, exec_lo, s26
	v_and_b32_e32 v35, 0xff, v32
	s_mov_b32 s10, 0
	s_mov_b32 s27, exec_lo
                                        ; implicit-def: $sgpr26
	s_delay_alu instid0(VALU_DEP_1)
	v_cmpx_lt_i16_e32 0x7f, v35
	s_xor_b32 s27, exec_lo, s27
	s_cbranch_execnz .LBB6_8824
; %bb.8393:                             ;   in Loop: Header=BB6_8318 Depth=2
	s_or_saveexec_b32 s27, s27
	v_mov_b32_e32 v33, s26
	s_xor_b32 exec_lo, exec_lo, s27
	s_cbranch_execnz .LBB6_8827
.LBB6_8394:                             ;   in Loop: Header=BB6_8318 Depth=2
	s_or_b32 exec_lo, exec_lo, s27
	s_and_saveexec_b32 s26, s10
	s_cbranch_execz .LBB6_8396
.LBB6_8395:                             ;   in Loop: Header=BB6_8318 Depth=2
	v_bfe_u32 v33, v10, 16, 3
	v_bfe_u32 v37, v10, 19, 4
	s_delay_alu instid0(VALU_DEP_2) | instskip(NEXT) | instid1(VALU_DEP_2)
	v_clz_i32_u32_e32 v35, v33
	v_cmp_eq_u32_e32 vcc_lo, 0, v37
	s_delay_alu instid0(VALU_DEP_2) | instskip(NEXT) | instid1(VALU_DEP_1)
	v_min_u32_e32 v35, 32, v35
	v_subrev_nc_u32_e32 v36, 28, v35
	v_sub_nc_u32_e32 v35, 29, v35
	s_delay_alu instid0(VALU_DEP_1) | instskip(SKIP_1) | instid1(VALU_DEP_2)
	v_dual_cndmask_b32 v35, v37, v35 :: v_dual_lshlrev_b32 v36, v36, v32
	v_lshlrev_b32_e32 v32, 24, v32
	v_and_b32_e32 v36, 7, v36
	s_delay_alu instid0(VALU_DEP_3) | instskip(NEXT) | instid1(VALU_DEP_3)
	v_lshl_add_u32 v35, v35, 23, 0x3b800000
	v_and_b32_e32 v32, 0x80000000, v32
	s_delay_alu instid0(VALU_DEP_3) | instskip(NEXT) | instid1(VALU_DEP_1)
	v_cndmask_b32_e32 v33, v33, v36, vcc_lo
	v_lshlrev_b32_e32 v33, 20, v33
	s_delay_alu instid0(VALU_DEP_1)
	v_or3_b32 v33, v32, v35, v33
.LBB6_8396:                             ;   in Loop: Header=BB6_8318 Depth=2
	s_or_b32 exec_lo, exec_lo, s26
	s_delay_alu instid0(VALU_DEP_1) | instskip(NEXT) | instid1(VALU_DEP_1)
	v_dual_max_f32 v32, v33, v33 :: v_dual_max_f32 v33, v34, v34
	v_min_f32_e32 v34, v33, v32
.LBB6_8397:                             ;   in Loop: Header=BB6_8318 Depth=2
	s_delay_alu instid0(VALU_DEP_1) | instskip(NEXT) | instid1(VALU_DEP_1)
	v_and_b32_e32 v32, 0x7f800000, v34
	v_cmp_ne_u32_e32 vcc_lo, 0x7f800000, v32
	v_mov_b32_e32 v32, 0x80
	s_and_saveexec_b32 s26, vcc_lo
	s_cbranch_execz .LBB6_8405
; %bb.8398:                             ;   in Loop: Header=BB6_8318 Depth=2
	v_mov_b32_e32 v32, 0
	s_mov_b32 s27, exec_lo
	v_cmpx_ne_u32_e32 0, v34
	s_cbranch_execz .LBB6_8404
; %bb.8399:                             ;   in Loop: Header=BB6_8318 Depth=2
	v_bfe_u32 v32, v34, 23, 8
	v_and_b32_e32 v33, 0x7fffff, v34
	s_delay_alu instid0(VALU_DEP_2) | instskip(SKIP_1) | instid1(VALU_DEP_3)
	v_sub_nc_u32_e32 v35, 0x78, v32
	v_cmp_gt_u32_e32 vcc_lo, 0x79, v32
	v_or_b32_e32 v36, 0x800000, v33
	s_delay_alu instid0(VALU_DEP_3) | instskip(SKIP_2) | instid1(VALU_DEP_3)
	v_cndmask_b32_e32 v35, 0, v35, vcc_lo
	v_cmp_eq_u32_e32 vcc_lo, 0, v32
	v_add_nc_u32_e32 v32, 0xffffff89, v32
	v_cndmask_b32_e64 v35, v35, 0x77, vcc_lo
	v_cndmask_b32_e32 v33, v36, v33, vcc_lo
	s_delay_alu instid0(VALU_DEP_3) | instskip(NEXT) | instid1(VALU_DEP_3)
	v_cndmask_b32_e64 v32, v32, 0xffffff8a, vcc_lo
	v_lshl_add_u32 v36, 0x100000, v35, -1
	s_delay_alu instid0(VALU_DEP_3) | instskip(SKIP_1) | instid1(VALU_DEP_4)
	v_lshrrev_b32_e32 v37, v35, v33
	v_lshlrev_b32_e64 v39, v35, 0x80000
	v_add_nc_u32_e32 v35, v35, v32
	s_delay_alu instid0(VALU_DEP_4) | instskip(NEXT) | instid1(VALU_DEP_4)
	v_and_b32_e32 v33, v36, v33
	v_bfe_u32 v38, v37, 20, 1
	s_delay_alu instid0(VALU_DEP_2) | instskip(NEXT) | instid1(VALU_DEP_2)
	v_cmp_eq_u32_e64 s10, v33, v39
	v_add_nc_u32_e32 v36, -1, v38
	s_delay_alu instid0(VALU_DEP_1) | instskip(SKIP_2) | instid1(VALU_DEP_2)
	v_cndmask_b32_e64 v33, 0, v36, s10
	v_lshrrev_b32_e32 v36, 23, v37
	s_mov_b32 s10, exec_lo
	v_add_nc_u32_e32 v33, v33, v37
	s_delay_alu instid0(VALU_DEP_2) | instskip(NEXT) | instid1(VALU_DEP_2)
	v_xor_b32_e32 v36, 1, v36
	v_and_b32_e32 v32, 0xfffff, v33
	s_delay_alu instid0(VALU_DEP_1) | instskip(NEXT) | instid1(VALU_DEP_3)
	v_add_nc_u32_e32 v33, v32, v37
                                        ; implicit-def: $vgpr32
	v_cmpx_ne_u32_e64 v35, v36
	s_xor_b32 s10, exec_lo, s10
; %bb.8400:                             ;   in Loop: Header=BB6_8318 Depth=2
	s_delay_alu instid0(VALU_DEP_2) | instskip(SKIP_2) | instid1(VALU_DEP_2)
	v_cmp_lt_u32_e32 vcc_lo, 0xffffff, v33
	v_sub_nc_u32_e32 v32, v35, v36
	v_cndmask_b32_e64 v35, 0, 1, vcc_lo
	v_add_co_ci_u32_e32 v32, vcc_lo, 0, v32, vcc_lo
	s_delay_alu instid0(VALU_DEP_2)
	v_lshrrev_b32_e32 v33, v35, v33
; %bb.8401:                             ;   in Loop: Header=BB6_8318 Depth=2
	s_and_not1_saveexec_b32 s10, s10
; %bb.8402:                             ;   in Loop: Header=BB6_8318 Depth=2
	s_delay_alu instid0(VALU_DEP_1)
	v_bfe_u32 v32, v33, 23, 1
; %bb.8403:                             ;   in Loop: Header=BB6_8318 Depth=2
	s_or_b32 exec_lo, exec_lo, s10
	v_lshrrev_b32_e32 v33, 20, v33
	s_delay_alu instid0(VALU_DEP_2) | instskip(SKIP_2) | instid1(VALU_DEP_2)
	v_cmp_gt_i32_e32 vcc_lo, 16, v32
	v_lshrrev_b32_e32 v34, 24, v34
	v_min_i32_e32 v35, 15, v32
	v_dual_cndmask_b32 v33, 7, v33 :: v_dual_and_b32 v34, 0x80, v34
	s_delay_alu instid0(VALU_DEP_1) | instskip(SKIP_1) | instid1(VALU_DEP_2)
	v_or_b32_e32 v32, v32, v33
	v_and_b32_e32 v36, 7, v33
	v_cmp_ne_u32_e32 vcc_lo, 0, v32
	v_lshlrev_b32_e32 v35, 3, v35
	s_delay_alu instid0(VALU_DEP_1) | instskip(NEXT) | instid1(VALU_DEP_1)
	v_or3_b32 v33, v35, v34, v36
	v_cndmask_b32_e32 v32, 0, v33, vcc_lo
.LBB6_8404:                             ;   in Loop: Header=BB6_8318 Depth=2
	s_or_b32 exec_lo, exec_lo, s27
.LBB6_8405:                             ;   in Loop: Header=BB6_8318 Depth=2
	s_delay_alu instid0(SALU_CYCLE_1)
	s_or_b32 exec_lo, exec_lo, s26
	v_lshrrev_b32_e32 v34, 24, v14
	v_lshrrev_b32_e32 v33, 24, v10
	s_and_b32 vcc_lo, exec_lo, s25
	s_cbranch_vccz .LBB6_8415
; %bb.8406:                             ;   in Loop: Header=BB6_8318 Depth=2
	s_mov_b32 s10, 0
	s_mov_b32 s27, exec_lo
                                        ; implicit-def: $sgpr26
	v_cmpx_lt_i16_e32 0x7f, v34
	s_xor_b32 s27, exec_lo, s27
	s_cbranch_execnz .LBB6_8828
; %bb.8407:                             ;   in Loop: Header=BB6_8318 Depth=2
	s_or_saveexec_b32 s27, s27
	v_mov_b32_e32 v35, s26
	s_xor_b32 exec_lo, exec_lo, s27
	s_cbranch_execnz .LBB6_8831
.LBB6_8408:                             ;   in Loop: Header=BB6_8318 Depth=2
	s_or_b32 exec_lo, exec_lo, s27
	s_and_saveexec_b32 s26, s10
	s_cbranch_execz .LBB6_8410
.LBB6_8409:                             ;   in Loop: Header=BB6_8318 Depth=2
	v_bfe_u32 v35, v14, 24, 3
	v_bfe_u32 v38, v14, 27, 4
	s_delay_alu instid0(VALU_DEP_2) | instskip(NEXT) | instid1(VALU_DEP_2)
	v_clz_i32_u32_e32 v36, v35
	v_cmp_eq_u32_e32 vcc_lo, 0, v38
	s_delay_alu instid0(VALU_DEP_2) | instskip(NEXT) | instid1(VALU_DEP_1)
	v_min_u32_e32 v36, 32, v36
	v_subrev_nc_u32_e32 v37, 28, v36
	v_sub_nc_u32_e32 v36, 29, v36
	s_delay_alu instid0(VALU_DEP_1) | instskip(NEXT) | instid1(VALU_DEP_1)
	v_dual_cndmask_b32 v36, v38, v36 :: v_dual_lshlrev_b32 v37, v37, v34
	v_and_b32_e32 v37, 7, v37
	s_delay_alu instid0(VALU_DEP_2) | instskip(NEXT) | instid1(VALU_DEP_2)
	v_lshl_add_u32 v36, v36, 23, 0x3b800000
	v_cndmask_b32_e32 v35, v35, v37, vcc_lo
	v_and_b32_e32 v37, 0x80000000, v14
	s_delay_alu instid0(VALU_DEP_2) | instskip(NEXT) | instid1(VALU_DEP_1)
	v_lshlrev_b32_e32 v35, 20, v35
	v_or3_b32 v35, v37, v36, v35
.LBB6_8410:                             ;   in Loop: Header=BB6_8318 Depth=2
	s_or_b32 exec_lo, exec_lo, s26
	s_mov_b32 s10, 0
	s_mov_b32 s27, exec_lo
                                        ; implicit-def: $sgpr26
	v_cmpx_lt_i16_e32 0x7f, v33
	s_xor_b32 s27, exec_lo, s27
	s_cbranch_execnz .LBB6_8832
; %bb.8411:                             ;   in Loop: Header=BB6_8318 Depth=2
	s_or_saveexec_b32 s27, s27
	v_mov_b32_e32 v36, s26
	s_xor_b32 exec_lo, exec_lo, s27
	s_cbranch_execnz .LBB6_8835
.LBB6_8412:                             ;   in Loop: Header=BB6_8318 Depth=2
	s_or_b32 exec_lo, exec_lo, s27
	s_and_saveexec_b32 s26, s10
	s_cbranch_execz .LBB6_8414
.LBB6_8413:                             ;   in Loop: Header=BB6_8318 Depth=2
	v_bfe_u32 v36, v10, 24, 3
	v_bfe_u32 v39, v10, 27, 4
	s_delay_alu instid0(VALU_DEP_2) | instskip(NEXT) | instid1(VALU_DEP_2)
	v_clz_i32_u32_e32 v37, v36
	v_cmp_eq_u32_e32 vcc_lo, 0, v39
	s_delay_alu instid0(VALU_DEP_2) | instskip(NEXT) | instid1(VALU_DEP_1)
	v_min_u32_e32 v37, 32, v37
	v_subrev_nc_u32_e32 v38, 28, v37
	v_sub_nc_u32_e32 v37, 29, v37
	s_delay_alu instid0(VALU_DEP_2) | instskip(NEXT) | instid1(VALU_DEP_1)
	v_lshlrev_b32_e32 v38, v38, v33
	v_dual_cndmask_b32 v37, v39, v37 :: v_dual_and_b32 v38, 7, v38
	s_delay_alu instid0(VALU_DEP_1) | instskip(NEXT) | instid1(VALU_DEP_2)
	v_lshl_add_u32 v37, v37, 23, 0x3b800000
	v_cndmask_b32_e32 v36, v36, v38, vcc_lo
	v_and_b32_e32 v38, 0x80000000, v10
	s_delay_alu instid0(VALU_DEP_2) | instskip(NEXT) | instid1(VALU_DEP_1)
	v_lshlrev_b32_e32 v36, 20, v36
	v_or3_b32 v36, v38, v37, v36
.LBB6_8414:                             ;   in Loop: Header=BB6_8318 Depth=2
	s_or_b32 exec_lo, exec_lo, s26
	s_delay_alu instid0(VALU_DEP_1) | instskip(SKIP_1) | instid1(VALU_DEP_1)
	v_dual_max_f32 v36, v36, v36 :: v_dual_max_f32 v35, v35, v35
	s_mov_b32 s10, 0
	v_max_f32_e32 v35, v35, v36
	s_branch .LBB6_8416
.LBB6_8415:                             ;   in Loop: Header=BB6_8318 Depth=2
	s_mov_b32 s10, -1
                                        ; implicit-def: $vgpr35
.LBB6_8416:                             ;   in Loop: Header=BB6_8318 Depth=2
	s_delay_alu instid0(SALU_CYCLE_1)
	s_and_b32 vcc_lo, exec_lo, s10
	s_cbranch_vccz .LBB6_8426
; %bb.8417:                             ;   in Loop: Header=BB6_8318 Depth=2
	s_mov_b32 s10, 0
	s_mov_b32 s27, exec_lo
                                        ; implicit-def: $sgpr26
	v_cmpx_lt_i16_e32 0x7f, v34
	s_xor_b32 s27, exec_lo, s27
	s_cbranch_execnz .LBB6_8836
; %bb.8418:                             ;   in Loop: Header=BB6_8318 Depth=2
	s_or_saveexec_b32 s27, s27
	v_mov_b32_e32 v35, s26
	s_xor_b32 exec_lo, exec_lo, s27
	s_cbranch_execnz .LBB6_8839
.LBB6_8419:                             ;   in Loop: Header=BB6_8318 Depth=2
	s_or_b32 exec_lo, exec_lo, s27
	s_and_saveexec_b32 s26, s10
	s_cbranch_execz .LBB6_8421
.LBB6_8420:                             ;   in Loop: Header=BB6_8318 Depth=2
	v_bfe_u32 v35, v14, 24, 3
	s_delay_alu instid0(VALU_DEP_1) | instskip(NEXT) | instid1(VALU_DEP_1)
	v_clz_i32_u32_e32 v36, v35
	v_min_u32_e32 v36, 32, v36
	s_delay_alu instid0(VALU_DEP_1) | instskip(SKIP_1) | instid1(VALU_DEP_2)
	v_subrev_nc_u32_e32 v37, 28, v36
	v_sub_nc_u32_e32 v36, 29, v36
	v_lshlrev_b32_e32 v34, v37, v34
	v_bfe_u32 v37, v14, 27, 4
	v_and_b32_e32 v14, 0x80000000, v14
	s_delay_alu instid0(VALU_DEP_3) | instskip(NEXT) | instid1(VALU_DEP_3)
	v_and_b32_e32 v34, 7, v34
	v_cmp_eq_u32_e32 vcc_lo, 0, v37
	v_cndmask_b32_e32 v36, v37, v36, vcc_lo
	s_delay_alu instid0(VALU_DEP_3) | instskip(NEXT) | instid1(VALU_DEP_2)
	v_cndmask_b32_e32 v34, v35, v34, vcc_lo
	v_lshl_add_u32 v35, v36, 23, 0x3b800000
	s_delay_alu instid0(VALU_DEP_2) | instskip(NEXT) | instid1(VALU_DEP_1)
	v_lshlrev_b32_e32 v34, 20, v34
	v_or3_b32 v35, v14, v35, v34
.LBB6_8421:                             ;   in Loop: Header=BB6_8318 Depth=2
	s_or_b32 exec_lo, exec_lo, s26
	s_mov_b32 s10, 0
	s_mov_b32 s27, exec_lo
                                        ; implicit-def: $sgpr26
	v_cmpx_lt_i16_e32 0x7f, v33
	s_xor_b32 s27, exec_lo, s27
	s_cbranch_execnz .LBB6_8840
; %bb.8422:                             ;   in Loop: Header=BB6_8318 Depth=2
	s_or_saveexec_b32 s27, s27
	v_mov_b32_e32 v14, s26
	s_xor_b32 exec_lo, exec_lo, s27
	s_cbranch_execnz .LBB6_8843
.LBB6_8423:                             ;   in Loop: Header=BB6_8318 Depth=2
	s_or_b32 exec_lo, exec_lo, s27
	s_and_saveexec_b32 s26, s10
	s_cbranch_execz .LBB6_8425
.LBB6_8424:                             ;   in Loop: Header=BB6_8318 Depth=2
	v_bfe_u32 v14, v10, 24, 3
	s_delay_alu instid0(VALU_DEP_1) | instskip(NEXT) | instid1(VALU_DEP_1)
	v_clz_i32_u32_e32 v34, v14
	v_min_u32_e32 v34, 32, v34
	s_delay_alu instid0(VALU_DEP_1) | instskip(SKIP_1) | instid1(VALU_DEP_2)
	v_subrev_nc_u32_e32 v36, 28, v34
	v_sub_nc_u32_e32 v34, 29, v34
	v_lshlrev_b32_e32 v33, v36, v33
	v_bfe_u32 v36, v10, 27, 4
	v_and_b32_e32 v10, 0x80000000, v10
	s_delay_alu instid0(VALU_DEP_2) | instskip(NEXT) | instid1(VALU_DEP_4)
	v_cmp_eq_u32_e32 vcc_lo, 0, v36
	v_dual_cndmask_b32 v34, v36, v34 :: v_dual_and_b32 v33, 7, v33
	s_delay_alu instid0(VALU_DEP_1) | instskip(NEXT) | instid1(VALU_DEP_2)
	v_cndmask_b32_e32 v14, v14, v33, vcc_lo
	v_lshl_add_u32 v33, v34, 23, 0x3b800000
	s_delay_alu instid0(VALU_DEP_2) | instskip(NEXT) | instid1(VALU_DEP_1)
	v_lshlrev_b32_e32 v14, 20, v14
	v_or3_b32 v14, v10, v33, v14
.LBB6_8425:                             ;   in Loop: Header=BB6_8318 Depth=2
	s_or_b32 exec_lo, exec_lo, s26
	s_delay_alu instid0(VALU_DEP_1) | instskip(SKIP_1) | instid1(VALU_DEP_1)
	v_max_f32_e32 v10, v14, v14
	v_max_f32_e32 v14, v35, v35
	v_min_f32_e32 v35, v14, v10
.LBB6_8426:                             ;   in Loop: Header=BB6_8318 Depth=2
	s_delay_alu instid0(VALU_DEP_1) | instskip(NEXT) | instid1(VALU_DEP_1)
	v_and_b32_e32 v10, 0x7f800000, v35
	v_cmp_ne_u32_e32 vcc_lo, 0x7f800000, v10
	v_mov_b32_e32 v10, 0x80
	s_and_saveexec_b32 s26, vcc_lo
	s_cbranch_execz .LBB6_8434
; %bb.8427:                             ;   in Loop: Header=BB6_8318 Depth=2
	v_mov_b32_e32 v10, 0
	s_mov_b32 s27, exec_lo
	v_cmpx_ne_u32_e32 0, v35
	s_cbranch_execz .LBB6_8433
; %bb.8428:                             ;   in Loop: Header=BB6_8318 Depth=2
	v_bfe_u32 v10, v35, 23, 8
	s_delay_alu instid0(VALU_DEP_1) | instskip(SKIP_1) | instid1(VALU_DEP_2)
	v_sub_nc_u32_e32 v33, 0x78, v10
	v_cmp_gt_u32_e32 vcc_lo, 0x79, v10
	v_dual_cndmask_b32 v33, 0, v33 :: v_dual_and_b32 v14, 0x7fffff, v35
	s_delay_alu instid0(VALU_DEP_1) | instskip(SKIP_2) | instid1(VALU_DEP_4)
	v_or_b32_e32 v34, 0x800000, v14
	v_cmp_eq_u32_e32 vcc_lo, 0, v10
	v_add_nc_u32_e32 v10, 0xffffff89, v10
	v_cndmask_b32_e64 v33, v33, 0x77, vcc_lo
	s_delay_alu instid0(VALU_DEP_4) | instskip(NEXT) | instid1(VALU_DEP_3)
	v_cndmask_b32_e32 v14, v34, v14, vcc_lo
	v_cndmask_b32_e64 v10, v10, 0xffffff8a, vcc_lo
	s_delay_alu instid0(VALU_DEP_3) | instskip(NEXT) | instid1(VALU_DEP_3)
	v_lshl_add_u32 v34, 0x100000, v33, -1
	v_lshrrev_b32_e32 v36, v33, v14
	v_lshlrev_b32_e64 v38, v33, 0x80000
	s_delay_alu instid0(VALU_DEP_4) | instskip(NEXT) | instid1(VALU_DEP_4)
	v_add_nc_u32_e32 v33, v33, v10
	v_and_b32_e32 v14, v34, v14
	s_delay_alu instid0(VALU_DEP_4) | instskip(NEXT) | instid1(VALU_DEP_2)
	v_bfe_u32 v37, v36, 20, 1
	v_cmp_eq_u32_e64 s10, v14, v38
	s_delay_alu instid0(VALU_DEP_2) | instskip(NEXT) | instid1(VALU_DEP_1)
	v_add_nc_u32_e32 v34, -1, v37
	v_cndmask_b32_e64 v14, 0, v34, s10
	v_lshrrev_b32_e32 v34, 23, v36
	s_mov_b32 s10, exec_lo
	s_delay_alu instid0(VALU_DEP_2) | instskip(NEXT) | instid1(VALU_DEP_2)
	v_add_nc_u32_e32 v14, v14, v36
	v_xor_b32_e32 v34, 1, v34
	s_delay_alu instid0(VALU_DEP_2) | instskip(NEXT) | instid1(VALU_DEP_1)
	v_and_b32_e32 v10, 0xfffff, v14
	v_add_nc_u32_e32 v14, v10, v36
                                        ; implicit-def: $vgpr10
	s_delay_alu instid0(VALU_DEP_3)
	v_cmpx_ne_u32_e64 v33, v34
	s_xor_b32 s10, exec_lo, s10
; %bb.8429:                             ;   in Loop: Header=BB6_8318 Depth=2
	s_delay_alu instid0(VALU_DEP_2) | instskip(SKIP_2) | instid1(VALU_DEP_2)
	v_cmp_lt_u32_e32 vcc_lo, 0xffffff, v14
	v_sub_nc_u32_e32 v10, v33, v34
	v_cndmask_b32_e64 v33, 0, 1, vcc_lo
	v_add_co_ci_u32_e32 v10, vcc_lo, 0, v10, vcc_lo
	s_delay_alu instid0(VALU_DEP_2)
	v_lshrrev_b32_e32 v14, v33, v14
; %bb.8430:                             ;   in Loop: Header=BB6_8318 Depth=2
	s_and_not1_saveexec_b32 s10, s10
; %bb.8431:                             ;   in Loop: Header=BB6_8318 Depth=2
	s_delay_alu instid0(VALU_DEP_1)
	v_bfe_u32 v10, v14, 23, 1
; %bb.8432:                             ;   in Loop: Header=BB6_8318 Depth=2
	s_or_b32 exec_lo, exec_lo, s10
	v_lshrrev_b32_e32 v14, 20, v14
	s_delay_alu instid0(VALU_DEP_2) | instskip(SKIP_2) | instid1(VALU_DEP_2)
	v_cmp_gt_i32_e32 vcc_lo, 16, v10
	v_lshrrev_b32_e32 v33, 24, v35
	v_min_i32_e32 v34, 15, v10
	v_dual_cndmask_b32 v14, 7, v14 :: v_dual_and_b32 v33, 0x80, v33
	s_delay_alu instid0(VALU_DEP_2) | instskip(NEXT) | instid1(VALU_DEP_2)
	v_lshlrev_b32_e32 v34, 3, v34
	v_and_b32_e32 v35, 7, v14
	v_or_b32_e32 v10, v10, v14
	s_delay_alu instid0(VALU_DEP_2) | instskip(NEXT) | instid1(VALU_DEP_2)
	v_or3_b32 v14, v34, v33, v35
	v_cmp_ne_u32_e32 vcc_lo, 0, v10
	s_delay_alu instid0(VALU_DEP_2)
	v_cndmask_b32_e32 v10, 0, v14, vcc_lo
.LBB6_8433:                             ;   in Loop: Header=BB6_8318 Depth=2
	s_or_b32 exec_lo, exec_lo, s27
.LBB6_8434:                             ;   in Loop: Header=BB6_8318 Depth=2
	s_delay_alu instid0(SALU_CYCLE_1) | instskip(NEXT) | instid1(SALU_CYCLE_1)
	s_or_b32 exec_lo, exec_lo, s26
	s_and_b32 vcc_lo, exec_lo, s25
	s_cbranch_vccz .LBB6_8444
; %bb.8435:                             ;   in Loop: Header=BB6_8318 Depth=2
	v_and_b32_e32 v33, 0xff, v15
	s_mov_b32 s10, 0
	s_mov_b32 s27, exec_lo
                                        ; implicit-def: $sgpr26
	s_delay_alu instid0(VALU_DEP_1)
	v_cmpx_lt_i16_e32 0x7f, v33
	s_xor_b32 s27, exec_lo, s27
	s_cbranch_execnz .LBB6_8844
; %bb.8436:                             ;   in Loop: Header=BB6_8318 Depth=2
	s_or_saveexec_b32 s27, s27
	v_mov_b32_e32 v14, s26
	s_xor_b32 exec_lo, exec_lo, s27
	s_cbranch_execnz .LBB6_8847
.LBB6_8437:                             ;   in Loop: Header=BB6_8318 Depth=2
	s_or_b32 exec_lo, exec_lo, s27
	s_and_saveexec_b32 s26, s10
	s_cbranch_execz .LBB6_8439
.LBB6_8438:                             ;   in Loop: Header=BB6_8318 Depth=2
	v_bfe_u32 v35, v15, 3, 4
	v_lshlrev_b32_e32 v36, 24, v15
	s_delay_alu instid0(VALU_DEP_2) | instskip(SKIP_1) | instid1(VALU_DEP_1)
	v_cmp_eq_u32_e32 vcc_lo, 0, v35
	v_and_b32_e32 v14, 7, v15
	v_clz_i32_u32_e32 v33, v14
	s_delay_alu instid0(VALU_DEP_1) | instskip(NEXT) | instid1(VALU_DEP_1)
	v_min_u32_e32 v33, 32, v33
	v_subrev_nc_u32_e32 v34, 28, v33
	v_sub_nc_u32_e32 v33, 29, v33
	s_delay_alu instid0(VALU_DEP_1) | instskip(NEXT) | instid1(VALU_DEP_1)
	v_dual_cndmask_b32 v33, v35, v33 :: v_dual_lshlrev_b32 v34, v34, v15
	v_and_b32_e32 v34, 7, v34
	s_delay_alu instid0(VALU_DEP_2) | instskip(NEXT) | instid1(VALU_DEP_2)
	v_lshl_add_u32 v33, v33, 23, 0x3b800000
	v_cndmask_b32_e32 v14, v14, v34, vcc_lo
	v_and_b32_e32 v34, 0x80000000, v36
	s_delay_alu instid0(VALU_DEP_2) | instskip(NEXT) | instid1(VALU_DEP_1)
	v_lshlrev_b32_e32 v14, 20, v14
	v_or3_b32 v14, v34, v33, v14
.LBB6_8439:                             ;   in Loop: Header=BB6_8318 Depth=2
	s_or_b32 exec_lo, exec_lo, s26
	v_and_b32_e32 v34, 0xff, v11
	s_mov_b32 s10, 0
	s_mov_b32 s27, exec_lo
                                        ; implicit-def: $sgpr26
	s_delay_alu instid0(VALU_DEP_1)
	v_cmpx_lt_i16_e32 0x7f, v34
	s_xor_b32 s27, exec_lo, s27
	s_cbranch_execnz .LBB6_8848
; %bb.8440:                             ;   in Loop: Header=BB6_8318 Depth=2
	s_or_saveexec_b32 s27, s27
	v_mov_b32_e32 v33, s26
	s_xor_b32 exec_lo, exec_lo, s27
	s_cbranch_execnz .LBB6_8851
.LBB6_8441:                             ;   in Loop: Header=BB6_8318 Depth=2
	s_or_b32 exec_lo, exec_lo, s27
	s_and_saveexec_b32 s26, s10
	s_cbranch_execz .LBB6_8443
.LBB6_8442:                             ;   in Loop: Header=BB6_8318 Depth=2
	v_bfe_u32 v36, v11, 3, 4
	v_lshlrev_b32_e32 v37, 24, v11
	s_delay_alu instid0(VALU_DEP_2) | instskip(SKIP_1) | instid1(VALU_DEP_1)
	v_cmp_eq_u32_e32 vcc_lo, 0, v36
	v_and_b32_e32 v33, 7, v11
	v_clz_i32_u32_e32 v34, v33
	s_delay_alu instid0(VALU_DEP_1) | instskip(NEXT) | instid1(VALU_DEP_1)
	v_min_u32_e32 v34, 32, v34
	v_subrev_nc_u32_e32 v35, 28, v34
	v_sub_nc_u32_e32 v34, 29, v34
	s_delay_alu instid0(VALU_DEP_1) | instskip(NEXT) | instid1(VALU_DEP_1)
	v_dual_cndmask_b32 v34, v36, v34 :: v_dual_lshlrev_b32 v35, v35, v11
	v_and_b32_e32 v35, 7, v35
	s_delay_alu instid0(VALU_DEP_2) | instskip(NEXT) | instid1(VALU_DEP_2)
	v_lshl_add_u32 v34, v34, 23, 0x3b800000
	v_cndmask_b32_e32 v33, v33, v35, vcc_lo
	v_and_b32_e32 v35, 0x80000000, v37
	s_delay_alu instid0(VALU_DEP_2) | instskip(NEXT) | instid1(VALU_DEP_1)
	v_lshlrev_b32_e32 v33, 20, v33
	v_or3_b32 v33, v35, v34, v33
.LBB6_8443:                             ;   in Loop: Header=BB6_8318 Depth=2
	s_or_b32 exec_lo, exec_lo, s26
	s_delay_alu instid0(VALU_DEP_1) | instskip(SKIP_1) | instid1(VALU_DEP_1)
	v_dual_max_f32 v33, v33, v33 :: v_dual_max_f32 v14, v14, v14
	s_mov_b32 s10, 0
	v_max_f32_e32 v33, v14, v33
	s_branch .LBB6_8445
.LBB6_8444:                             ;   in Loop: Header=BB6_8318 Depth=2
	s_mov_b32 s10, -1
                                        ; implicit-def: $vgpr33
.LBB6_8445:                             ;   in Loop: Header=BB6_8318 Depth=2
	s_delay_alu instid0(SALU_CYCLE_1)
	s_and_b32 vcc_lo, exec_lo, s10
	s_cbranch_vccz .LBB6_8455
; %bb.8446:                             ;   in Loop: Header=BB6_8318 Depth=2
	v_and_b32_e32 v33, 0xff, v15
	s_mov_b32 s10, 0
	s_mov_b32 s27, exec_lo
                                        ; implicit-def: $sgpr26
	s_delay_alu instid0(VALU_DEP_1)
	v_cmpx_lt_i16_e32 0x7f, v33
	s_xor_b32 s27, exec_lo, s27
	s_cbranch_execnz .LBB6_8852
; %bb.8447:                             ;   in Loop: Header=BB6_8318 Depth=2
	s_or_saveexec_b32 s27, s27
	v_mov_b32_e32 v14, s26
	s_xor_b32 exec_lo, exec_lo, s27
	s_cbranch_execnz .LBB6_8855
.LBB6_8448:                             ;   in Loop: Header=BB6_8318 Depth=2
	s_or_b32 exec_lo, exec_lo, s27
	s_and_saveexec_b32 s26, s10
	s_cbranch_execz .LBB6_8450
.LBB6_8449:                             ;   in Loop: Header=BB6_8318 Depth=2
	v_bfe_u32 v35, v15, 3, 4
	v_lshlrev_b32_e32 v36, 24, v15
	s_delay_alu instid0(VALU_DEP_2) | instskip(SKIP_1) | instid1(VALU_DEP_1)
	v_cmp_eq_u32_e32 vcc_lo, 0, v35
	v_and_b32_e32 v14, 7, v15
	v_clz_i32_u32_e32 v33, v14
	s_delay_alu instid0(VALU_DEP_1) | instskip(NEXT) | instid1(VALU_DEP_1)
	v_min_u32_e32 v33, 32, v33
	v_subrev_nc_u32_e32 v34, 28, v33
	v_sub_nc_u32_e32 v33, 29, v33
	s_delay_alu instid0(VALU_DEP_1) | instskip(NEXT) | instid1(VALU_DEP_1)
	v_dual_cndmask_b32 v33, v35, v33 :: v_dual_lshlrev_b32 v34, v34, v15
	v_and_b32_e32 v34, 7, v34
	s_delay_alu instid0(VALU_DEP_2) | instskip(NEXT) | instid1(VALU_DEP_2)
	v_lshl_add_u32 v33, v33, 23, 0x3b800000
	v_cndmask_b32_e32 v14, v14, v34, vcc_lo
	v_and_b32_e32 v34, 0x80000000, v36
	s_delay_alu instid0(VALU_DEP_2) | instskip(NEXT) | instid1(VALU_DEP_1)
	v_lshlrev_b32_e32 v14, 20, v14
	v_or3_b32 v14, v34, v33, v14
.LBB6_8450:                             ;   in Loop: Header=BB6_8318 Depth=2
	s_or_b32 exec_lo, exec_lo, s26
	v_and_b32_e32 v34, 0xff, v11
	s_mov_b32 s10, 0
	s_mov_b32 s27, exec_lo
                                        ; implicit-def: $sgpr26
	s_delay_alu instid0(VALU_DEP_1)
	v_cmpx_lt_i16_e32 0x7f, v34
	s_xor_b32 s27, exec_lo, s27
	s_cbranch_execnz .LBB6_8856
; %bb.8451:                             ;   in Loop: Header=BB6_8318 Depth=2
	s_or_saveexec_b32 s27, s27
	v_mov_b32_e32 v33, s26
	s_xor_b32 exec_lo, exec_lo, s27
	s_cbranch_execnz .LBB6_8859
.LBB6_8452:                             ;   in Loop: Header=BB6_8318 Depth=2
	s_or_b32 exec_lo, exec_lo, s27
	s_and_saveexec_b32 s26, s10
	s_cbranch_execz .LBB6_8454
.LBB6_8453:                             ;   in Loop: Header=BB6_8318 Depth=2
	v_bfe_u32 v36, v11, 3, 4
	v_lshlrev_b32_e32 v37, 24, v11
	s_delay_alu instid0(VALU_DEP_2) | instskip(SKIP_1) | instid1(VALU_DEP_1)
	v_cmp_eq_u32_e32 vcc_lo, 0, v36
	v_and_b32_e32 v33, 7, v11
	v_clz_i32_u32_e32 v34, v33
	s_delay_alu instid0(VALU_DEP_1) | instskip(NEXT) | instid1(VALU_DEP_1)
	v_min_u32_e32 v34, 32, v34
	v_subrev_nc_u32_e32 v35, 28, v34
	v_sub_nc_u32_e32 v34, 29, v34
	s_delay_alu instid0(VALU_DEP_1) | instskip(NEXT) | instid1(VALU_DEP_1)
	v_dual_cndmask_b32 v34, v36, v34 :: v_dual_lshlrev_b32 v35, v35, v11
	v_and_b32_e32 v35, 7, v35
	s_delay_alu instid0(VALU_DEP_2) | instskip(NEXT) | instid1(VALU_DEP_2)
	v_lshl_add_u32 v34, v34, 23, 0x3b800000
	v_cndmask_b32_e32 v33, v33, v35, vcc_lo
	v_and_b32_e32 v35, 0x80000000, v37
	s_delay_alu instid0(VALU_DEP_2) | instskip(NEXT) | instid1(VALU_DEP_1)
	v_lshlrev_b32_e32 v33, 20, v33
	v_or3_b32 v33, v35, v34, v33
.LBB6_8454:                             ;   in Loop: Header=BB6_8318 Depth=2
	s_or_b32 exec_lo, exec_lo, s26
	s_delay_alu instid0(VALU_DEP_1) | instskip(NEXT) | instid1(VALU_DEP_1)
	v_dual_max_f32 v33, v33, v33 :: v_dual_max_f32 v14, v14, v14
	v_min_f32_e32 v33, v14, v33
.LBB6_8455:                             ;   in Loop: Header=BB6_8318 Depth=2
	s_delay_alu instid0(VALU_DEP_1) | instskip(NEXT) | instid1(VALU_DEP_1)
	v_and_b32_e32 v14, 0x7f800000, v33
	v_cmp_ne_u32_e32 vcc_lo, 0x7f800000, v14
	v_mov_b32_e32 v14, 0x80
	s_and_saveexec_b32 s26, vcc_lo
	s_cbranch_execz .LBB6_8463
; %bb.8456:                             ;   in Loop: Header=BB6_8318 Depth=2
	v_mov_b32_e32 v14, 0
	s_mov_b32 s27, exec_lo
	v_cmpx_ne_u32_e32 0, v33
	s_cbranch_execz .LBB6_8462
; %bb.8457:                             ;   in Loop: Header=BB6_8318 Depth=2
	v_bfe_u32 v14, v33, 23, 8
	s_delay_alu instid0(VALU_DEP_1) | instskip(SKIP_1) | instid1(VALU_DEP_2)
	v_sub_nc_u32_e32 v35, 0x78, v14
	v_cmp_gt_u32_e32 vcc_lo, 0x79, v14
	v_dual_cndmask_b32 v35, 0, v35 :: v_dual_and_b32 v34, 0x7fffff, v33
	s_delay_alu instid0(VALU_DEP_1) | instskip(SKIP_2) | instid1(VALU_DEP_4)
	v_or_b32_e32 v36, 0x800000, v34
	v_cmp_eq_u32_e32 vcc_lo, 0, v14
	v_add_nc_u32_e32 v14, 0xffffff89, v14
	v_cndmask_b32_e64 v35, v35, 0x77, vcc_lo
	s_delay_alu instid0(VALU_DEP_4) | instskip(NEXT) | instid1(VALU_DEP_3)
	v_cndmask_b32_e32 v34, v36, v34, vcc_lo
	v_cndmask_b32_e64 v14, v14, 0xffffff8a, vcc_lo
	s_delay_alu instid0(VALU_DEP_3) | instskip(NEXT) | instid1(VALU_DEP_3)
	v_lshl_add_u32 v36, 0x100000, v35, -1
	v_lshrrev_b32_e32 v37, v35, v34
	v_lshlrev_b32_e64 v39, v35, 0x80000
	s_delay_alu instid0(VALU_DEP_4) | instskip(NEXT) | instid1(VALU_DEP_4)
	v_add_nc_u32_e32 v35, v35, v14
	v_and_b32_e32 v34, v36, v34
	s_delay_alu instid0(VALU_DEP_4) | instskip(NEXT) | instid1(VALU_DEP_2)
	v_bfe_u32 v38, v37, 20, 1
	v_cmp_eq_u32_e64 s10, v34, v39
	s_delay_alu instid0(VALU_DEP_2) | instskip(NEXT) | instid1(VALU_DEP_1)
	v_add_nc_u32_e32 v36, -1, v38
	v_cndmask_b32_e64 v34, 0, v36, s10
	v_lshrrev_b32_e32 v36, 23, v37
	s_mov_b32 s10, exec_lo
	s_delay_alu instid0(VALU_DEP_2) | instskip(NEXT) | instid1(VALU_DEP_2)
	v_add_nc_u32_e32 v34, v34, v37
	v_xor_b32_e32 v36, 1, v36
	s_delay_alu instid0(VALU_DEP_2) | instskip(NEXT) | instid1(VALU_DEP_1)
	v_and_b32_e32 v14, 0xfffff, v34
	v_add_nc_u32_e32 v34, v14, v37
                                        ; implicit-def: $vgpr14
	s_delay_alu instid0(VALU_DEP_3)
	v_cmpx_ne_u32_e64 v35, v36
	s_xor_b32 s10, exec_lo, s10
; %bb.8458:                             ;   in Loop: Header=BB6_8318 Depth=2
	s_delay_alu instid0(VALU_DEP_2) | instskip(SKIP_2) | instid1(VALU_DEP_2)
	v_cmp_lt_u32_e32 vcc_lo, 0xffffff, v34
	v_sub_nc_u32_e32 v14, v35, v36
	v_cndmask_b32_e64 v35, 0, 1, vcc_lo
	v_add_co_ci_u32_e32 v14, vcc_lo, 0, v14, vcc_lo
	s_delay_alu instid0(VALU_DEP_2)
	v_lshrrev_b32_e32 v34, v35, v34
; %bb.8459:                             ;   in Loop: Header=BB6_8318 Depth=2
	s_and_not1_saveexec_b32 s10, s10
; %bb.8460:                             ;   in Loop: Header=BB6_8318 Depth=2
	s_delay_alu instid0(VALU_DEP_1)
	v_bfe_u32 v14, v34, 23, 1
; %bb.8461:                             ;   in Loop: Header=BB6_8318 Depth=2
	s_or_b32 exec_lo, exec_lo, s10
	v_lshrrev_b32_e32 v34, 20, v34
	s_delay_alu instid0(VALU_DEP_2) | instskip(SKIP_2) | instid1(VALU_DEP_2)
	v_cmp_gt_i32_e32 vcc_lo, 16, v14
	v_lshrrev_b32_e32 v33, 24, v33
	v_min_i32_e32 v35, 15, v14
	v_dual_cndmask_b32 v34, 7, v34 :: v_dual_and_b32 v33, 0x80, v33
	s_delay_alu instid0(VALU_DEP_1) | instskip(SKIP_1) | instid1(VALU_DEP_2)
	v_or_b32_e32 v14, v14, v34
	v_and_b32_e32 v36, 7, v34
	v_cmp_ne_u32_e32 vcc_lo, 0, v14
	v_lshlrev_b32_e32 v35, 3, v35
	s_delay_alu instid0(VALU_DEP_1) | instskip(NEXT) | instid1(VALU_DEP_1)
	v_or3_b32 v33, v35, v33, v36
	v_cndmask_b32_e32 v14, 0, v33, vcc_lo
.LBB6_8462:                             ;   in Loop: Header=BB6_8318 Depth=2
	s_or_b32 exec_lo, exec_lo, s27
.LBB6_8463:                             ;   in Loop: Header=BB6_8318 Depth=2
	s_delay_alu instid0(SALU_CYCLE_1)
	s_or_b32 exec_lo, exec_lo, s26
	v_lshrrev_b16 v34, 8, v15
	v_lshrrev_b16 v33, 8, v11
	s_and_b32 vcc_lo, exec_lo, s25
	s_cbranch_vccz .LBB6_8473
; %bb.8464:                             ;   in Loop: Header=BB6_8318 Depth=2
	s_mov_b32 s10, 0
	s_mov_b32 s27, exec_lo
                                        ; implicit-def: $sgpr26
	v_cmpx_lt_i16_e32 0x7f, v34
	s_xor_b32 s27, exec_lo, s27
	s_cbranch_execnz .LBB6_8860
; %bb.8465:                             ;   in Loop: Header=BB6_8318 Depth=2
	s_or_saveexec_b32 s27, s27
	v_mov_b32_e32 v35, s26
	s_xor_b32 exec_lo, exec_lo, s27
	s_cbranch_execnz .LBB6_8863
.LBB6_8466:                             ;   in Loop: Header=BB6_8318 Depth=2
	s_or_b32 exec_lo, exec_lo, s27
	s_and_saveexec_b32 s26, s10
	s_cbranch_execz .LBB6_8468
.LBB6_8467:                             ;   in Loop: Header=BB6_8318 Depth=2
	v_and_b32_e32 v35, 0xffff, v34
	s_delay_alu instid0(VALU_DEP_1) | instskip(NEXT) | instid1(VALU_DEP_1)
	v_and_b32_e32 v36, 7, v35
	v_clz_i32_u32_e32 v37, v36
	s_delay_alu instid0(VALU_DEP_1) | instskip(NEXT) | instid1(VALU_DEP_1)
	v_min_u32_e32 v37, 32, v37
	v_subrev_nc_u32_e32 v38, 28, v37
	v_sub_nc_u32_e32 v37, 29, v37
	s_delay_alu instid0(VALU_DEP_2) | instskip(SKIP_1) | instid1(VALU_DEP_2)
	v_lshlrev_b32_e32 v38, v38, v35
	v_bfe_u32 v35, v35, 3, 4
	v_and_b32_e32 v38, 7, v38
	s_delay_alu instid0(VALU_DEP_2) | instskip(SKIP_1) | instid1(VALU_DEP_3)
	v_cmp_eq_u32_e32 vcc_lo, 0, v35
	v_cndmask_b32_e32 v35, v35, v37, vcc_lo
	v_dual_cndmask_b32 v36, v36, v38 :: v_dual_lshlrev_b32 v39, 16, v15
	s_delay_alu instid0(VALU_DEP_2) | instskip(NEXT) | instid1(VALU_DEP_2)
	v_lshl_add_u32 v35, v35, 23, 0x3b800000
	v_and_b32_e32 v37, 0x80000000, v39
	s_delay_alu instid0(VALU_DEP_3) | instskip(NEXT) | instid1(VALU_DEP_1)
	v_lshlrev_b32_e32 v36, 20, v36
	v_or3_b32 v35, v37, v35, v36
.LBB6_8468:                             ;   in Loop: Header=BB6_8318 Depth=2
	s_or_b32 exec_lo, exec_lo, s26
	s_mov_b32 s10, 0
	s_mov_b32 s27, exec_lo
                                        ; implicit-def: $sgpr26
	v_cmpx_lt_i16_e32 0x7f, v33
	s_xor_b32 s27, exec_lo, s27
	s_cbranch_execnz .LBB6_8864
; %bb.8469:                             ;   in Loop: Header=BB6_8318 Depth=2
	s_or_saveexec_b32 s27, s27
	v_mov_b32_e32 v36, s26
	s_xor_b32 exec_lo, exec_lo, s27
	s_cbranch_execnz .LBB6_8867
.LBB6_8470:                             ;   in Loop: Header=BB6_8318 Depth=2
	s_or_b32 exec_lo, exec_lo, s27
	s_and_saveexec_b32 s26, s10
	s_cbranch_execz .LBB6_8472
.LBB6_8471:                             ;   in Loop: Header=BB6_8318 Depth=2
	v_and_b32_e32 v36, 0xffff, v33
	v_lshlrev_b32_e32 v48, 16, v11
	s_delay_alu instid0(VALU_DEP_2) | instskip(NEXT) | instid1(VALU_DEP_1)
	v_and_b32_e32 v37, 7, v36
	v_clz_i32_u32_e32 v38, v37
	s_delay_alu instid0(VALU_DEP_1) | instskip(NEXT) | instid1(VALU_DEP_1)
	v_min_u32_e32 v38, 32, v38
	v_subrev_nc_u32_e32 v39, 28, v38
	v_sub_nc_u32_e32 v38, 29, v38
	s_delay_alu instid0(VALU_DEP_2) | instskip(SKIP_1) | instid1(VALU_DEP_2)
	v_lshlrev_b32_e32 v39, v39, v36
	v_bfe_u32 v36, v36, 3, 4
	v_and_b32_e32 v39, 7, v39
	s_delay_alu instid0(VALU_DEP_2) | instskip(NEXT) | instid1(VALU_DEP_2)
	v_cmp_eq_u32_e32 vcc_lo, 0, v36
	v_dual_cndmask_b32 v36, v36, v38 :: v_dual_cndmask_b32 v37, v37, v39
	v_and_b32_e32 v38, 0x80000000, v48
	s_delay_alu instid0(VALU_DEP_2) | instskip(NEXT) | instid1(VALU_DEP_3)
	v_lshl_add_u32 v36, v36, 23, 0x3b800000
	v_lshlrev_b32_e32 v37, 20, v37
	s_delay_alu instid0(VALU_DEP_1)
	v_or3_b32 v36, v38, v36, v37
.LBB6_8472:                             ;   in Loop: Header=BB6_8318 Depth=2
	s_or_b32 exec_lo, exec_lo, s26
	s_delay_alu instid0(VALU_DEP_1) | instskip(SKIP_1) | instid1(VALU_DEP_1)
	v_dual_max_f32 v36, v36, v36 :: v_dual_max_f32 v35, v35, v35
	s_mov_b32 s10, 0
	v_max_f32_e32 v35, v35, v36
	s_branch .LBB6_8474
.LBB6_8473:                             ;   in Loop: Header=BB6_8318 Depth=2
	s_mov_b32 s10, -1
                                        ; implicit-def: $vgpr35
.LBB6_8474:                             ;   in Loop: Header=BB6_8318 Depth=2
	s_delay_alu instid0(SALU_CYCLE_1)
	s_and_b32 vcc_lo, exec_lo, s10
	s_cbranch_vccz .LBB6_8484
; %bb.8475:                             ;   in Loop: Header=BB6_8318 Depth=2
	s_mov_b32 s10, 0
	s_mov_b32 s27, exec_lo
                                        ; implicit-def: $sgpr26
	v_cmpx_lt_i16_e32 0x7f, v34
	s_xor_b32 s27, exec_lo, s27
	s_cbranch_execnz .LBB6_8868
; %bb.8476:                             ;   in Loop: Header=BB6_8318 Depth=2
	s_or_saveexec_b32 s27, s27
	v_mov_b32_e32 v35, s26
	s_xor_b32 exec_lo, exec_lo, s27
	s_cbranch_execnz .LBB6_8871
.LBB6_8477:                             ;   in Loop: Header=BB6_8318 Depth=2
	s_or_b32 exec_lo, exec_lo, s27
	s_and_saveexec_b32 s26, s10
	s_cbranch_execz .LBB6_8479
.LBB6_8478:                             ;   in Loop: Header=BB6_8318 Depth=2
	v_and_b32_e32 v34, 0xffff, v34
	v_lshlrev_b32_e32 v38, 16, v15
	s_delay_alu instid0(VALU_DEP_2) | instskip(NEXT) | instid1(VALU_DEP_1)
	v_and_b32_e32 v35, 7, v34
	v_clz_i32_u32_e32 v36, v35
	s_delay_alu instid0(VALU_DEP_1) | instskip(NEXT) | instid1(VALU_DEP_1)
	v_min_u32_e32 v36, 32, v36
	v_subrev_nc_u32_e32 v37, 28, v36
	v_sub_nc_u32_e32 v36, 29, v36
	s_delay_alu instid0(VALU_DEP_2) | instskip(SKIP_1) | instid1(VALU_DEP_2)
	v_lshlrev_b32_e32 v37, v37, v34
	v_bfe_u32 v34, v34, 3, 4
	v_and_b32_e32 v37, 7, v37
	s_delay_alu instid0(VALU_DEP_2) | instskip(NEXT) | instid1(VALU_DEP_2)
	v_cmp_eq_u32_e32 vcc_lo, 0, v34
	v_dual_cndmask_b32 v34, v34, v36 :: v_dual_cndmask_b32 v35, v35, v37
	v_and_b32_e32 v36, 0x80000000, v38
	s_delay_alu instid0(VALU_DEP_2) | instskip(NEXT) | instid1(VALU_DEP_3)
	v_lshl_add_u32 v34, v34, 23, 0x3b800000
	v_lshlrev_b32_e32 v35, 20, v35
	s_delay_alu instid0(VALU_DEP_1)
	v_or3_b32 v35, v36, v34, v35
.LBB6_8479:                             ;   in Loop: Header=BB6_8318 Depth=2
	s_or_b32 exec_lo, exec_lo, s26
	s_mov_b32 s10, 0
	s_mov_b32 s27, exec_lo
                                        ; implicit-def: $sgpr26
	v_cmpx_lt_i16_e32 0x7f, v33
	s_xor_b32 s27, exec_lo, s27
	s_cbranch_execnz .LBB6_8872
; %bb.8480:                             ;   in Loop: Header=BB6_8318 Depth=2
	s_or_saveexec_b32 s27, s27
	v_mov_b32_e32 v34, s26
	s_xor_b32 exec_lo, exec_lo, s27
	s_cbranch_execnz .LBB6_8875
.LBB6_8481:                             ;   in Loop: Header=BB6_8318 Depth=2
	s_or_b32 exec_lo, exec_lo, s27
	s_and_saveexec_b32 s26, s10
	s_cbranch_execz .LBB6_8483
.LBB6_8482:                             ;   in Loop: Header=BB6_8318 Depth=2
	v_and_b32_e32 v33, 0xffff, v33
	v_lshlrev_b32_e32 v38, 16, v11
	s_delay_alu instid0(VALU_DEP_2) | instskip(NEXT) | instid1(VALU_DEP_1)
	v_and_b32_e32 v34, 7, v33
	v_clz_i32_u32_e32 v36, v34
	s_delay_alu instid0(VALU_DEP_1) | instskip(NEXT) | instid1(VALU_DEP_1)
	v_min_u32_e32 v36, 32, v36
	v_subrev_nc_u32_e32 v37, 28, v36
	v_sub_nc_u32_e32 v36, 29, v36
	s_delay_alu instid0(VALU_DEP_2) | instskip(SKIP_1) | instid1(VALU_DEP_2)
	v_lshlrev_b32_e32 v37, v37, v33
	v_bfe_u32 v33, v33, 3, 4
	v_and_b32_e32 v37, 7, v37
	s_delay_alu instid0(VALU_DEP_2) | instskip(NEXT) | instid1(VALU_DEP_2)
	v_cmp_eq_u32_e32 vcc_lo, 0, v33
	v_dual_cndmask_b32 v33, v33, v36 :: v_dual_cndmask_b32 v34, v34, v37
	v_and_b32_e32 v36, 0x80000000, v38
	s_delay_alu instid0(VALU_DEP_2) | instskip(NEXT) | instid1(VALU_DEP_3)
	v_lshl_add_u32 v33, v33, 23, 0x3b800000
	v_lshlrev_b32_e32 v34, 20, v34
	s_delay_alu instid0(VALU_DEP_1)
	v_or3_b32 v34, v36, v33, v34
.LBB6_8483:                             ;   in Loop: Header=BB6_8318 Depth=2
	s_or_b32 exec_lo, exec_lo, s26
	s_delay_alu instid0(VALU_DEP_1) | instskip(NEXT) | instid1(VALU_DEP_1)
	v_dual_max_f32 v33, v34, v34 :: v_dual_max_f32 v34, v35, v35
	v_min_f32_e32 v35, v34, v33
.LBB6_8484:                             ;   in Loop: Header=BB6_8318 Depth=2
	s_delay_alu instid0(VALU_DEP_1) | instskip(NEXT) | instid1(VALU_DEP_1)
	v_and_b32_e32 v33, 0x7f800000, v35
	v_cmp_ne_u32_e32 vcc_lo, 0x7f800000, v33
	v_mov_b32_e32 v33, 0x80
	s_and_saveexec_b32 s26, vcc_lo
	s_cbranch_execz .LBB6_8492
; %bb.8485:                             ;   in Loop: Header=BB6_8318 Depth=2
	v_mov_b32_e32 v33, 0
	s_mov_b32 s27, exec_lo
	v_cmpx_ne_u32_e32 0, v35
	s_cbranch_execz .LBB6_8491
; %bb.8486:                             ;   in Loop: Header=BB6_8318 Depth=2
	v_bfe_u32 v33, v35, 23, 8
	v_and_b32_e32 v34, 0x7fffff, v35
	s_delay_alu instid0(VALU_DEP_2) | instskip(SKIP_1) | instid1(VALU_DEP_3)
	v_sub_nc_u32_e32 v36, 0x78, v33
	v_cmp_gt_u32_e32 vcc_lo, 0x79, v33
	v_or_b32_e32 v37, 0x800000, v34
	s_delay_alu instid0(VALU_DEP_3) | instskip(SKIP_2) | instid1(VALU_DEP_3)
	v_cndmask_b32_e32 v36, 0, v36, vcc_lo
	v_cmp_eq_u32_e32 vcc_lo, 0, v33
	v_add_nc_u32_e32 v33, 0xffffff89, v33
	v_cndmask_b32_e64 v36, v36, 0x77, vcc_lo
	v_cndmask_b32_e32 v34, v37, v34, vcc_lo
	s_delay_alu instid0(VALU_DEP_3) | instskip(NEXT) | instid1(VALU_DEP_3)
	v_cndmask_b32_e64 v33, v33, 0xffffff8a, vcc_lo
	v_lshl_add_u32 v37, 0x100000, v36, -1
	s_delay_alu instid0(VALU_DEP_3) | instskip(SKIP_1) | instid1(VALU_DEP_4)
	v_lshrrev_b32_e32 v38, v36, v34
	v_lshlrev_b32_e64 v48, v36, 0x80000
	v_add_nc_u32_e32 v36, v36, v33
	s_delay_alu instid0(VALU_DEP_4) | instskip(NEXT) | instid1(VALU_DEP_4)
	v_and_b32_e32 v34, v37, v34
	v_bfe_u32 v39, v38, 20, 1
	s_delay_alu instid0(VALU_DEP_2) | instskip(NEXT) | instid1(VALU_DEP_2)
	v_cmp_eq_u32_e64 s10, v34, v48
	v_add_nc_u32_e32 v37, -1, v39
	s_delay_alu instid0(VALU_DEP_1) | instskip(SKIP_2) | instid1(VALU_DEP_2)
	v_cndmask_b32_e64 v34, 0, v37, s10
	v_lshrrev_b32_e32 v37, 23, v38
	s_mov_b32 s10, exec_lo
	v_add_nc_u32_e32 v34, v34, v38
	s_delay_alu instid0(VALU_DEP_2) | instskip(NEXT) | instid1(VALU_DEP_2)
	v_xor_b32_e32 v37, 1, v37
	v_and_b32_e32 v33, 0xfffff, v34
	s_delay_alu instid0(VALU_DEP_1) | instskip(NEXT) | instid1(VALU_DEP_3)
	v_add_nc_u32_e32 v34, v33, v38
                                        ; implicit-def: $vgpr33
	v_cmpx_ne_u32_e64 v36, v37
	s_xor_b32 s10, exec_lo, s10
; %bb.8487:                             ;   in Loop: Header=BB6_8318 Depth=2
	s_delay_alu instid0(VALU_DEP_2) | instskip(SKIP_2) | instid1(VALU_DEP_2)
	v_cmp_lt_u32_e32 vcc_lo, 0xffffff, v34
	v_sub_nc_u32_e32 v33, v36, v37
	v_cndmask_b32_e64 v36, 0, 1, vcc_lo
	v_add_co_ci_u32_e32 v33, vcc_lo, 0, v33, vcc_lo
	s_delay_alu instid0(VALU_DEP_2)
	v_lshrrev_b32_e32 v34, v36, v34
; %bb.8488:                             ;   in Loop: Header=BB6_8318 Depth=2
	s_and_not1_saveexec_b32 s10, s10
; %bb.8489:                             ;   in Loop: Header=BB6_8318 Depth=2
	s_delay_alu instid0(VALU_DEP_1)
	v_bfe_u32 v33, v34, 23, 1
; %bb.8490:                             ;   in Loop: Header=BB6_8318 Depth=2
	s_or_b32 exec_lo, exec_lo, s10
	v_lshrrev_b32_e32 v34, 20, v34
	s_delay_alu instid0(VALU_DEP_2) | instskip(SKIP_2) | instid1(VALU_DEP_2)
	v_cmp_gt_i32_e32 vcc_lo, 16, v33
	v_lshrrev_b32_e32 v35, 24, v35
	v_min_i32_e32 v36, 15, v33
	v_dual_cndmask_b32 v34, 7, v34 :: v_dual_and_b32 v35, 0x80, v35
	s_delay_alu instid0(VALU_DEP_1) | instskip(SKIP_1) | instid1(VALU_DEP_2)
	v_or_b32_e32 v33, v33, v34
	v_and_b32_e32 v37, 7, v34
	v_cmp_ne_u32_e32 vcc_lo, 0, v33
	v_lshlrev_b32_e32 v36, 3, v36
	s_delay_alu instid0(VALU_DEP_1) | instskip(NEXT) | instid1(VALU_DEP_1)
	v_or3_b32 v34, v36, v35, v37
	v_cndmask_b32_e32 v33, 0, v34, vcc_lo
.LBB6_8491:                             ;   in Loop: Header=BB6_8318 Depth=2
	s_or_b32 exec_lo, exec_lo, s27
.LBB6_8492:                             ;   in Loop: Header=BB6_8318 Depth=2
	s_delay_alu instid0(SALU_CYCLE_1)
	s_or_b32 exec_lo, exec_lo, s26
	v_lshrrev_b32_e32 v35, 16, v15
	v_lshrrev_b32_e32 v34, 16, v11
	s_and_b32 vcc_lo, exec_lo, s25
	s_cbranch_vccz .LBB6_8502
; %bb.8493:                             ;   in Loop: Header=BB6_8318 Depth=2
	s_delay_alu instid0(VALU_DEP_2) | instskip(SKIP_2) | instid1(VALU_DEP_1)
	v_and_b32_e32 v37, 0xff, v35
	s_mov_b32 s10, 0
	s_mov_b32 s27, exec_lo
                                        ; implicit-def: $sgpr26
	v_cmpx_lt_i16_e32 0x7f, v37
	s_xor_b32 s27, exec_lo, s27
	s_cbranch_execnz .LBB6_8876
; %bb.8494:                             ;   in Loop: Header=BB6_8318 Depth=2
	s_or_saveexec_b32 s27, s27
	v_mov_b32_e32 v36, s26
	s_xor_b32 exec_lo, exec_lo, s27
	s_cbranch_execnz .LBB6_8879
.LBB6_8495:                             ;   in Loop: Header=BB6_8318 Depth=2
	s_or_b32 exec_lo, exec_lo, s27
	s_and_saveexec_b32 s26, s10
	s_cbranch_execz .LBB6_8497
.LBB6_8496:                             ;   in Loop: Header=BB6_8318 Depth=2
	v_bfe_u32 v36, v15, 16, 3
	v_bfe_u32 v39, v15, 19, 4
	v_lshlrev_b32_e32 v48, 24, v35
	s_delay_alu instid0(VALU_DEP_3) | instskip(NEXT) | instid1(VALU_DEP_3)
	v_clz_i32_u32_e32 v37, v36
	v_cmp_eq_u32_e32 vcc_lo, 0, v39
	s_delay_alu instid0(VALU_DEP_2) | instskip(NEXT) | instid1(VALU_DEP_1)
	v_min_u32_e32 v37, 32, v37
	v_subrev_nc_u32_e32 v38, 28, v37
	v_sub_nc_u32_e32 v37, 29, v37
	s_delay_alu instid0(VALU_DEP_1) | instskip(NEXT) | instid1(VALU_DEP_1)
	v_dual_cndmask_b32 v37, v39, v37 :: v_dual_lshlrev_b32 v38, v38, v35
	v_and_b32_e32 v38, 7, v38
	s_delay_alu instid0(VALU_DEP_2) | instskip(NEXT) | instid1(VALU_DEP_2)
	v_lshl_add_u32 v37, v37, 23, 0x3b800000
	v_cndmask_b32_e32 v36, v36, v38, vcc_lo
	v_and_b32_e32 v38, 0x80000000, v48
	s_delay_alu instid0(VALU_DEP_2) | instskip(NEXT) | instid1(VALU_DEP_1)
	v_lshlrev_b32_e32 v36, 20, v36
	v_or3_b32 v36, v38, v37, v36
.LBB6_8497:                             ;   in Loop: Header=BB6_8318 Depth=2
	s_or_b32 exec_lo, exec_lo, s26
	v_and_b32_e32 v38, 0xff, v34
	s_mov_b32 s10, 0
	s_mov_b32 s27, exec_lo
                                        ; implicit-def: $sgpr26
	s_delay_alu instid0(VALU_DEP_1)
	v_cmpx_lt_i16_e32 0x7f, v38
	s_xor_b32 s27, exec_lo, s27
	s_cbranch_execnz .LBB6_8880
; %bb.8498:                             ;   in Loop: Header=BB6_8318 Depth=2
	s_or_saveexec_b32 s27, s27
	v_mov_b32_e32 v37, s26
	s_xor_b32 exec_lo, exec_lo, s27
	s_cbranch_execnz .LBB6_8883
.LBB6_8499:                             ;   in Loop: Header=BB6_8318 Depth=2
	s_or_b32 exec_lo, exec_lo, s27
	s_and_saveexec_b32 s26, s10
	s_cbranch_execz .LBB6_8501
.LBB6_8500:                             ;   in Loop: Header=BB6_8318 Depth=2
	v_bfe_u32 v37, v11, 16, 3
	v_bfe_u32 v48, v11, 19, 4
	v_lshlrev_b32_e32 v49, 24, v34
	s_delay_alu instid0(VALU_DEP_3) | instskip(NEXT) | instid1(VALU_DEP_3)
	v_clz_i32_u32_e32 v38, v37
	v_cmp_eq_u32_e32 vcc_lo, 0, v48
	s_delay_alu instid0(VALU_DEP_2) | instskip(NEXT) | instid1(VALU_DEP_1)
	v_min_u32_e32 v38, 32, v38
	v_subrev_nc_u32_e32 v39, 28, v38
	v_sub_nc_u32_e32 v38, 29, v38
	s_delay_alu instid0(VALU_DEP_2) | instskip(NEXT) | instid1(VALU_DEP_1)
	v_lshlrev_b32_e32 v39, v39, v34
	v_dual_cndmask_b32 v38, v48, v38 :: v_dual_and_b32 v39, 7, v39
	s_delay_alu instid0(VALU_DEP_1) | instskip(NEXT) | instid1(VALU_DEP_2)
	v_lshl_add_u32 v38, v38, 23, 0x3b800000
	v_cndmask_b32_e32 v37, v37, v39, vcc_lo
	v_and_b32_e32 v39, 0x80000000, v49
	s_delay_alu instid0(VALU_DEP_2) | instskip(NEXT) | instid1(VALU_DEP_1)
	v_lshlrev_b32_e32 v37, 20, v37
	v_or3_b32 v37, v39, v38, v37
.LBB6_8501:                             ;   in Loop: Header=BB6_8318 Depth=2
	s_or_b32 exec_lo, exec_lo, s26
	s_delay_alu instid0(VALU_DEP_1) | instskip(SKIP_1) | instid1(VALU_DEP_1)
	v_dual_max_f32 v37, v37, v37 :: v_dual_max_f32 v36, v36, v36
	s_mov_b32 s10, 0
	v_max_f32_e32 v36, v36, v37
	s_branch .LBB6_8503
.LBB6_8502:                             ;   in Loop: Header=BB6_8318 Depth=2
	s_mov_b32 s10, -1
                                        ; implicit-def: $vgpr36
.LBB6_8503:                             ;   in Loop: Header=BB6_8318 Depth=2
	s_delay_alu instid0(SALU_CYCLE_1)
	s_and_b32 vcc_lo, exec_lo, s10
	s_cbranch_vccz .LBB6_8513
; %bb.8504:                             ;   in Loop: Header=BB6_8318 Depth=2
	v_and_b32_e32 v37, 0xff, v35
	s_mov_b32 s10, 0
	s_mov_b32 s27, exec_lo
                                        ; implicit-def: $sgpr26
	s_delay_alu instid0(VALU_DEP_1)
	v_cmpx_lt_i16_e32 0x7f, v37
	s_xor_b32 s27, exec_lo, s27
	s_cbranch_execnz .LBB6_8884
; %bb.8505:                             ;   in Loop: Header=BB6_8318 Depth=2
	s_or_saveexec_b32 s27, s27
	v_mov_b32_e32 v36, s26
	s_xor_b32 exec_lo, exec_lo, s27
	s_cbranch_execnz .LBB6_8887
.LBB6_8506:                             ;   in Loop: Header=BB6_8318 Depth=2
	s_or_b32 exec_lo, exec_lo, s27
	s_and_saveexec_b32 s26, s10
	s_cbranch_execz .LBB6_8508
.LBB6_8507:                             ;   in Loop: Header=BB6_8318 Depth=2
	v_bfe_u32 v36, v15, 16, 3
	v_bfe_u32 v39, v15, 19, 4
	s_delay_alu instid0(VALU_DEP_2) | instskip(NEXT) | instid1(VALU_DEP_2)
	v_clz_i32_u32_e32 v37, v36
	v_cmp_eq_u32_e32 vcc_lo, 0, v39
	s_delay_alu instid0(VALU_DEP_2) | instskip(NEXT) | instid1(VALU_DEP_1)
	v_min_u32_e32 v37, 32, v37
	v_subrev_nc_u32_e32 v38, 28, v37
	v_sub_nc_u32_e32 v37, 29, v37
	s_delay_alu instid0(VALU_DEP_1) | instskip(NEXT) | instid1(VALU_DEP_1)
	v_dual_cndmask_b32 v37, v39, v37 :: v_dual_lshlrev_b32 v38, v38, v35
	v_and_b32_e32 v38, 7, v38
	v_lshlrev_b32_e32 v35, 24, v35
	s_delay_alu instid0(VALU_DEP_3) | instskip(NEXT) | instid1(VALU_DEP_2)
	v_lshl_add_u32 v37, v37, 23, 0x3b800000
	v_dual_cndmask_b32 v36, v36, v38 :: v_dual_and_b32 v35, 0x80000000, v35
	s_delay_alu instid0(VALU_DEP_1) | instskip(NEXT) | instid1(VALU_DEP_1)
	v_lshlrev_b32_e32 v36, 20, v36
	v_or3_b32 v36, v35, v37, v36
.LBB6_8508:                             ;   in Loop: Header=BB6_8318 Depth=2
	s_or_b32 exec_lo, exec_lo, s26
	v_and_b32_e32 v37, 0xff, v34
	s_mov_b32 s10, 0
	s_mov_b32 s27, exec_lo
                                        ; implicit-def: $sgpr26
	s_delay_alu instid0(VALU_DEP_1)
	v_cmpx_lt_i16_e32 0x7f, v37
	s_xor_b32 s27, exec_lo, s27
	s_cbranch_execnz .LBB6_8888
; %bb.8509:                             ;   in Loop: Header=BB6_8318 Depth=2
	s_or_saveexec_b32 s27, s27
	v_mov_b32_e32 v35, s26
	s_xor_b32 exec_lo, exec_lo, s27
	s_cbranch_execnz .LBB6_8891
.LBB6_8510:                             ;   in Loop: Header=BB6_8318 Depth=2
	s_or_b32 exec_lo, exec_lo, s27
	s_and_saveexec_b32 s26, s10
	s_cbranch_execz .LBB6_8512
.LBB6_8511:                             ;   in Loop: Header=BB6_8318 Depth=2
	v_bfe_u32 v35, v11, 16, 3
	v_bfe_u32 v39, v11, 19, 4
	s_delay_alu instid0(VALU_DEP_2) | instskip(NEXT) | instid1(VALU_DEP_2)
	v_clz_i32_u32_e32 v37, v35
	v_cmp_eq_u32_e32 vcc_lo, 0, v39
	s_delay_alu instid0(VALU_DEP_2) | instskip(NEXT) | instid1(VALU_DEP_1)
	v_min_u32_e32 v37, 32, v37
	v_subrev_nc_u32_e32 v38, 28, v37
	v_sub_nc_u32_e32 v37, 29, v37
	s_delay_alu instid0(VALU_DEP_1) | instskip(SKIP_1) | instid1(VALU_DEP_2)
	v_dual_cndmask_b32 v37, v39, v37 :: v_dual_lshlrev_b32 v38, v38, v34
	v_lshlrev_b32_e32 v34, 24, v34
	v_and_b32_e32 v38, 7, v38
	s_delay_alu instid0(VALU_DEP_3) | instskip(NEXT) | instid1(VALU_DEP_3)
	v_lshl_add_u32 v37, v37, 23, 0x3b800000
	v_and_b32_e32 v34, 0x80000000, v34
	s_delay_alu instid0(VALU_DEP_3) | instskip(NEXT) | instid1(VALU_DEP_1)
	v_cndmask_b32_e32 v35, v35, v38, vcc_lo
	v_lshlrev_b32_e32 v35, 20, v35
	s_delay_alu instid0(VALU_DEP_1)
	v_or3_b32 v35, v34, v37, v35
.LBB6_8512:                             ;   in Loop: Header=BB6_8318 Depth=2
	s_or_b32 exec_lo, exec_lo, s26
	s_delay_alu instid0(VALU_DEP_1) | instskip(NEXT) | instid1(VALU_DEP_1)
	v_dual_max_f32 v34, v35, v35 :: v_dual_max_f32 v35, v36, v36
	v_min_f32_e32 v36, v35, v34
.LBB6_8513:                             ;   in Loop: Header=BB6_8318 Depth=2
	s_delay_alu instid0(VALU_DEP_1) | instskip(NEXT) | instid1(VALU_DEP_1)
	v_and_b32_e32 v34, 0x7f800000, v36
	v_cmp_ne_u32_e32 vcc_lo, 0x7f800000, v34
	v_mov_b32_e32 v34, 0x80
	s_and_saveexec_b32 s26, vcc_lo
	s_cbranch_execz .LBB6_8521
; %bb.8514:                             ;   in Loop: Header=BB6_8318 Depth=2
	v_mov_b32_e32 v34, 0
	s_mov_b32 s27, exec_lo
	v_cmpx_ne_u32_e32 0, v36
	s_cbranch_execz .LBB6_8520
; %bb.8515:                             ;   in Loop: Header=BB6_8318 Depth=2
	v_bfe_u32 v34, v36, 23, 8
	v_and_b32_e32 v35, 0x7fffff, v36
	s_delay_alu instid0(VALU_DEP_2) | instskip(SKIP_1) | instid1(VALU_DEP_3)
	v_sub_nc_u32_e32 v37, 0x78, v34
	v_cmp_gt_u32_e32 vcc_lo, 0x79, v34
	v_or_b32_e32 v38, 0x800000, v35
	s_delay_alu instid0(VALU_DEP_3) | instskip(SKIP_2) | instid1(VALU_DEP_3)
	v_cndmask_b32_e32 v37, 0, v37, vcc_lo
	v_cmp_eq_u32_e32 vcc_lo, 0, v34
	v_add_nc_u32_e32 v34, 0xffffff89, v34
	v_cndmask_b32_e64 v37, v37, 0x77, vcc_lo
	v_cndmask_b32_e32 v35, v38, v35, vcc_lo
	s_delay_alu instid0(VALU_DEP_3) | instskip(NEXT) | instid1(VALU_DEP_3)
	v_cndmask_b32_e64 v34, v34, 0xffffff8a, vcc_lo
	v_lshl_add_u32 v38, 0x100000, v37, -1
	s_delay_alu instid0(VALU_DEP_3) | instskip(SKIP_1) | instid1(VALU_DEP_4)
	v_lshrrev_b32_e32 v39, v37, v35
	v_lshlrev_b32_e64 v49, v37, 0x80000
	v_add_nc_u32_e32 v37, v37, v34
	s_delay_alu instid0(VALU_DEP_4) | instskip(NEXT) | instid1(VALU_DEP_4)
	v_and_b32_e32 v35, v38, v35
	v_bfe_u32 v48, v39, 20, 1
	s_delay_alu instid0(VALU_DEP_2) | instskip(NEXT) | instid1(VALU_DEP_2)
	v_cmp_eq_u32_e64 s10, v35, v49
	v_add_nc_u32_e32 v38, -1, v48
	s_delay_alu instid0(VALU_DEP_1) | instskip(SKIP_2) | instid1(VALU_DEP_2)
	v_cndmask_b32_e64 v35, 0, v38, s10
	v_lshrrev_b32_e32 v38, 23, v39
	s_mov_b32 s10, exec_lo
	v_add_nc_u32_e32 v35, v35, v39
	s_delay_alu instid0(VALU_DEP_2) | instskip(NEXT) | instid1(VALU_DEP_2)
	v_xor_b32_e32 v38, 1, v38
	v_and_b32_e32 v34, 0xfffff, v35
	s_delay_alu instid0(VALU_DEP_1) | instskip(NEXT) | instid1(VALU_DEP_3)
	v_add_nc_u32_e32 v35, v34, v39
                                        ; implicit-def: $vgpr34
	v_cmpx_ne_u32_e64 v37, v38
	s_xor_b32 s10, exec_lo, s10
; %bb.8516:                             ;   in Loop: Header=BB6_8318 Depth=2
	s_delay_alu instid0(VALU_DEP_2) | instskip(SKIP_2) | instid1(VALU_DEP_2)
	v_cmp_lt_u32_e32 vcc_lo, 0xffffff, v35
	v_sub_nc_u32_e32 v34, v37, v38
	v_cndmask_b32_e64 v37, 0, 1, vcc_lo
	v_add_co_ci_u32_e32 v34, vcc_lo, 0, v34, vcc_lo
	s_delay_alu instid0(VALU_DEP_2)
	v_lshrrev_b32_e32 v35, v37, v35
; %bb.8517:                             ;   in Loop: Header=BB6_8318 Depth=2
	s_and_not1_saveexec_b32 s10, s10
; %bb.8518:                             ;   in Loop: Header=BB6_8318 Depth=2
	s_delay_alu instid0(VALU_DEP_1)
	v_bfe_u32 v34, v35, 23, 1
; %bb.8519:                             ;   in Loop: Header=BB6_8318 Depth=2
	s_or_b32 exec_lo, exec_lo, s10
	v_lshrrev_b32_e32 v35, 20, v35
	s_delay_alu instid0(VALU_DEP_2) | instskip(SKIP_2) | instid1(VALU_DEP_2)
	v_cmp_gt_i32_e32 vcc_lo, 16, v34
	v_lshrrev_b32_e32 v36, 24, v36
	v_min_i32_e32 v37, 15, v34
	v_dual_cndmask_b32 v35, 7, v35 :: v_dual_and_b32 v36, 0x80, v36
	s_delay_alu instid0(VALU_DEP_1) | instskip(SKIP_1) | instid1(VALU_DEP_2)
	v_or_b32_e32 v34, v34, v35
	v_and_b32_e32 v38, 7, v35
	v_cmp_ne_u32_e32 vcc_lo, 0, v34
	v_lshlrev_b32_e32 v37, 3, v37
	s_delay_alu instid0(VALU_DEP_1) | instskip(NEXT) | instid1(VALU_DEP_1)
	v_and_b32_e32 v37, 0xf8, v37
	v_or3_b32 v35, v37, v36, v38
	s_delay_alu instid0(VALU_DEP_1)
	v_cndmask_b32_e32 v34, 0, v35, vcc_lo
.LBB6_8520:                             ;   in Loop: Header=BB6_8318 Depth=2
	s_or_b32 exec_lo, exec_lo, s27
.LBB6_8521:                             ;   in Loop: Header=BB6_8318 Depth=2
	s_delay_alu instid0(SALU_CYCLE_1)
	s_or_b32 exec_lo, exec_lo, s26
	v_lshrrev_b32_e32 v36, 24, v15
	v_lshrrev_b32_e32 v35, 24, v11
	s_and_b32 vcc_lo, exec_lo, s25
	s_cbranch_vccz .LBB6_8531
; %bb.8522:                             ;   in Loop: Header=BB6_8318 Depth=2
	s_mov_b32 s10, 0
	s_mov_b32 s27, exec_lo
                                        ; implicit-def: $sgpr26
	v_cmpx_lt_i16_e32 0x7f, v36
	s_xor_b32 s27, exec_lo, s27
	s_cbranch_execnz .LBB6_8892
; %bb.8523:                             ;   in Loop: Header=BB6_8318 Depth=2
	s_or_saveexec_b32 s27, s27
	v_mov_b32_e32 v37, s26
	s_xor_b32 exec_lo, exec_lo, s27
	s_cbranch_execnz .LBB6_8895
.LBB6_8524:                             ;   in Loop: Header=BB6_8318 Depth=2
	s_or_b32 exec_lo, exec_lo, s27
	s_and_saveexec_b32 s26, s10
	s_cbranch_execz .LBB6_8526
.LBB6_8525:                             ;   in Loop: Header=BB6_8318 Depth=2
	v_bfe_u32 v37, v15, 24, 3
	v_bfe_u32 v48, v15, 27, 4
	s_delay_alu instid0(VALU_DEP_2) | instskip(NEXT) | instid1(VALU_DEP_2)
	v_clz_i32_u32_e32 v38, v37
	v_cmp_eq_u32_e32 vcc_lo, 0, v48
	s_delay_alu instid0(VALU_DEP_2) | instskip(NEXT) | instid1(VALU_DEP_1)
	v_min_u32_e32 v38, 32, v38
	v_subrev_nc_u32_e32 v39, 28, v38
	v_sub_nc_u32_e32 v38, 29, v38
	s_delay_alu instid0(VALU_DEP_1) | instskip(NEXT) | instid1(VALU_DEP_1)
	v_dual_cndmask_b32 v38, v48, v38 :: v_dual_lshlrev_b32 v39, v39, v36
	v_and_b32_e32 v39, 7, v39
	s_delay_alu instid0(VALU_DEP_2) | instskip(NEXT) | instid1(VALU_DEP_2)
	v_lshl_add_u32 v38, v38, 23, 0x3b800000
	v_cndmask_b32_e32 v37, v37, v39, vcc_lo
	v_and_b32_e32 v39, 0x80000000, v15
	s_delay_alu instid0(VALU_DEP_2) | instskip(NEXT) | instid1(VALU_DEP_1)
	v_lshlrev_b32_e32 v37, 20, v37
	v_or3_b32 v37, v39, v38, v37
.LBB6_8526:                             ;   in Loop: Header=BB6_8318 Depth=2
	s_or_b32 exec_lo, exec_lo, s26
	s_mov_b32 s10, 0
	s_mov_b32 s27, exec_lo
                                        ; implicit-def: $sgpr26
	v_cmpx_lt_i16_e32 0x7f, v35
	s_xor_b32 s27, exec_lo, s27
	s_cbranch_execnz .LBB6_8896
; %bb.8527:                             ;   in Loop: Header=BB6_8318 Depth=2
	s_or_saveexec_b32 s27, s27
	v_mov_b32_e32 v38, s26
	s_xor_b32 exec_lo, exec_lo, s27
	s_cbranch_execnz .LBB6_8899
.LBB6_8528:                             ;   in Loop: Header=BB6_8318 Depth=2
	s_or_b32 exec_lo, exec_lo, s27
	s_and_saveexec_b32 s26, s10
	s_cbranch_execz .LBB6_8530
.LBB6_8529:                             ;   in Loop: Header=BB6_8318 Depth=2
	v_bfe_u32 v38, v11, 24, 3
	v_bfe_u32 v49, v11, 27, 4
	s_delay_alu instid0(VALU_DEP_2) | instskip(NEXT) | instid1(VALU_DEP_2)
	v_clz_i32_u32_e32 v39, v38
	v_cmp_eq_u32_e32 vcc_lo, 0, v49
	s_delay_alu instid0(VALU_DEP_2) | instskip(NEXT) | instid1(VALU_DEP_1)
	v_min_u32_e32 v39, 32, v39
	v_subrev_nc_u32_e32 v48, 28, v39
	v_sub_nc_u32_e32 v39, 29, v39
	s_delay_alu instid0(VALU_DEP_2) | instskip(NEXT) | instid1(VALU_DEP_1)
	v_lshlrev_b32_e32 v48, v48, v35
	v_dual_cndmask_b32 v39, v49, v39 :: v_dual_and_b32 v48, 7, v48
	s_delay_alu instid0(VALU_DEP_1) | instskip(NEXT) | instid1(VALU_DEP_2)
	v_lshl_add_u32 v39, v39, 23, 0x3b800000
	v_cndmask_b32_e32 v38, v38, v48, vcc_lo
	v_and_b32_e32 v48, 0x80000000, v11
	s_delay_alu instid0(VALU_DEP_2) | instskip(NEXT) | instid1(VALU_DEP_1)
	v_lshlrev_b32_e32 v38, 20, v38
	v_or3_b32 v38, v48, v39, v38
.LBB6_8530:                             ;   in Loop: Header=BB6_8318 Depth=2
	s_or_b32 exec_lo, exec_lo, s26
	s_delay_alu instid0(VALU_DEP_1) | instskip(SKIP_1) | instid1(VALU_DEP_1)
	v_dual_max_f32 v38, v38, v38 :: v_dual_max_f32 v37, v37, v37
	s_mov_b32 s10, 0
	v_max_f32_e32 v37, v37, v38
	s_branch .LBB6_8532
.LBB6_8531:                             ;   in Loop: Header=BB6_8318 Depth=2
	s_mov_b32 s10, -1
                                        ; implicit-def: $vgpr37
.LBB6_8532:                             ;   in Loop: Header=BB6_8318 Depth=2
	s_delay_alu instid0(SALU_CYCLE_1)
	s_and_b32 vcc_lo, exec_lo, s10
	s_cbranch_vccz .LBB6_8542
; %bb.8533:                             ;   in Loop: Header=BB6_8318 Depth=2
	s_mov_b32 s10, 0
	s_mov_b32 s27, exec_lo
                                        ; implicit-def: $sgpr26
	v_cmpx_lt_i16_e32 0x7f, v36
	s_xor_b32 s27, exec_lo, s27
	s_cbranch_execnz .LBB6_8900
; %bb.8534:                             ;   in Loop: Header=BB6_8318 Depth=2
	s_or_saveexec_b32 s27, s27
	v_mov_b32_e32 v37, s26
	s_xor_b32 exec_lo, exec_lo, s27
	s_cbranch_execnz .LBB6_8903
.LBB6_8535:                             ;   in Loop: Header=BB6_8318 Depth=2
	s_or_b32 exec_lo, exec_lo, s27
	s_and_saveexec_b32 s26, s10
	s_cbranch_execz .LBB6_8537
.LBB6_8536:                             ;   in Loop: Header=BB6_8318 Depth=2
	v_bfe_u32 v37, v15, 24, 3
	s_delay_alu instid0(VALU_DEP_1) | instskip(NEXT) | instid1(VALU_DEP_1)
	v_clz_i32_u32_e32 v38, v37
	v_min_u32_e32 v38, 32, v38
	s_delay_alu instid0(VALU_DEP_1) | instskip(SKIP_1) | instid1(VALU_DEP_2)
	v_subrev_nc_u32_e32 v39, 28, v38
	v_sub_nc_u32_e32 v38, 29, v38
	v_lshlrev_b32_e32 v36, v39, v36
	v_bfe_u32 v39, v15, 27, 4
	v_and_b32_e32 v15, 0x80000000, v15
	s_delay_alu instid0(VALU_DEP_3) | instskip(NEXT) | instid1(VALU_DEP_3)
	v_and_b32_e32 v36, 7, v36
	v_cmp_eq_u32_e32 vcc_lo, 0, v39
	v_cndmask_b32_e32 v38, v39, v38, vcc_lo
	s_delay_alu instid0(VALU_DEP_3) | instskip(NEXT) | instid1(VALU_DEP_2)
	v_cndmask_b32_e32 v36, v37, v36, vcc_lo
	v_lshl_add_u32 v37, v38, 23, 0x3b800000
	s_delay_alu instid0(VALU_DEP_2) | instskip(NEXT) | instid1(VALU_DEP_1)
	v_lshlrev_b32_e32 v36, 20, v36
	v_or3_b32 v37, v15, v37, v36
.LBB6_8537:                             ;   in Loop: Header=BB6_8318 Depth=2
	s_or_b32 exec_lo, exec_lo, s26
	s_mov_b32 s10, 0
	s_mov_b32 s27, exec_lo
                                        ; implicit-def: $sgpr26
	v_cmpx_lt_i16_e32 0x7f, v35
	s_xor_b32 s27, exec_lo, s27
	s_cbranch_execnz .LBB6_8904
; %bb.8538:                             ;   in Loop: Header=BB6_8318 Depth=2
	s_or_saveexec_b32 s27, s27
	v_mov_b32_e32 v15, s26
	s_xor_b32 exec_lo, exec_lo, s27
	s_cbranch_execnz .LBB6_8907
.LBB6_8539:                             ;   in Loop: Header=BB6_8318 Depth=2
	s_or_b32 exec_lo, exec_lo, s27
	s_and_saveexec_b32 s26, s10
	s_cbranch_execz .LBB6_8541
.LBB6_8540:                             ;   in Loop: Header=BB6_8318 Depth=2
	v_bfe_u32 v15, v11, 24, 3
	s_delay_alu instid0(VALU_DEP_1) | instskip(NEXT) | instid1(VALU_DEP_1)
	v_clz_i32_u32_e32 v36, v15
	v_min_u32_e32 v36, 32, v36
	s_delay_alu instid0(VALU_DEP_1) | instskip(SKIP_1) | instid1(VALU_DEP_2)
	v_subrev_nc_u32_e32 v38, 28, v36
	v_sub_nc_u32_e32 v36, 29, v36
	v_lshlrev_b32_e32 v35, v38, v35
	v_bfe_u32 v38, v11, 27, 4
	v_and_b32_e32 v11, 0x80000000, v11
	s_delay_alu instid0(VALU_DEP_2) | instskip(NEXT) | instid1(VALU_DEP_4)
	v_cmp_eq_u32_e32 vcc_lo, 0, v38
	v_dual_cndmask_b32 v36, v38, v36 :: v_dual_and_b32 v35, 7, v35
	s_delay_alu instid0(VALU_DEP_1) | instskip(NEXT) | instid1(VALU_DEP_2)
	v_cndmask_b32_e32 v15, v15, v35, vcc_lo
	v_lshl_add_u32 v35, v36, 23, 0x3b800000
	s_delay_alu instid0(VALU_DEP_2) | instskip(NEXT) | instid1(VALU_DEP_1)
	v_lshlrev_b32_e32 v15, 20, v15
	v_or3_b32 v15, v11, v35, v15
.LBB6_8541:                             ;   in Loop: Header=BB6_8318 Depth=2
	s_or_b32 exec_lo, exec_lo, s26
	s_delay_alu instid0(VALU_DEP_1) | instskip(SKIP_1) | instid1(VALU_DEP_1)
	v_max_f32_e32 v11, v15, v15
	v_max_f32_e32 v15, v37, v37
	v_min_f32_e32 v37, v15, v11
.LBB6_8542:                             ;   in Loop: Header=BB6_8318 Depth=2
	s_delay_alu instid0(VALU_DEP_1) | instskip(NEXT) | instid1(VALU_DEP_1)
	v_and_b32_e32 v11, 0x7f800000, v37
	v_cmp_ne_u32_e32 vcc_lo, 0x7f800000, v11
	v_mov_b32_e32 v11, 0x8000
	s_and_saveexec_b32 s26, vcc_lo
	s_cbranch_execz .LBB6_8550
; %bb.8543:                             ;   in Loop: Header=BB6_8318 Depth=2
	v_mov_b32_e32 v11, 0
	s_mov_b32 s27, exec_lo
	v_cmpx_ne_u32_e32 0, v37
	s_cbranch_execz .LBB6_8549
; %bb.8544:                             ;   in Loop: Header=BB6_8318 Depth=2
	v_bfe_u32 v11, v37, 23, 8
	v_and_b32_e32 v15, 0x7fffff, v37
	s_delay_alu instid0(VALU_DEP_2) | instskip(SKIP_1) | instid1(VALU_DEP_3)
	v_sub_nc_u32_e32 v35, 0x78, v11
	v_cmp_gt_u32_e32 vcc_lo, 0x79, v11
	v_or_b32_e32 v36, 0x800000, v15
	s_delay_alu instid0(VALU_DEP_3) | instskip(SKIP_2) | instid1(VALU_DEP_3)
	v_cndmask_b32_e32 v35, 0, v35, vcc_lo
	v_cmp_eq_u32_e32 vcc_lo, 0, v11
	v_add_nc_u32_e32 v11, 0xffffff89, v11
	v_cndmask_b32_e64 v35, v35, 0x77, vcc_lo
	v_cndmask_b32_e32 v15, v36, v15, vcc_lo
	s_delay_alu instid0(VALU_DEP_3) | instskip(NEXT) | instid1(VALU_DEP_3)
	v_cndmask_b32_e64 v11, v11, 0xffffff8a, vcc_lo
	v_lshl_add_u32 v36, 0x100000, v35, -1
	s_delay_alu instid0(VALU_DEP_3) | instskip(SKIP_1) | instid1(VALU_DEP_4)
	v_lshrrev_b32_e32 v38, v35, v15
	v_lshlrev_b32_e64 v48, v35, 0x80000
	v_add_nc_u32_e32 v35, v35, v11
	s_delay_alu instid0(VALU_DEP_4) | instskip(NEXT) | instid1(VALU_DEP_4)
	v_and_b32_e32 v15, v36, v15
	v_bfe_u32 v39, v38, 20, 1
	s_delay_alu instid0(VALU_DEP_2) | instskip(NEXT) | instid1(VALU_DEP_2)
	v_cmp_eq_u32_e64 s10, v15, v48
	v_add_nc_u32_e32 v36, -1, v39
	s_delay_alu instid0(VALU_DEP_1) | instskip(SKIP_2) | instid1(VALU_DEP_2)
	v_cndmask_b32_e64 v15, 0, v36, s10
	v_lshrrev_b32_e32 v36, 23, v38
	s_mov_b32 s10, exec_lo
	v_add_nc_u32_e32 v15, v15, v38
	s_delay_alu instid0(VALU_DEP_2) | instskip(NEXT) | instid1(VALU_DEP_2)
	v_xor_b32_e32 v36, 1, v36
	v_and_b32_e32 v11, 0xfffff, v15
	s_delay_alu instid0(VALU_DEP_1) | instskip(NEXT) | instid1(VALU_DEP_3)
	v_add_nc_u32_e32 v15, v11, v38
                                        ; implicit-def: $vgpr11
	v_cmpx_ne_u32_e64 v35, v36
	s_xor_b32 s10, exec_lo, s10
; %bb.8545:                             ;   in Loop: Header=BB6_8318 Depth=2
	s_delay_alu instid0(VALU_DEP_2) | instskip(SKIP_2) | instid1(VALU_DEP_2)
	v_cmp_lt_u32_e32 vcc_lo, 0xffffff, v15
	v_sub_nc_u32_e32 v11, v35, v36
	v_cndmask_b32_e64 v35, 0, 1, vcc_lo
	v_add_co_ci_u32_e32 v11, vcc_lo, 0, v11, vcc_lo
	s_delay_alu instid0(VALU_DEP_2)
	v_lshrrev_b32_e32 v15, v35, v15
; %bb.8546:                             ;   in Loop: Header=BB6_8318 Depth=2
	s_and_not1_saveexec_b32 s10, s10
; %bb.8547:                             ;   in Loop: Header=BB6_8318 Depth=2
	s_delay_alu instid0(VALU_DEP_1)
	v_bfe_u32 v11, v15, 23, 1
; %bb.8548:                             ;   in Loop: Header=BB6_8318 Depth=2
	s_or_b32 exec_lo, exec_lo, s10
	v_lshrrev_b32_e32 v15, 20, v15
	s_delay_alu instid0(VALU_DEP_2) | instskip(SKIP_2) | instid1(VALU_DEP_3)
	v_min_i32_e32 v35, 15, v11
	v_cmp_gt_i32_e32 vcc_lo, 16, v11
	v_lshrrev_b32_e32 v36, 24, v37
	v_lshlrev_b32_e32 v35, 3, v35
	s_delay_alu instid0(VALU_DEP_2) | instskip(NEXT) | instid1(VALU_DEP_2)
	v_dual_cndmask_b32 v15, 7, v15 :: v_dual_and_b32 v36, 0x80, v36
	v_and_b32_e32 v35, 0xf8, v35
	s_delay_alu instid0(VALU_DEP_2) | instskip(SKIP_1) | instid1(VALU_DEP_2)
	v_and_b32_e32 v37, 7, v15
	v_or_b32_e32 v11, v11, v15
	v_or3_b32 v35, v36, v35, v37
	s_delay_alu instid0(VALU_DEP_2) | instskip(NEXT) | instid1(VALU_DEP_2)
	v_cmp_ne_u32_e32 vcc_lo, 0, v11
	v_lshlrev_b32_e32 v15, 8, v35
	s_delay_alu instid0(VALU_DEP_1)
	v_cndmask_b32_e32 v11, 0, v15, vcc_lo
.LBB6_8549:                             ;   in Loop: Header=BB6_8318 Depth=2
	s_or_b32 exec_lo, exec_lo, s27
.LBB6_8550:                             ;   in Loop: Header=BB6_8318 Depth=2
	s_delay_alu instid0(SALU_CYCLE_1) | instskip(NEXT) | instid1(SALU_CYCLE_1)
	s_or_b32 exec_lo, exec_lo, s26
	s_and_b32 vcc_lo, exec_lo, s25
	s_cbranch_vccz .LBB6_8560
; %bb.8551:                             ;   in Loop: Header=BB6_8318 Depth=2
	v_and_b32_e32 v35, 0xff, v16
	s_mov_b32 s10, 0
	s_mov_b32 s27, exec_lo
                                        ; implicit-def: $sgpr26
	s_delay_alu instid0(VALU_DEP_1)
	v_cmpx_lt_i16_e32 0x7f, v35
	s_xor_b32 s27, exec_lo, s27
	s_cbranch_execnz .LBB6_8908
; %bb.8552:                             ;   in Loop: Header=BB6_8318 Depth=2
	s_or_saveexec_b32 s27, s27
	v_mov_b32_e32 v15, s26
	s_xor_b32 exec_lo, exec_lo, s27
	s_cbranch_execnz .LBB6_8911
.LBB6_8553:                             ;   in Loop: Header=BB6_8318 Depth=2
	s_or_b32 exec_lo, exec_lo, s27
	s_and_saveexec_b32 s26, s10
	s_cbranch_execz .LBB6_8555
.LBB6_8554:                             ;   in Loop: Header=BB6_8318 Depth=2
	v_and_b32_e32 v15, 7, v16
	v_bfe_u32 v37, v16, 3, 4
	v_lshlrev_b32_e32 v38, 24, v16
	s_delay_alu instid0(VALU_DEP_3) | instskip(NEXT) | instid1(VALU_DEP_3)
	v_clz_i32_u32_e32 v35, v15
	v_cmp_eq_u32_e32 vcc_lo, 0, v37
	s_delay_alu instid0(VALU_DEP_2) | instskip(NEXT) | instid1(VALU_DEP_1)
	v_min_u32_e32 v35, 32, v35
	v_subrev_nc_u32_e32 v36, 28, v35
	v_sub_nc_u32_e32 v35, 29, v35
	s_delay_alu instid0(VALU_DEP_1) | instskip(NEXT) | instid1(VALU_DEP_1)
	v_dual_cndmask_b32 v35, v37, v35 :: v_dual_lshlrev_b32 v36, v36, v16
	v_and_b32_e32 v36, 7, v36
	s_delay_alu instid0(VALU_DEP_2) | instskip(NEXT) | instid1(VALU_DEP_2)
	v_lshl_add_u32 v35, v35, 23, 0x3b800000
	v_dual_cndmask_b32 v15, v15, v36 :: v_dual_and_b32 v36, 0x80000000, v38
	s_delay_alu instid0(VALU_DEP_1) | instskip(NEXT) | instid1(VALU_DEP_1)
	v_lshlrev_b32_e32 v15, 20, v15
	v_or3_b32 v15, v36, v35, v15
.LBB6_8555:                             ;   in Loop: Header=BB6_8318 Depth=2
	s_or_b32 exec_lo, exec_lo, s26
	v_and_b32_e32 v36, 0xff, v12
	s_mov_b32 s10, 0
	s_mov_b32 s27, exec_lo
                                        ; implicit-def: $sgpr26
	s_delay_alu instid0(VALU_DEP_1)
	v_cmpx_lt_i16_e32 0x7f, v36
	s_xor_b32 s27, exec_lo, s27
	s_cbranch_execnz .LBB6_8912
; %bb.8556:                             ;   in Loop: Header=BB6_8318 Depth=2
	s_or_saveexec_b32 s27, s27
	v_mov_b32_e32 v35, s26
	s_xor_b32 exec_lo, exec_lo, s27
	s_cbranch_execnz .LBB6_8915
.LBB6_8557:                             ;   in Loop: Header=BB6_8318 Depth=2
	s_or_b32 exec_lo, exec_lo, s27
	s_and_saveexec_b32 s26, s10
	s_cbranch_execz .LBB6_8559
.LBB6_8558:                             ;   in Loop: Header=BB6_8318 Depth=2
	v_and_b32_e32 v35, 7, v12
	v_bfe_u32 v38, v12, 3, 4
	v_lshlrev_b32_e32 v39, 24, v12
	s_delay_alu instid0(VALU_DEP_3) | instskip(NEXT) | instid1(VALU_DEP_3)
	v_clz_i32_u32_e32 v36, v35
	v_cmp_eq_u32_e32 vcc_lo, 0, v38
	s_delay_alu instid0(VALU_DEP_2) | instskip(NEXT) | instid1(VALU_DEP_1)
	v_min_u32_e32 v36, 32, v36
	v_subrev_nc_u32_e32 v37, 28, v36
	v_sub_nc_u32_e32 v36, 29, v36
	s_delay_alu instid0(VALU_DEP_2) | instskip(NEXT) | instid1(VALU_DEP_1)
	v_lshlrev_b32_e32 v37, v37, v12
	v_dual_cndmask_b32 v36, v38, v36 :: v_dual_and_b32 v37, 7, v37
	s_delay_alu instid0(VALU_DEP_1) | instskip(NEXT) | instid1(VALU_DEP_2)
	v_lshl_add_u32 v36, v36, 23, 0x3b800000
	v_cndmask_b32_e32 v35, v35, v37, vcc_lo
	v_and_b32_e32 v37, 0x80000000, v39
	s_delay_alu instid0(VALU_DEP_2) | instskip(NEXT) | instid1(VALU_DEP_1)
	v_lshlrev_b32_e32 v35, 20, v35
	v_or3_b32 v35, v37, v36, v35
.LBB6_8559:                             ;   in Loop: Header=BB6_8318 Depth=2
	s_or_b32 exec_lo, exec_lo, s26
	s_delay_alu instid0(VALU_DEP_1) | instskip(SKIP_2) | instid1(VALU_DEP_1)
	v_max_f32_e32 v35, v35, v35
	v_max_f32_e32 v15, v15, v15
	s_mov_b32 s10, 0
	v_max_f32_e32 v35, v15, v35
	s_branch .LBB6_8561
.LBB6_8560:                             ;   in Loop: Header=BB6_8318 Depth=2
	s_mov_b32 s10, -1
                                        ; implicit-def: $vgpr35
.LBB6_8561:                             ;   in Loop: Header=BB6_8318 Depth=2
	s_delay_alu instid0(SALU_CYCLE_1)
	s_and_b32 vcc_lo, exec_lo, s10
	s_cbranch_vccz .LBB6_8571
; %bb.8562:                             ;   in Loop: Header=BB6_8318 Depth=2
	v_and_b32_e32 v35, 0xff, v16
	s_mov_b32 s10, 0
	s_mov_b32 s27, exec_lo
                                        ; implicit-def: $sgpr26
	s_delay_alu instid0(VALU_DEP_1)
	v_cmpx_lt_i16_e32 0x7f, v35
	s_xor_b32 s27, exec_lo, s27
	s_cbranch_execnz .LBB6_8916
; %bb.8563:                             ;   in Loop: Header=BB6_8318 Depth=2
	s_or_saveexec_b32 s27, s27
	v_mov_b32_e32 v15, s26
	s_xor_b32 exec_lo, exec_lo, s27
	s_cbranch_execnz .LBB6_8919
.LBB6_8564:                             ;   in Loop: Header=BB6_8318 Depth=2
	s_or_b32 exec_lo, exec_lo, s27
	s_and_saveexec_b32 s26, s10
	s_cbranch_execz .LBB6_8566
.LBB6_8565:                             ;   in Loop: Header=BB6_8318 Depth=2
	v_and_b32_e32 v15, 7, v16
	v_bfe_u32 v37, v16, 3, 4
	v_lshlrev_b32_e32 v38, 24, v16
	s_delay_alu instid0(VALU_DEP_3) | instskip(NEXT) | instid1(VALU_DEP_3)
	v_clz_i32_u32_e32 v35, v15
	v_cmp_eq_u32_e32 vcc_lo, 0, v37
	s_delay_alu instid0(VALU_DEP_2) | instskip(NEXT) | instid1(VALU_DEP_1)
	v_min_u32_e32 v35, 32, v35
	v_subrev_nc_u32_e32 v36, 28, v35
	v_sub_nc_u32_e32 v35, 29, v35
	s_delay_alu instid0(VALU_DEP_1) | instskip(NEXT) | instid1(VALU_DEP_1)
	v_dual_cndmask_b32 v35, v37, v35 :: v_dual_lshlrev_b32 v36, v36, v16
	v_and_b32_e32 v36, 7, v36
	s_delay_alu instid0(VALU_DEP_2) | instskip(NEXT) | instid1(VALU_DEP_2)
	v_lshl_add_u32 v35, v35, 23, 0x3b800000
	v_dual_cndmask_b32 v15, v15, v36 :: v_dual_and_b32 v36, 0x80000000, v38
	s_delay_alu instid0(VALU_DEP_1) | instskip(NEXT) | instid1(VALU_DEP_1)
	v_lshlrev_b32_e32 v15, 20, v15
	v_or3_b32 v15, v36, v35, v15
.LBB6_8566:                             ;   in Loop: Header=BB6_8318 Depth=2
	s_or_b32 exec_lo, exec_lo, s26
	v_and_b32_e32 v36, 0xff, v12
	s_mov_b32 s10, 0
	s_mov_b32 s27, exec_lo
                                        ; implicit-def: $sgpr26
	s_delay_alu instid0(VALU_DEP_1)
	v_cmpx_lt_i16_e32 0x7f, v36
	s_xor_b32 s27, exec_lo, s27
	s_cbranch_execnz .LBB6_8920
; %bb.8567:                             ;   in Loop: Header=BB6_8318 Depth=2
	s_or_saveexec_b32 s27, s27
	v_mov_b32_e32 v35, s26
	s_xor_b32 exec_lo, exec_lo, s27
	s_cbranch_execnz .LBB6_8923
.LBB6_8568:                             ;   in Loop: Header=BB6_8318 Depth=2
	s_or_b32 exec_lo, exec_lo, s27
	s_and_saveexec_b32 s26, s10
	s_cbranch_execz .LBB6_8570
.LBB6_8569:                             ;   in Loop: Header=BB6_8318 Depth=2
	v_and_b32_e32 v35, 7, v12
	v_bfe_u32 v38, v12, 3, 4
	v_lshlrev_b32_e32 v39, 24, v12
	s_delay_alu instid0(VALU_DEP_3) | instskip(NEXT) | instid1(VALU_DEP_3)
	v_clz_i32_u32_e32 v36, v35
	v_cmp_eq_u32_e32 vcc_lo, 0, v38
	s_delay_alu instid0(VALU_DEP_2) | instskip(NEXT) | instid1(VALU_DEP_1)
	v_min_u32_e32 v36, 32, v36
	v_subrev_nc_u32_e32 v37, 28, v36
	v_sub_nc_u32_e32 v36, 29, v36
	s_delay_alu instid0(VALU_DEP_2) | instskip(NEXT) | instid1(VALU_DEP_1)
	v_lshlrev_b32_e32 v37, v37, v12
	v_dual_cndmask_b32 v36, v38, v36 :: v_dual_and_b32 v37, 7, v37
	s_delay_alu instid0(VALU_DEP_1) | instskip(NEXT) | instid1(VALU_DEP_2)
	v_lshl_add_u32 v36, v36, 23, 0x3b800000
	v_cndmask_b32_e32 v35, v35, v37, vcc_lo
	v_and_b32_e32 v37, 0x80000000, v39
	s_delay_alu instid0(VALU_DEP_2) | instskip(NEXT) | instid1(VALU_DEP_1)
	v_lshlrev_b32_e32 v35, 20, v35
	v_or3_b32 v35, v37, v36, v35
.LBB6_8570:                             ;   in Loop: Header=BB6_8318 Depth=2
	s_or_b32 exec_lo, exec_lo, s26
	s_delay_alu instid0(VALU_DEP_1) | instskip(SKIP_1) | instid1(VALU_DEP_1)
	v_max_f32_e32 v35, v35, v35
	v_max_f32_e32 v15, v15, v15
	v_min_f32_e32 v35, v15, v35
.LBB6_8571:                             ;   in Loop: Header=BB6_8318 Depth=2
	s_delay_alu instid0(VALU_DEP_1) | instskip(NEXT) | instid1(VALU_DEP_1)
	v_and_b32_e32 v15, 0x7f800000, v35
	v_cmp_ne_u32_e32 vcc_lo, 0x7f800000, v15
	v_mov_b32_e32 v15, 0x80
	s_and_saveexec_b32 s26, vcc_lo
	s_cbranch_execz .LBB6_8579
; %bb.8572:                             ;   in Loop: Header=BB6_8318 Depth=2
	v_mov_b32_e32 v15, 0
	s_mov_b32 s27, exec_lo
	v_cmpx_ne_u32_e32 0, v35
	s_cbranch_execz .LBB6_8578
; %bb.8573:                             ;   in Loop: Header=BB6_8318 Depth=2
	v_bfe_u32 v15, v35, 23, 8
	s_delay_alu instid0(VALU_DEP_1) | instskip(SKIP_1) | instid1(VALU_DEP_2)
	v_sub_nc_u32_e32 v37, 0x78, v15
	v_cmp_gt_u32_e32 vcc_lo, 0x79, v15
	v_dual_cndmask_b32 v37, 0, v37 :: v_dual_and_b32 v36, 0x7fffff, v35
	s_delay_alu instid0(VALU_DEP_1) | instskip(SKIP_2) | instid1(VALU_DEP_4)
	v_or_b32_e32 v38, 0x800000, v36
	v_cmp_eq_u32_e32 vcc_lo, 0, v15
	v_add_nc_u32_e32 v15, 0xffffff89, v15
	v_cndmask_b32_e64 v37, v37, 0x77, vcc_lo
	s_delay_alu instid0(VALU_DEP_4) | instskip(NEXT) | instid1(VALU_DEP_3)
	v_cndmask_b32_e32 v36, v38, v36, vcc_lo
	v_cndmask_b32_e64 v15, v15, 0xffffff8a, vcc_lo
	s_delay_alu instid0(VALU_DEP_3) | instskip(NEXT) | instid1(VALU_DEP_3)
	v_lshl_add_u32 v38, 0x100000, v37, -1
	v_lshrrev_b32_e32 v39, v37, v36
	v_lshlrev_b32_e64 v49, v37, 0x80000
	s_delay_alu instid0(VALU_DEP_4) | instskip(NEXT) | instid1(VALU_DEP_4)
	v_add_nc_u32_e32 v37, v37, v15
	v_and_b32_e32 v36, v38, v36
	s_delay_alu instid0(VALU_DEP_4) | instskip(NEXT) | instid1(VALU_DEP_2)
	v_bfe_u32 v48, v39, 20, 1
	v_cmp_eq_u32_e64 s10, v36, v49
	s_delay_alu instid0(VALU_DEP_2) | instskip(NEXT) | instid1(VALU_DEP_1)
	v_add_nc_u32_e32 v38, -1, v48
	v_cndmask_b32_e64 v36, 0, v38, s10
	v_lshrrev_b32_e32 v38, 23, v39
	s_mov_b32 s10, exec_lo
	s_delay_alu instid0(VALU_DEP_2) | instskip(NEXT) | instid1(VALU_DEP_2)
	v_add_nc_u32_e32 v36, v36, v39
	v_xor_b32_e32 v38, 1, v38
	s_delay_alu instid0(VALU_DEP_2) | instskip(NEXT) | instid1(VALU_DEP_1)
	v_and_b32_e32 v15, 0xfffff, v36
	v_add_nc_u32_e32 v36, v15, v39
                                        ; implicit-def: $vgpr15
	s_delay_alu instid0(VALU_DEP_3)
	v_cmpx_ne_u32_e64 v37, v38
	s_xor_b32 s10, exec_lo, s10
; %bb.8574:                             ;   in Loop: Header=BB6_8318 Depth=2
	s_delay_alu instid0(VALU_DEP_2) | instskip(SKIP_2) | instid1(VALU_DEP_2)
	v_cmp_lt_u32_e32 vcc_lo, 0xffffff, v36
	v_sub_nc_u32_e32 v15, v37, v38
	v_cndmask_b32_e64 v37, 0, 1, vcc_lo
	v_add_co_ci_u32_e32 v15, vcc_lo, 0, v15, vcc_lo
	s_delay_alu instid0(VALU_DEP_2)
	v_lshrrev_b32_e32 v36, v37, v36
; %bb.8575:                             ;   in Loop: Header=BB6_8318 Depth=2
	s_and_not1_saveexec_b32 s10, s10
; %bb.8576:                             ;   in Loop: Header=BB6_8318 Depth=2
	s_delay_alu instid0(VALU_DEP_1)
	v_bfe_u32 v15, v36, 23, 1
; %bb.8577:                             ;   in Loop: Header=BB6_8318 Depth=2
	s_or_b32 exec_lo, exec_lo, s10
	v_lshrrev_b32_e32 v36, 20, v36
	s_delay_alu instid0(VALU_DEP_2) | instskip(SKIP_2) | instid1(VALU_DEP_2)
	v_cmp_gt_i32_e32 vcc_lo, 16, v15
	v_lshrrev_b32_e32 v35, 24, v35
	v_min_i32_e32 v37, 15, v15
	v_dual_cndmask_b32 v36, 7, v36 :: v_dual_and_b32 v35, 0x80, v35
	s_delay_alu instid0(VALU_DEP_2) | instskip(NEXT) | instid1(VALU_DEP_2)
	v_lshlrev_b32_e32 v37, 3, v37
	v_or_b32_e32 v15, v15, v36
	s_delay_alu instid0(VALU_DEP_1) | instskip(SKIP_1) | instid1(VALU_DEP_1)
	v_cmp_ne_u32_e32 vcc_lo, 0, v15
	v_and_b32_e32 v38, 7, v36
	v_or3_b32 v35, v37, v35, v38
	s_delay_alu instid0(VALU_DEP_1)
	v_cndmask_b32_e32 v15, 0, v35, vcc_lo
.LBB6_8578:                             ;   in Loop: Header=BB6_8318 Depth=2
	s_or_b32 exec_lo, exec_lo, s27
.LBB6_8579:                             ;   in Loop: Header=BB6_8318 Depth=2
	s_delay_alu instid0(SALU_CYCLE_1)
	s_or_b32 exec_lo, exec_lo, s26
	v_lshrrev_b16 v36, 8, v16
	v_lshrrev_b16 v35, 8, v12
	s_and_b32 vcc_lo, exec_lo, s25
	s_cbranch_vccz .LBB6_8589
; %bb.8580:                             ;   in Loop: Header=BB6_8318 Depth=2
	s_mov_b32 s10, 0
	s_mov_b32 s27, exec_lo
                                        ; implicit-def: $sgpr26
	v_cmpx_lt_i16_e32 0x7f, v36
	s_xor_b32 s27, exec_lo, s27
	s_cbranch_execnz .LBB6_8924
; %bb.8581:                             ;   in Loop: Header=BB6_8318 Depth=2
	s_or_saveexec_b32 s27, s27
	v_mov_b32_e32 v37, s26
	s_xor_b32 exec_lo, exec_lo, s27
	s_cbranch_execnz .LBB6_8927
.LBB6_8582:                             ;   in Loop: Header=BB6_8318 Depth=2
	s_or_b32 exec_lo, exec_lo, s27
	s_and_saveexec_b32 s26, s10
	s_cbranch_execz .LBB6_8584
.LBB6_8583:                             ;   in Loop: Header=BB6_8318 Depth=2
	v_and_b32_e32 v37, 0xffff, v36
	v_lshlrev_b32_e32 v49, 16, v16
	s_delay_alu instid0(VALU_DEP_2) | instskip(NEXT) | instid1(VALU_DEP_1)
	v_and_b32_e32 v38, 7, v37
	v_clz_i32_u32_e32 v39, v38
	s_delay_alu instid0(VALU_DEP_1) | instskip(NEXT) | instid1(VALU_DEP_1)
	v_min_u32_e32 v39, 32, v39
	v_subrev_nc_u32_e32 v48, 28, v39
	v_sub_nc_u32_e32 v39, 29, v39
	s_delay_alu instid0(VALU_DEP_2) | instskip(SKIP_1) | instid1(VALU_DEP_2)
	v_lshlrev_b32_e32 v48, v48, v37
	v_bfe_u32 v37, v37, 3, 4
	v_and_b32_e32 v48, 7, v48
	s_delay_alu instid0(VALU_DEP_2) | instskip(NEXT) | instid1(VALU_DEP_2)
	v_cmp_eq_u32_e32 vcc_lo, 0, v37
	v_dual_cndmask_b32 v37, v37, v39 :: v_dual_cndmask_b32 v38, v38, v48
	v_and_b32_e32 v39, 0x80000000, v49
	s_delay_alu instid0(VALU_DEP_2) | instskip(NEXT) | instid1(VALU_DEP_3)
	v_lshl_add_u32 v37, v37, 23, 0x3b800000
	v_lshlrev_b32_e32 v38, 20, v38
	s_delay_alu instid0(VALU_DEP_1)
	v_or3_b32 v37, v39, v37, v38
.LBB6_8584:                             ;   in Loop: Header=BB6_8318 Depth=2
	s_or_b32 exec_lo, exec_lo, s26
	s_mov_b32 s10, 0
	s_mov_b32 s27, exec_lo
                                        ; implicit-def: $sgpr26
	v_cmpx_lt_i16_e32 0x7f, v35
	s_xor_b32 s27, exec_lo, s27
	s_cbranch_execnz .LBB6_8928
; %bb.8585:                             ;   in Loop: Header=BB6_8318 Depth=2
	s_or_saveexec_b32 s27, s27
	v_mov_b32_e32 v38, s26
	s_xor_b32 exec_lo, exec_lo, s27
	s_cbranch_execnz .LBB6_8931
.LBB6_8586:                             ;   in Loop: Header=BB6_8318 Depth=2
	s_or_b32 exec_lo, exec_lo, s27
	s_and_saveexec_b32 s26, s10
	s_cbranch_execz .LBB6_8588
.LBB6_8587:                             ;   in Loop: Header=BB6_8318 Depth=2
	v_and_b32_e32 v38, 0xffff, v35
	v_lshlrev_b32_e32 v50, 16, v12
	s_delay_alu instid0(VALU_DEP_2) | instskip(NEXT) | instid1(VALU_DEP_1)
	v_and_b32_e32 v39, 7, v38
	v_clz_i32_u32_e32 v48, v39
	s_delay_alu instid0(VALU_DEP_1) | instskip(NEXT) | instid1(VALU_DEP_1)
	v_min_u32_e32 v48, 32, v48
	v_subrev_nc_u32_e32 v49, 28, v48
	v_sub_nc_u32_e32 v48, 29, v48
	s_delay_alu instid0(VALU_DEP_2) | instskip(SKIP_1) | instid1(VALU_DEP_2)
	v_lshlrev_b32_e32 v49, v49, v38
	v_bfe_u32 v38, v38, 3, 4
	v_and_b32_e32 v49, 7, v49
	s_delay_alu instid0(VALU_DEP_2) | instskip(NEXT) | instid1(VALU_DEP_2)
	v_cmp_eq_u32_e32 vcc_lo, 0, v38
	v_dual_cndmask_b32 v38, v38, v48 :: v_dual_cndmask_b32 v39, v39, v49
	v_and_b32_e32 v48, 0x80000000, v50
	s_delay_alu instid0(VALU_DEP_2) | instskip(NEXT) | instid1(VALU_DEP_3)
	v_lshl_add_u32 v38, v38, 23, 0x3b800000
	v_lshlrev_b32_e32 v39, 20, v39
	s_delay_alu instid0(VALU_DEP_1)
	v_or3_b32 v38, v48, v38, v39
.LBB6_8588:                             ;   in Loop: Header=BB6_8318 Depth=2
	s_or_b32 exec_lo, exec_lo, s26
	s_delay_alu instid0(VALU_DEP_1) | instskip(SKIP_1) | instid1(VALU_DEP_1)
	v_dual_max_f32 v38, v38, v38 :: v_dual_max_f32 v37, v37, v37
	s_mov_b32 s10, 0
	v_max_f32_e32 v37, v37, v38
	s_branch .LBB6_8590
.LBB6_8589:                             ;   in Loop: Header=BB6_8318 Depth=2
	s_mov_b32 s10, -1
                                        ; implicit-def: $vgpr37
.LBB6_8590:                             ;   in Loop: Header=BB6_8318 Depth=2
	s_delay_alu instid0(SALU_CYCLE_1)
	s_and_b32 vcc_lo, exec_lo, s10
	s_cbranch_vccz .LBB6_8600
; %bb.8591:                             ;   in Loop: Header=BB6_8318 Depth=2
	s_mov_b32 s10, 0
	s_mov_b32 s27, exec_lo
                                        ; implicit-def: $sgpr26
	v_cmpx_lt_i16_e32 0x7f, v36
	s_xor_b32 s27, exec_lo, s27
	s_cbranch_execnz .LBB6_8932
; %bb.8592:                             ;   in Loop: Header=BB6_8318 Depth=2
	s_or_saveexec_b32 s27, s27
	v_mov_b32_e32 v37, s26
	s_xor_b32 exec_lo, exec_lo, s27
	s_cbranch_execnz .LBB6_8935
.LBB6_8593:                             ;   in Loop: Header=BB6_8318 Depth=2
	s_or_b32 exec_lo, exec_lo, s27
	s_and_saveexec_b32 s26, s10
	s_cbranch_execz .LBB6_8595
.LBB6_8594:                             ;   in Loop: Header=BB6_8318 Depth=2
	v_and_b32_e32 v36, 0xffff, v36
	v_lshlrev_b32_e32 v48, 16, v16
	s_delay_alu instid0(VALU_DEP_2) | instskip(NEXT) | instid1(VALU_DEP_1)
	v_and_b32_e32 v37, 7, v36
	v_clz_i32_u32_e32 v38, v37
	s_delay_alu instid0(VALU_DEP_1) | instskip(NEXT) | instid1(VALU_DEP_1)
	v_min_u32_e32 v38, 32, v38
	v_subrev_nc_u32_e32 v39, 28, v38
	v_sub_nc_u32_e32 v38, 29, v38
	s_delay_alu instid0(VALU_DEP_2) | instskip(SKIP_1) | instid1(VALU_DEP_2)
	v_lshlrev_b32_e32 v39, v39, v36
	v_bfe_u32 v36, v36, 3, 4
	v_and_b32_e32 v39, 7, v39
	s_delay_alu instid0(VALU_DEP_2) | instskip(NEXT) | instid1(VALU_DEP_2)
	v_cmp_eq_u32_e32 vcc_lo, 0, v36
	v_dual_cndmask_b32 v36, v36, v38 :: v_dual_cndmask_b32 v37, v37, v39
	v_and_b32_e32 v38, 0x80000000, v48
	s_delay_alu instid0(VALU_DEP_2) | instskip(NEXT) | instid1(VALU_DEP_3)
	v_lshl_add_u32 v36, v36, 23, 0x3b800000
	v_lshlrev_b32_e32 v37, 20, v37
	s_delay_alu instid0(VALU_DEP_1)
	v_or3_b32 v37, v38, v36, v37
.LBB6_8595:                             ;   in Loop: Header=BB6_8318 Depth=2
	s_or_b32 exec_lo, exec_lo, s26
	s_mov_b32 s10, 0
	s_mov_b32 s27, exec_lo
                                        ; implicit-def: $sgpr26
	v_cmpx_lt_i16_e32 0x7f, v35
	s_xor_b32 s27, exec_lo, s27
	s_cbranch_execnz .LBB6_8936
; %bb.8596:                             ;   in Loop: Header=BB6_8318 Depth=2
	s_or_saveexec_b32 s27, s27
	v_mov_b32_e32 v36, s26
	s_xor_b32 exec_lo, exec_lo, s27
	s_cbranch_execnz .LBB6_8939
.LBB6_8597:                             ;   in Loop: Header=BB6_8318 Depth=2
	s_or_b32 exec_lo, exec_lo, s27
	s_and_saveexec_b32 s26, s10
	s_cbranch_execz .LBB6_8599
.LBB6_8598:                             ;   in Loop: Header=BB6_8318 Depth=2
	v_and_b32_e32 v35, 0xffff, v35
	v_lshlrev_b32_e32 v48, 16, v12
	s_delay_alu instid0(VALU_DEP_2) | instskip(NEXT) | instid1(VALU_DEP_1)
	v_and_b32_e32 v36, 7, v35
	v_clz_i32_u32_e32 v38, v36
	s_delay_alu instid0(VALU_DEP_1) | instskip(NEXT) | instid1(VALU_DEP_1)
	v_min_u32_e32 v38, 32, v38
	v_subrev_nc_u32_e32 v39, 28, v38
	v_sub_nc_u32_e32 v38, 29, v38
	s_delay_alu instid0(VALU_DEP_2) | instskip(SKIP_1) | instid1(VALU_DEP_2)
	v_lshlrev_b32_e32 v39, v39, v35
	v_bfe_u32 v35, v35, 3, 4
	v_and_b32_e32 v39, 7, v39
	s_delay_alu instid0(VALU_DEP_2) | instskip(NEXT) | instid1(VALU_DEP_2)
	v_cmp_eq_u32_e32 vcc_lo, 0, v35
	v_dual_cndmask_b32 v35, v35, v38 :: v_dual_cndmask_b32 v36, v36, v39
	v_and_b32_e32 v38, 0x80000000, v48
	s_delay_alu instid0(VALU_DEP_2) | instskip(NEXT) | instid1(VALU_DEP_3)
	v_lshl_add_u32 v35, v35, 23, 0x3b800000
	v_lshlrev_b32_e32 v36, 20, v36
	s_delay_alu instid0(VALU_DEP_1)
	v_or3_b32 v36, v38, v35, v36
.LBB6_8599:                             ;   in Loop: Header=BB6_8318 Depth=2
	s_or_b32 exec_lo, exec_lo, s26
	s_delay_alu instid0(VALU_DEP_1) | instskip(NEXT) | instid1(VALU_DEP_1)
	v_dual_max_f32 v35, v36, v36 :: v_dual_max_f32 v36, v37, v37
	v_min_f32_e32 v37, v36, v35
.LBB6_8600:                             ;   in Loop: Header=BB6_8318 Depth=2
	s_delay_alu instid0(VALU_DEP_1) | instskip(NEXT) | instid1(VALU_DEP_1)
	v_and_b32_e32 v35, 0x7f800000, v37
	v_cmp_ne_u32_e32 vcc_lo, 0x7f800000, v35
	v_mov_b32_e32 v35, 0x80
	s_and_saveexec_b32 s26, vcc_lo
	s_cbranch_execz .LBB6_8608
; %bb.8601:                             ;   in Loop: Header=BB6_8318 Depth=2
	v_mov_b32_e32 v35, 0
	s_mov_b32 s27, exec_lo
	v_cmpx_ne_u32_e32 0, v37
	s_cbranch_execz .LBB6_8607
; %bb.8602:                             ;   in Loop: Header=BB6_8318 Depth=2
	v_bfe_u32 v35, v37, 23, 8
	v_and_b32_e32 v36, 0x7fffff, v37
	s_delay_alu instid0(VALU_DEP_2) | instskip(SKIP_1) | instid1(VALU_DEP_3)
	v_sub_nc_u32_e32 v38, 0x78, v35
	v_cmp_gt_u32_e32 vcc_lo, 0x79, v35
	v_or_b32_e32 v39, 0x800000, v36
	s_delay_alu instid0(VALU_DEP_3) | instskip(SKIP_2) | instid1(VALU_DEP_3)
	v_cndmask_b32_e32 v38, 0, v38, vcc_lo
	v_cmp_eq_u32_e32 vcc_lo, 0, v35
	v_add_nc_u32_e32 v35, 0xffffff89, v35
	v_cndmask_b32_e64 v38, v38, 0x77, vcc_lo
	v_cndmask_b32_e32 v36, v39, v36, vcc_lo
	s_delay_alu instid0(VALU_DEP_3) | instskip(NEXT) | instid1(VALU_DEP_3)
	v_cndmask_b32_e64 v35, v35, 0xffffff8a, vcc_lo
	v_lshl_add_u32 v39, 0x100000, v38, -1
	s_delay_alu instid0(VALU_DEP_3) | instskip(SKIP_1) | instid1(VALU_DEP_4)
	v_lshrrev_b32_e32 v48, v38, v36
	v_lshlrev_b32_e64 v50, v38, 0x80000
	v_add_nc_u32_e32 v38, v38, v35
	s_delay_alu instid0(VALU_DEP_4) | instskip(NEXT) | instid1(VALU_DEP_4)
	v_and_b32_e32 v36, v39, v36
	v_bfe_u32 v49, v48, 20, 1
	s_delay_alu instid0(VALU_DEP_2) | instskip(NEXT) | instid1(VALU_DEP_2)
	v_cmp_eq_u32_e64 s10, v36, v50
	v_add_nc_u32_e32 v39, -1, v49
	s_delay_alu instid0(VALU_DEP_1) | instskip(SKIP_2) | instid1(VALU_DEP_2)
	v_cndmask_b32_e64 v36, 0, v39, s10
	v_lshrrev_b32_e32 v39, 23, v48
	s_mov_b32 s10, exec_lo
	v_add_nc_u32_e32 v36, v36, v48
	s_delay_alu instid0(VALU_DEP_2) | instskip(NEXT) | instid1(VALU_DEP_2)
	v_xor_b32_e32 v39, 1, v39
	v_and_b32_e32 v35, 0xfffff, v36
	s_delay_alu instid0(VALU_DEP_1) | instskip(NEXT) | instid1(VALU_DEP_3)
	v_add_nc_u32_e32 v36, v35, v48
                                        ; implicit-def: $vgpr35
	v_cmpx_ne_u32_e64 v38, v39
	s_xor_b32 s10, exec_lo, s10
; %bb.8603:                             ;   in Loop: Header=BB6_8318 Depth=2
	s_delay_alu instid0(VALU_DEP_2) | instskip(SKIP_2) | instid1(VALU_DEP_2)
	v_cmp_lt_u32_e32 vcc_lo, 0xffffff, v36
	v_sub_nc_u32_e32 v35, v38, v39
	v_cndmask_b32_e64 v38, 0, 1, vcc_lo
	v_add_co_ci_u32_e32 v35, vcc_lo, 0, v35, vcc_lo
	s_delay_alu instid0(VALU_DEP_2)
	v_lshrrev_b32_e32 v36, v38, v36
; %bb.8604:                             ;   in Loop: Header=BB6_8318 Depth=2
	s_and_not1_saveexec_b32 s10, s10
; %bb.8605:                             ;   in Loop: Header=BB6_8318 Depth=2
	s_delay_alu instid0(VALU_DEP_1)
	v_bfe_u32 v35, v36, 23, 1
; %bb.8606:                             ;   in Loop: Header=BB6_8318 Depth=2
	s_or_b32 exec_lo, exec_lo, s10
	v_lshrrev_b32_e32 v36, 20, v36
	s_delay_alu instid0(VALU_DEP_2) | instskip(SKIP_2) | instid1(VALU_DEP_2)
	v_cmp_gt_i32_e32 vcc_lo, 16, v35
	v_lshrrev_b32_e32 v37, 24, v37
	v_min_i32_e32 v38, 15, v35
	v_dual_cndmask_b32 v36, 7, v36 :: v_dual_and_b32 v37, 0x80, v37
	s_delay_alu instid0(VALU_DEP_1) | instskip(SKIP_1) | instid1(VALU_DEP_2)
	v_or_b32_e32 v35, v35, v36
	v_and_b32_e32 v39, 7, v36
	v_cmp_ne_u32_e32 vcc_lo, 0, v35
	v_lshlrev_b32_e32 v38, 3, v38
	s_delay_alu instid0(VALU_DEP_1) | instskip(NEXT) | instid1(VALU_DEP_1)
	v_or3_b32 v36, v38, v37, v39
	v_cndmask_b32_e32 v35, 0, v36, vcc_lo
.LBB6_8607:                             ;   in Loop: Header=BB6_8318 Depth=2
	s_or_b32 exec_lo, exec_lo, s27
.LBB6_8608:                             ;   in Loop: Header=BB6_8318 Depth=2
	s_delay_alu instid0(SALU_CYCLE_1)
	s_or_b32 exec_lo, exec_lo, s26
	v_lshrrev_b32_e32 v37, 16, v16
	v_lshrrev_b32_e32 v36, 16, v12
	s_and_b32 vcc_lo, exec_lo, s25
	s_cbranch_vccz .LBB6_8618
; %bb.8609:                             ;   in Loop: Header=BB6_8318 Depth=2
	s_delay_alu instid0(VALU_DEP_2) | instskip(SKIP_2) | instid1(VALU_DEP_1)
	v_and_b32_e32 v39, 0xff, v37
	s_mov_b32 s10, 0
	s_mov_b32 s27, exec_lo
                                        ; implicit-def: $sgpr26
	v_cmpx_lt_i16_e32 0x7f, v39
	s_xor_b32 s27, exec_lo, s27
	s_cbranch_execnz .LBB6_8940
; %bb.8610:                             ;   in Loop: Header=BB6_8318 Depth=2
	s_or_saveexec_b32 s27, s27
	v_mov_b32_e32 v38, s26
	s_xor_b32 exec_lo, exec_lo, s27
	s_cbranch_execnz .LBB6_8943
.LBB6_8611:                             ;   in Loop: Header=BB6_8318 Depth=2
	s_or_b32 exec_lo, exec_lo, s27
	s_and_saveexec_b32 s26, s10
	s_cbranch_execz .LBB6_8613
.LBB6_8612:                             ;   in Loop: Header=BB6_8318 Depth=2
	v_bfe_u32 v38, v16, 16, 3
	v_bfe_u32 v49, v16, 19, 4
	v_lshlrev_b32_e32 v50, 24, v37
	s_delay_alu instid0(VALU_DEP_3) | instskip(NEXT) | instid1(VALU_DEP_3)
	v_clz_i32_u32_e32 v39, v38
	v_cmp_eq_u32_e32 vcc_lo, 0, v49
	s_delay_alu instid0(VALU_DEP_2) | instskip(NEXT) | instid1(VALU_DEP_1)
	v_min_u32_e32 v39, 32, v39
	v_subrev_nc_u32_e32 v48, 28, v39
	v_sub_nc_u32_e32 v39, 29, v39
	s_delay_alu instid0(VALU_DEP_1) | instskip(NEXT) | instid1(VALU_DEP_1)
	v_dual_cndmask_b32 v39, v49, v39 :: v_dual_lshlrev_b32 v48, v48, v37
	v_and_b32_e32 v48, 7, v48
	s_delay_alu instid0(VALU_DEP_2) | instskip(NEXT) | instid1(VALU_DEP_2)
	v_lshl_add_u32 v39, v39, 23, 0x3b800000
	v_cndmask_b32_e32 v38, v38, v48, vcc_lo
	v_and_b32_e32 v48, 0x80000000, v50
	s_delay_alu instid0(VALU_DEP_2) | instskip(NEXT) | instid1(VALU_DEP_1)
	v_lshlrev_b32_e32 v38, 20, v38
	v_or3_b32 v38, v48, v39, v38
.LBB6_8613:                             ;   in Loop: Header=BB6_8318 Depth=2
	s_or_b32 exec_lo, exec_lo, s26
	v_and_b32_e32 v48, 0xff, v36
	s_mov_b32 s10, 0
	s_mov_b32 s27, exec_lo
                                        ; implicit-def: $sgpr26
	s_delay_alu instid0(VALU_DEP_1)
	v_cmpx_lt_i16_e32 0x7f, v48
	s_xor_b32 s27, exec_lo, s27
	s_cbranch_execnz .LBB6_8944
; %bb.8614:                             ;   in Loop: Header=BB6_8318 Depth=2
	s_or_saveexec_b32 s27, s27
	v_mov_b32_e32 v39, s26
	s_xor_b32 exec_lo, exec_lo, s27
	s_cbranch_execnz .LBB6_8947
.LBB6_8615:                             ;   in Loop: Header=BB6_8318 Depth=2
	s_or_b32 exec_lo, exec_lo, s27
	s_and_saveexec_b32 s26, s10
	s_cbranch_execz .LBB6_8617
.LBB6_8616:                             ;   in Loop: Header=BB6_8318 Depth=2
	v_bfe_u32 v39, v12, 16, 3
	v_bfe_u32 v50, v12, 19, 4
	v_lshlrev_b32_e32 v51, 24, v36
	s_delay_alu instid0(VALU_DEP_3) | instskip(NEXT) | instid1(VALU_DEP_3)
	v_clz_i32_u32_e32 v48, v39
	v_cmp_eq_u32_e32 vcc_lo, 0, v50
	s_delay_alu instid0(VALU_DEP_2) | instskip(NEXT) | instid1(VALU_DEP_1)
	v_min_u32_e32 v48, 32, v48
	v_subrev_nc_u32_e32 v49, 28, v48
	v_sub_nc_u32_e32 v48, 29, v48
	s_delay_alu instid0(VALU_DEP_2) | instskip(NEXT) | instid1(VALU_DEP_1)
	v_lshlrev_b32_e32 v49, v49, v36
	v_dual_cndmask_b32 v48, v50, v48 :: v_dual_and_b32 v49, 7, v49
	s_delay_alu instid0(VALU_DEP_1) | instskip(NEXT) | instid1(VALU_DEP_2)
	v_lshl_add_u32 v48, v48, 23, 0x3b800000
	v_cndmask_b32_e32 v39, v39, v49, vcc_lo
	v_and_b32_e32 v49, 0x80000000, v51
	s_delay_alu instid0(VALU_DEP_2) | instskip(NEXT) | instid1(VALU_DEP_1)
	v_lshlrev_b32_e32 v39, 20, v39
	v_or3_b32 v39, v49, v48, v39
.LBB6_8617:                             ;   in Loop: Header=BB6_8318 Depth=2
	s_or_b32 exec_lo, exec_lo, s26
	s_delay_alu instid0(VALU_DEP_1) | instskip(SKIP_1) | instid1(VALU_DEP_1)
	v_dual_max_f32 v39, v39, v39 :: v_dual_max_f32 v38, v38, v38
	s_mov_b32 s10, 0
	v_max_f32_e32 v38, v38, v39
	s_branch .LBB6_8619
.LBB6_8618:                             ;   in Loop: Header=BB6_8318 Depth=2
	s_mov_b32 s10, -1
                                        ; implicit-def: $vgpr38
.LBB6_8619:                             ;   in Loop: Header=BB6_8318 Depth=2
	s_delay_alu instid0(SALU_CYCLE_1)
	s_and_b32 vcc_lo, exec_lo, s10
	s_cbranch_vccz .LBB6_8629
; %bb.8620:                             ;   in Loop: Header=BB6_8318 Depth=2
	v_and_b32_e32 v39, 0xff, v37
	s_mov_b32 s10, 0
	s_mov_b32 s27, exec_lo
                                        ; implicit-def: $sgpr26
	s_delay_alu instid0(VALU_DEP_1)
	v_cmpx_lt_i16_e32 0x7f, v39
	s_xor_b32 s27, exec_lo, s27
	s_cbranch_execnz .LBB6_8948
; %bb.8621:                             ;   in Loop: Header=BB6_8318 Depth=2
	s_or_saveexec_b32 s27, s27
	v_mov_b32_e32 v38, s26
	s_xor_b32 exec_lo, exec_lo, s27
	s_cbranch_execnz .LBB6_8951
.LBB6_8622:                             ;   in Loop: Header=BB6_8318 Depth=2
	s_or_b32 exec_lo, exec_lo, s27
	s_and_saveexec_b32 s26, s10
	s_cbranch_execz .LBB6_8624
.LBB6_8623:                             ;   in Loop: Header=BB6_8318 Depth=2
	v_bfe_u32 v38, v16, 16, 3
	v_bfe_u32 v49, v16, 19, 4
	s_delay_alu instid0(VALU_DEP_2) | instskip(NEXT) | instid1(VALU_DEP_2)
	v_clz_i32_u32_e32 v39, v38
	v_cmp_eq_u32_e32 vcc_lo, 0, v49
	s_delay_alu instid0(VALU_DEP_2) | instskip(NEXT) | instid1(VALU_DEP_1)
	v_min_u32_e32 v39, 32, v39
	v_subrev_nc_u32_e32 v48, 28, v39
	v_sub_nc_u32_e32 v39, 29, v39
	s_delay_alu instid0(VALU_DEP_1) | instskip(NEXT) | instid1(VALU_DEP_1)
	v_dual_cndmask_b32 v39, v49, v39 :: v_dual_lshlrev_b32 v48, v48, v37
	v_and_b32_e32 v48, 7, v48
	v_lshlrev_b32_e32 v37, 24, v37
	s_delay_alu instid0(VALU_DEP_3) | instskip(NEXT) | instid1(VALU_DEP_2)
	v_lshl_add_u32 v39, v39, 23, 0x3b800000
	v_dual_cndmask_b32 v38, v38, v48 :: v_dual_and_b32 v37, 0x80000000, v37
	s_delay_alu instid0(VALU_DEP_1) | instskip(NEXT) | instid1(VALU_DEP_1)
	v_lshlrev_b32_e32 v38, 20, v38
	v_or3_b32 v38, v37, v39, v38
.LBB6_8624:                             ;   in Loop: Header=BB6_8318 Depth=2
	s_or_b32 exec_lo, exec_lo, s26
	v_and_b32_e32 v39, 0xff, v36
	s_mov_b32 s10, 0
	s_mov_b32 s27, exec_lo
                                        ; implicit-def: $sgpr26
	s_delay_alu instid0(VALU_DEP_1)
	v_cmpx_lt_i16_e32 0x7f, v39
	s_xor_b32 s27, exec_lo, s27
	s_cbranch_execnz .LBB6_8952
; %bb.8625:                             ;   in Loop: Header=BB6_8318 Depth=2
	s_or_saveexec_b32 s27, s27
	v_mov_b32_e32 v37, s26
	s_xor_b32 exec_lo, exec_lo, s27
	s_cbranch_execnz .LBB6_8955
.LBB6_8626:                             ;   in Loop: Header=BB6_8318 Depth=2
	s_or_b32 exec_lo, exec_lo, s27
	s_and_saveexec_b32 s26, s10
	s_cbranch_execz .LBB6_8628
.LBB6_8627:                             ;   in Loop: Header=BB6_8318 Depth=2
	v_bfe_u32 v37, v12, 16, 3
	v_bfe_u32 v49, v12, 19, 4
	s_delay_alu instid0(VALU_DEP_2) | instskip(NEXT) | instid1(VALU_DEP_2)
	v_clz_i32_u32_e32 v39, v37
	v_cmp_eq_u32_e32 vcc_lo, 0, v49
	s_delay_alu instid0(VALU_DEP_2) | instskip(NEXT) | instid1(VALU_DEP_1)
	v_min_u32_e32 v39, 32, v39
	v_subrev_nc_u32_e32 v48, 28, v39
	v_sub_nc_u32_e32 v39, 29, v39
	s_delay_alu instid0(VALU_DEP_1) | instskip(SKIP_1) | instid1(VALU_DEP_2)
	v_dual_cndmask_b32 v39, v49, v39 :: v_dual_lshlrev_b32 v48, v48, v36
	v_lshlrev_b32_e32 v36, 24, v36
	v_and_b32_e32 v48, 7, v48
	s_delay_alu instid0(VALU_DEP_3) | instskip(NEXT) | instid1(VALU_DEP_3)
	v_lshl_add_u32 v39, v39, 23, 0x3b800000
	v_and_b32_e32 v36, 0x80000000, v36
	s_delay_alu instid0(VALU_DEP_3) | instskip(NEXT) | instid1(VALU_DEP_1)
	v_cndmask_b32_e32 v37, v37, v48, vcc_lo
	v_lshlrev_b32_e32 v37, 20, v37
	s_delay_alu instid0(VALU_DEP_1)
	v_or3_b32 v37, v36, v39, v37
.LBB6_8628:                             ;   in Loop: Header=BB6_8318 Depth=2
	s_or_b32 exec_lo, exec_lo, s26
	s_delay_alu instid0(VALU_DEP_1) | instskip(NEXT) | instid1(VALU_DEP_1)
	v_dual_max_f32 v36, v37, v37 :: v_dual_max_f32 v37, v38, v38
	v_min_f32_e32 v38, v37, v36
.LBB6_8629:                             ;   in Loop: Header=BB6_8318 Depth=2
	s_delay_alu instid0(VALU_DEP_1) | instskip(NEXT) | instid1(VALU_DEP_1)
	v_and_b32_e32 v36, 0x7f800000, v38
	v_cmp_ne_u32_e32 vcc_lo, 0x7f800000, v36
	v_mov_b32_e32 v36, 0x80
	s_and_saveexec_b32 s26, vcc_lo
	s_cbranch_execz .LBB6_8637
; %bb.8630:                             ;   in Loop: Header=BB6_8318 Depth=2
	v_mov_b32_e32 v36, 0
	s_mov_b32 s27, exec_lo
	v_cmpx_ne_u32_e32 0, v38
	s_cbranch_execz .LBB6_8636
; %bb.8631:                             ;   in Loop: Header=BB6_8318 Depth=2
	v_bfe_u32 v36, v38, 23, 8
	v_and_b32_e32 v37, 0x7fffff, v38
	s_delay_alu instid0(VALU_DEP_2) | instskip(SKIP_1) | instid1(VALU_DEP_3)
	v_sub_nc_u32_e32 v39, 0x78, v36
	v_cmp_gt_u32_e32 vcc_lo, 0x79, v36
	v_or_b32_e32 v48, 0x800000, v37
	s_delay_alu instid0(VALU_DEP_3) | instskip(SKIP_2) | instid1(VALU_DEP_3)
	v_cndmask_b32_e32 v39, 0, v39, vcc_lo
	v_cmp_eq_u32_e32 vcc_lo, 0, v36
	v_add_nc_u32_e32 v36, 0xffffff89, v36
	v_cndmask_b32_e64 v39, v39, 0x77, vcc_lo
	v_cndmask_b32_e32 v37, v48, v37, vcc_lo
	s_delay_alu instid0(VALU_DEP_3) | instskip(NEXT) | instid1(VALU_DEP_3)
	v_cndmask_b32_e64 v36, v36, 0xffffff8a, vcc_lo
	v_lshl_add_u32 v48, 0x100000, v39, -1
	s_delay_alu instid0(VALU_DEP_3) | instskip(SKIP_1) | instid1(VALU_DEP_4)
	v_lshrrev_b32_e32 v49, v39, v37
	v_lshlrev_b32_e64 v51, v39, 0x80000
	v_add_nc_u32_e32 v39, v39, v36
	s_delay_alu instid0(VALU_DEP_4) | instskip(NEXT) | instid1(VALU_DEP_4)
	v_and_b32_e32 v37, v48, v37
	v_bfe_u32 v50, v49, 20, 1
	s_delay_alu instid0(VALU_DEP_2) | instskip(NEXT) | instid1(VALU_DEP_2)
	v_cmp_eq_u32_e64 s10, v37, v51
	v_add_nc_u32_e32 v48, -1, v50
	s_delay_alu instid0(VALU_DEP_1) | instskip(SKIP_2) | instid1(VALU_DEP_2)
	v_cndmask_b32_e64 v37, 0, v48, s10
	v_lshrrev_b32_e32 v48, 23, v49
	s_mov_b32 s10, exec_lo
	v_add_nc_u32_e32 v37, v37, v49
	s_delay_alu instid0(VALU_DEP_2) | instskip(NEXT) | instid1(VALU_DEP_2)
	v_xor_b32_e32 v48, 1, v48
	v_and_b32_e32 v36, 0xfffff, v37
	s_delay_alu instid0(VALU_DEP_1) | instskip(NEXT) | instid1(VALU_DEP_3)
	v_add_nc_u32_e32 v37, v36, v49
                                        ; implicit-def: $vgpr36
	v_cmpx_ne_u32_e64 v39, v48
	s_xor_b32 s10, exec_lo, s10
; %bb.8632:                             ;   in Loop: Header=BB6_8318 Depth=2
	s_delay_alu instid0(VALU_DEP_2) | instskip(SKIP_2) | instid1(VALU_DEP_2)
	v_cmp_lt_u32_e32 vcc_lo, 0xffffff, v37
	v_sub_nc_u32_e32 v36, v39, v48
	v_cndmask_b32_e64 v39, 0, 1, vcc_lo
	v_add_co_ci_u32_e32 v36, vcc_lo, 0, v36, vcc_lo
	s_delay_alu instid0(VALU_DEP_2)
	v_lshrrev_b32_e32 v37, v39, v37
; %bb.8633:                             ;   in Loop: Header=BB6_8318 Depth=2
	s_and_not1_saveexec_b32 s10, s10
; %bb.8634:                             ;   in Loop: Header=BB6_8318 Depth=2
	s_delay_alu instid0(VALU_DEP_1)
	v_bfe_u32 v36, v37, 23, 1
; %bb.8635:                             ;   in Loop: Header=BB6_8318 Depth=2
	s_or_b32 exec_lo, exec_lo, s10
	v_lshrrev_b32_e32 v37, 20, v37
	s_delay_alu instid0(VALU_DEP_2) | instskip(SKIP_2) | instid1(VALU_DEP_2)
	v_cmp_gt_i32_e32 vcc_lo, 16, v36
	v_lshrrev_b32_e32 v38, 24, v38
	v_min_i32_e32 v39, 15, v36
	v_dual_cndmask_b32 v37, 7, v37 :: v_dual_and_b32 v38, 0x80, v38
	s_delay_alu instid0(VALU_DEP_1) | instskip(SKIP_1) | instid1(VALU_DEP_2)
	v_or_b32_e32 v36, v36, v37
	v_and_b32_e32 v48, 7, v37
	v_cmp_ne_u32_e32 vcc_lo, 0, v36
	v_lshlrev_b32_e32 v39, 3, v39
	s_delay_alu instid0(VALU_DEP_1) | instskip(NEXT) | instid1(VALU_DEP_1)
	v_or3_b32 v37, v39, v38, v48
	v_cndmask_b32_e32 v36, 0, v37, vcc_lo
.LBB6_8636:                             ;   in Loop: Header=BB6_8318 Depth=2
	s_or_b32 exec_lo, exec_lo, s27
.LBB6_8637:                             ;   in Loop: Header=BB6_8318 Depth=2
	s_delay_alu instid0(SALU_CYCLE_1)
	s_or_b32 exec_lo, exec_lo, s26
	v_lshrrev_b32_e32 v38, 24, v16
	v_lshrrev_b32_e32 v37, 24, v12
	s_and_b32 vcc_lo, exec_lo, s25
	s_cbranch_vccz .LBB6_8647
; %bb.8638:                             ;   in Loop: Header=BB6_8318 Depth=2
	s_mov_b32 s10, 0
	s_mov_b32 s27, exec_lo
                                        ; implicit-def: $sgpr26
	v_cmpx_lt_i16_e32 0x7f, v38
	s_xor_b32 s27, exec_lo, s27
	s_cbranch_execnz .LBB6_8956
; %bb.8639:                             ;   in Loop: Header=BB6_8318 Depth=2
	s_or_saveexec_b32 s27, s27
	v_mov_b32_e32 v39, s26
	s_xor_b32 exec_lo, exec_lo, s27
	s_cbranch_execnz .LBB6_8959
.LBB6_8640:                             ;   in Loop: Header=BB6_8318 Depth=2
	s_or_b32 exec_lo, exec_lo, s27
	s_and_saveexec_b32 s26, s10
	s_cbranch_execz .LBB6_8642
.LBB6_8641:                             ;   in Loop: Header=BB6_8318 Depth=2
	v_bfe_u32 v39, v16, 24, 3
	v_bfe_u32 v50, v16, 27, 4
	s_delay_alu instid0(VALU_DEP_2) | instskip(NEXT) | instid1(VALU_DEP_2)
	v_clz_i32_u32_e32 v48, v39
	v_cmp_eq_u32_e32 vcc_lo, 0, v50
	s_delay_alu instid0(VALU_DEP_2) | instskip(NEXT) | instid1(VALU_DEP_1)
	v_min_u32_e32 v48, 32, v48
	v_subrev_nc_u32_e32 v49, 28, v48
	v_sub_nc_u32_e32 v48, 29, v48
	s_delay_alu instid0(VALU_DEP_1) | instskip(NEXT) | instid1(VALU_DEP_1)
	v_dual_cndmask_b32 v48, v50, v48 :: v_dual_lshlrev_b32 v49, v49, v38
	v_and_b32_e32 v49, 7, v49
	s_delay_alu instid0(VALU_DEP_2) | instskip(NEXT) | instid1(VALU_DEP_2)
	v_lshl_add_u32 v48, v48, 23, 0x3b800000
	v_cndmask_b32_e32 v39, v39, v49, vcc_lo
	v_and_b32_e32 v49, 0x80000000, v16
	s_delay_alu instid0(VALU_DEP_2) | instskip(NEXT) | instid1(VALU_DEP_1)
	v_lshlrev_b32_e32 v39, 20, v39
	v_or3_b32 v39, v49, v48, v39
.LBB6_8642:                             ;   in Loop: Header=BB6_8318 Depth=2
	s_or_b32 exec_lo, exec_lo, s26
	s_mov_b32 s10, 0
	s_mov_b32 s27, exec_lo
                                        ; implicit-def: $sgpr26
	v_cmpx_lt_i16_e32 0x7f, v37
	s_xor_b32 s27, exec_lo, s27
	s_cbranch_execnz .LBB6_8960
; %bb.8643:                             ;   in Loop: Header=BB6_8318 Depth=2
	s_or_saveexec_b32 s27, s27
	v_mov_b32_e32 v48, s26
	s_xor_b32 exec_lo, exec_lo, s27
	s_cbranch_execnz .LBB6_8963
.LBB6_8644:                             ;   in Loop: Header=BB6_8318 Depth=2
	s_or_b32 exec_lo, exec_lo, s27
	s_and_saveexec_b32 s26, s10
	s_cbranch_execz .LBB6_8646
.LBB6_8645:                             ;   in Loop: Header=BB6_8318 Depth=2
	v_bfe_u32 v48, v12, 24, 3
	v_bfe_u32 v51, v12, 27, 4
	s_delay_alu instid0(VALU_DEP_2) | instskip(NEXT) | instid1(VALU_DEP_2)
	v_clz_i32_u32_e32 v49, v48
	v_cmp_eq_u32_e32 vcc_lo, 0, v51
	s_delay_alu instid0(VALU_DEP_2) | instskip(NEXT) | instid1(VALU_DEP_1)
	v_min_u32_e32 v49, 32, v49
	v_subrev_nc_u32_e32 v50, 28, v49
	v_sub_nc_u32_e32 v49, 29, v49
	s_delay_alu instid0(VALU_DEP_2) | instskip(NEXT) | instid1(VALU_DEP_1)
	v_lshlrev_b32_e32 v50, v50, v37
	v_dual_cndmask_b32 v49, v51, v49 :: v_dual_and_b32 v50, 7, v50
	s_delay_alu instid0(VALU_DEP_1) | instskip(NEXT) | instid1(VALU_DEP_2)
	v_lshl_add_u32 v49, v49, 23, 0x3b800000
	v_cndmask_b32_e32 v48, v48, v50, vcc_lo
	v_and_b32_e32 v50, 0x80000000, v12
	s_delay_alu instid0(VALU_DEP_2) | instskip(NEXT) | instid1(VALU_DEP_1)
	v_lshlrev_b32_e32 v48, 20, v48
	v_or3_b32 v48, v50, v49, v48
.LBB6_8646:                             ;   in Loop: Header=BB6_8318 Depth=2
	s_or_b32 exec_lo, exec_lo, s26
	s_delay_alu instid0(VALU_DEP_1) | instskip(SKIP_1) | instid1(VALU_DEP_1)
	v_dual_max_f32 v48, v48, v48 :: v_dual_max_f32 v39, v39, v39
	s_mov_b32 s10, 0
	v_max_f32_e32 v39, v39, v48
	s_branch .LBB6_8648
.LBB6_8647:                             ;   in Loop: Header=BB6_8318 Depth=2
	s_mov_b32 s10, -1
                                        ; implicit-def: $vgpr39
.LBB6_8648:                             ;   in Loop: Header=BB6_8318 Depth=2
	s_delay_alu instid0(SALU_CYCLE_1)
	s_and_b32 vcc_lo, exec_lo, s10
	s_cbranch_vccz .LBB6_8658
; %bb.8649:                             ;   in Loop: Header=BB6_8318 Depth=2
	s_mov_b32 s10, 0
	s_mov_b32 s27, exec_lo
                                        ; implicit-def: $sgpr26
	v_cmpx_lt_i16_e32 0x7f, v38
	s_xor_b32 s27, exec_lo, s27
	s_cbranch_execnz .LBB6_8964
; %bb.8650:                             ;   in Loop: Header=BB6_8318 Depth=2
	s_or_saveexec_b32 s27, s27
	v_mov_b32_e32 v39, s26
	s_xor_b32 exec_lo, exec_lo, s27
	s_cbranch_execnz .LBB6_8967
.LBB6_8651:                             ;   in Loop: Header=BB6_8318 Depth=2
	s_or_b32 exec_lo, exec_lo, s27
	s_and_saveexec_b32 s26, s10
	s_cbranch_execz .LBB6_8653
.LBB6_8652:                             ;   in Loop: Header=BB6_8318 Depth=2
	v_bfe_u32 v39, v16, 24, 3
	s_delay_alu instid0(VALU_DEP_1) | instskip(NEXT) | instid1(VALU_DEP_1)
	v_clz_i32_u32_e32 v48, v39
	v_min_u32_e32 v48, 32, v48
	s_delay_alu instid0(VALU_DEP_1) | instskip(SKIP_1) | instid1(VALU_DEP_2)
	v_subrev_nc_u32_e32 v49, 28, v48
	v_sub_nc_u32_e32 v48, 29, v48
	v_lshlrev_b32_e32 v38, v49, v38
	v_bfe_u32 v49, v16, 27, 4
	v_and_b32_e32 v16, 0x80000000, v16
	s_delay_alu instid0(VALU_DEP_3) | instskip(NEXT) | instid1(VALU_DEP_3)
	v_and_b32_e32 v38, 7, v38
	v_cmp_eq_u32_e32 vcc_lo, 0, v49
	v_cndmask_b32_e32 v48, v49, v48, vcc_lo
	s_delay_alu instid0(VALU_DEP_3) | instskip(NEXT) | instid1(VALU_DEP_2)
	v_cndmask_b32_e32 v38, v39, v38, vcc_lo
	v_lshl_add_u32 v39, v48, 23, 0x3b800000
	s_delay_alu instid0(VALU_DEP_2) | instskip(NEXT) | instid1(VALU_DEP_1)
	v_lshlrev_b32_e32 v38, 20, v38
	v_or3_b32 v39, v16, v39, v38
.LBB6_8653:                             ;   in Loop: Header=BB6_8318 Depth=2
	s_or_b32 exec_lo, exec_lo, s26
	s_mov_b32 s10, 0
	s_mov_b32 s27, exec_lo
                                        ; implicit-def: $sgpr26
	v_cmpx_lt_i16_e32 0x7f, v37
	s_xor_b32 s27, exec_lo, s27
	s_cbranch_execnz .LBB6_8968
; %bb.8654:                             ;   in Loop: Header=BB6_8318 Depth=2
	s_or_saveexec_b32 s27, s27
	v_mov_b32_e32 v16, s26
	s_xor_b32 exec_lo, exec_lo, s27
	s_cbranch_execnz .LBB6_8971
.LBB6_8655:                             ;   in Loop: Header=BB6_8318 Depth=2
	s_or_b32 exec_lo, exec_lo, s27
	s_and_saveexec_b32 s26, s10
	s_cbranch_execz .LBB6_8657
.LBB6_8656:                             ;   in Loop: Header=BB6_8318 Depth=2
	v_bfe_u32 v16, v12, 24, 3
	s_delay_alu instid0(VALU_DEP_1) | instskip(NEXT) | instid1(VALU_DEP_1)
	v_clz_i32_u32_e32 v38, v16
	v_min_u32_e32 v38, 32, v38
	s_delay_alu instid0(VALU_DEP_1) | instskip(SKIP_1) | instid1(VALU_DEP_2)
	v_subrev_nc_u32_e32 v48, 28, v38
	v_sub_nc_u32_e32 v38, 29, v38
	v_lshlrev_b32_e32 v37, v48, v37
	v_bfe_u32 v48, v12, 27, 4
	v_and_b32_e32 v12, 0x80000000, v12
	s_delay_alu instid0(VALU_DEP_2) | instskip(NEXT) | instid1(VALU_DEP_4)
	v_cmp_eq_u32_e32 vcc_lo, 0, v48
	v_dual_cndmask_b32 v38, v48, v38 :: v_dual_and_b32 v37, 7, v37
	s_delay_alu instid0(VALU_DEP_1) | instskip(NEXT) | instid1(VALU_DEP_2)
	v_cndmask_b32_e32 v16, v16, v37, vcc_lo
	v_lshl_add_u32 v37, v38, 23, 0x3b800000
	s_delay_alu instid0(VALU_DEP_2) | instskip(NEXT) | instid1(VALU_DEP_1)
	v_lshlrev_b32_e32 v16, 20, v16
	v_or3_b32 v16, v12, v37, v16
.LBB6_8657:                             ;   in Loop: Header=BB6_8318 Depth=2
	s_or_b32 exec_lo, exec_lo, s26
	s_delay_alu instid0(VALU_DEP_1) | instskip(SKIP_1) | instid1(VALU_DEP_1)
	v_max_f32_e32 v12, v16, v16
	v_max_f32_e32 v16, v39, v39
	v_min_f32_e32 v39, v16, v12
.LBB6_8658:                             ;   in Loop: Header=BB6_8318 Depth=2
	s_delay_alu instid0(VALU_DEP_1) | instskip(NEXT) | instid1(VALU_DEP_1)
	v_and_b32_e32 v12, 0x7f800000, v39
	v_cmp_ne_u32_e32 vcc_lo, 0x7f800000, v12
	v_mov_b32_e32 v12, 0x80
	s_and_saveexec_b32 s26, vcc_lo
	s_cbranch_execz .LBB6_8666
; %bb.8659:                             ;   in Loop: Header=BB6_8318 Depth=2
	v_mov_b32_e32 v12, 0
	s_mov_b32 s27, exec_lo
	v_cmpx_ne_u32_e32 0, v39
	s_cbranch_execz .LBB6_8665
; %bb.8660:                             ;   in Loop: Header=BB6_8318 Depth=2
	v_bfe_u32 v12, v39, 23, 8
	s_delay_alu instid0(VALU_DEP_1) | instskip(SKIP_1) | instid1(VALU_DEP_2)
	v_sub_nc_u32_e32 v37, 0x78, v12
	v_cmp_gt_u32_e32 vcc_lo, 0x79, v12
	v_dual_cndmask_b32 v37, 0, v37 :: v_dual_and_b32 v16, 0x7fffff, v39
	s_delay_alu instid0(VALU_DEP_1) | instskip(SKIP_2) | instid1(VALU_DEP_4)
	v_or_b32_e32 v38, 0x800000, v16
	v_cmp_eq_u32_e32 vcc_lo, 0, v12
	v_add_nc_u32_e32 v12, 0xffffff89, v12
	v_cndmask_b32_e64 v37, v37, 0x77, vcc_lo
	s_delay_alu instid0(VALU_DEP_4) | instskip(NEXT) | instid1(VALU_DEP_3)
	v_cndmask_b32_e32 v16, v38, v16, vcc_lo
	v_cndmask_b32_e64 v12, v12, 0xffffff8a, vcc_lo
	s_delay_alu instid0(VALU_DEP_3) | instskip(NEXT) | instid1(VALU_DEP_3)
	v_lshl_add_u32 v38, 0x100000, v37, -1
	v_lshrrev_b32_e32 v48, v37, v16
	v_lshlrev_b32_e64 v50, v37, 0x80000
	s_delay_alu instid0(VALU_DEP_4) | instskip(NEXT) | instid1(VALU_DEP_4)
	v_add_nc_u32_e32 v37, v37, v12
	v_and_b32_e32 v16, v38, v16
	s_delay_alu instid0(VALU_DEP_4) | instskip(NEXT) | instid1(VALU_DEP_2)
	v_bfe_u32 v49, v48, 20, 1
	v_cmp_eq_u32_e64 s10, v16, v50
	s_delay_alu instid0(VALU_DEP_2) | instskip(NEXT) | instid1(VALU_DEP_1)
	v_add_nc_u32_e32 v38, -1, v49
	v_cndmask_b32_e64 v16, 0, v38, s10
	v_lshrrev_b32_e32 v38, 23, v48
	s_mov_b32 s10, exec_lo
	s_delay_alu instid0(VALU_DEP_2) | instskip(NEXT) | instid1(VALU_DEP_2)
	v_add_nc_u32_e32 v16, v16, v48
	v_xor_b32_e32 v38, 1, v38
	s_delay_alu instid0(VALU_DEP_2) | instskip(NEXT) | instid1(VALU_DEP_1)
	v_and_b32_e32 v12, 0xfffff, v16
	v_add_nc_u32_e32 v16, v12, v48
                                        ; implicit-def: $vgpr12
	s_delay_alu instid0(VALU_DEP_3)
	v_cmpx_ne_u32_e64 v37, v38
	s_xor_b32 s10, exec_lo, s10
; %bb.8661:                             ;   in Loop: Header=BB6_8318 Depth=2
	s_delay_alu instid0(VALU_DEP_2) | instskip(SKIP_2) | instid1(VALU_DEP_2)
	v_cmp_lt_u32_e32 vcc_lo, 0xffffff, v16
	v_sub_nc_u32_e32 v12, v37, v38
	v_cndmask_b32_e64 v37, 0, 1, vcc_lo
	v_add_co_ci_u32_e32 v12, vcc_lo, 0, v12, vcc_lo
	s_delay_alu instid0(VALU_DEP_2)
	v_lshrrev_b32_e32 v16, v37, v16
; %bb.8662:                             ;   in Loop: Header=BB6_8318 Depth=2
	s_and_not1_saveexec_b32 s10, s10
; %bb.8663:                             ;   in Loop: Header=BB6_8318 Depth=2
	s_delay_alu instid0(VALU_DEP_1)
	v_bfe_u32 v12, v16, 23, 1
; %bb.8664:                             ;   in Loop: Header=BB6_8318 Depth=2
	s_or_b32 exec_lo, exec_lo, s10
	v_lshrrev_b32_e32 v16, 20, v16
	s_delay_alu instid0(VALU_DEP_2) | instskip(SKIP_2) | instid1(VALU_DEP_2)
	v_cmp_gt_i32_e32 vcc_lo, 16, v12
	v_lshrrev_b32_e32 v37, 24, v39
	v_min_i32_e32 v38, 15, v12
	v_dual_cndmask_b32 v16, 7, v16 :: v_dual_and_b32 v37, 0x80, v37
	s_delay_alu instid0(VALU_DEP_2) | instskip(NEXT) | instid1(VALU_DEP_2)
	v_lshlrev_b32_e32 v38, 3, v38
	v_and_b32_e32 v39, 7, v16
	v_or_b32_e32 v12, v12, v16
	s_delay_alu instid0(VALU_DEP_2) | instskip(NEXT) | instid1(VALU_DEP_2)
	v_or3_b32 v16, v38, v37, v39
	v_cmp_ne_u32_e32 vcc_lo, 0, v12
	s_delay_alu instid0(VALU_DEP_2)
	v_cndmask_b32_e32 v12, 0, v16, vcc_lo
.LBB6_8665:                             ;   in Loop: Header=BB6_8318 Depth=2
	s_or_b32 exec_lo, exec_lo, s27
.LBB6_8666:                             ;   in Loop: Header=BB6_8318 Depth=2
	s_delay_alu instid0(SALU_CYCLE_1) | instskip(NEXT) | instid1(SALU_CYCLE_1)
	s_or_b32 exec_lo, exec_lo, s26
	s_and_b32 vcc_lo, exec_lo, s25
	s_cbranch_vccz .LBB6_8676
; %bb.8667:                             ;   in Loop: Header=BB6_8318 Depth=2
	v_and_b32_e32 v37, 0xff, v17
	s_mov_b32 s10, 0
	s_mov_b32 s27, exec_lo
                                        ; implicit-def: $sgpr26
	s_delay_alu instid0(VALU_DEP_1)
	v_cmpx_lt_i16_e32 0x7f, v37
	s_xor_b32 s27, exec_lo, s27
	s_cbranch_execnz .LBB6_8972
; %bb.8668:                             ;   in Loop: Header=BB6_8318 Depth=2
	s_or_saveexec_b32 s27, s27
	v_mov_b32_e32 v16, s26
	s_xor_b32 exec_lo, exec_lo, s27
	s_cbranch_execnz .LBB6_8975
.LBB6_8669:                             ;   in Loop: Header=BB6_8318 Depth=2
	s_or_b32 exec_lo, exec_lo, s27
	s_and_saveexec_b32 s26, s10
	s_cbranch_execz .LBB6_8671
.LBB6_8670:                             ;   in Loop: Header=BB6_8318 Depth=2
	v_and_b32_e32 v16, 7, v17
	v_bfe_u32 v39, v17, 3, 4
	v_lshlrev_b32_e32 v48, 24, v17
	s_delay_alu instid0(VALU_DEP_3) | instskip(NEXT) | instid1(VALU_DEP_3)
	v_clz_i32_u32_e32 v37, v16
	v_cmp_eq_u32_e32 vcc_lo, 0, v39
	s_delay_alu instid0(VALU_DEP_2) | instskip(NEXT) | instid1(VALU_DEP_1)
	v_min_u32_e32 v37, 32, v37
	v_subrev_nc_u32_e32 v38, 28, v37
	v_sub_nc_u32_e32 v37, 29, v37
	s_delay_alu instid0(VALU_DEP_2) | instskip(NEXT) | instid1(VALU_DEP_1)
	v_lshlrev_b32_e32 v38, v38, v17
	v_dual_cndmask_b32 v37, v39, v37 :: v_dual_and_b32 v38, 7, v38
	s_delay_alu instid0(VALU_DEP_1) | instskip(NEXT) | instid1(VALU_DEP_2)
	v_lshl_add_u32 v37, v37, 23, 0x3b800000
	v_cndmask_b32_e32 v16, v16, v38, vcc_lo
	v_and_b32_e32 v38, 0x80000000, v48
	s_delay_alu instid0(VALU_DEP_2) | instskip(NEXT) | instid1(VALU_DEP_1)
	v_lshlrev_b32_e32 v16, 20, v16
	v_or3_b32 v16, v38, v37, v16
.LBB6_8671:                             ;   in Loop: Header=BB6_8318 Depth=2
	s_or_b32 exec_lo, exec_lo, s26
	v_and_b32_e32 v38, 0xff, v13
	s_mov_b32 s10, 0
	s_mov_b32 s27, exec_lo
                                        ; implicit-def: $sgpr26
	s_delay_alu instid0(VALU_DEP_1)
	v_cmpx_lt_i16_e32 0x7f, v38
	s_xor_b32 s27, exec_lo, s27
	s_cbranch_execnz .LBB6_8976
; %bb.8672:                             ;   in Loop: Header=BB6_8318 Depth=2
	s_or_saveexec_b32 s27, s27
	v_mov_b32_e32 v37, s26
	s_xor_b32 exec_lo, exec_lo, s27
	s_cbranch_execnz .LBB6_8979
.LBB6_8673:                             ;   in Loop: Header=BB6_8318 Depth=2
	s_or_b32 exec_lo, exec_lo, s27
	s_and_saveexec_b32 s26, s10
	s_cbranch_execz .LBB6_8675
.LBB6_8674:                             ;   in Loop: Header=BB6_8318 Depth=2
	v_bfe_u32 v48, v13, 3, 4
	v_lshlrev_b32_e32 v49, 24, v13
	s_delay_alu instid0(VALU_DEP_2) | instskip(SKIP_1) | instid1(VALU_DEP_1)
	v_cmp_eq_u32_e32 vcc_lo, 0, v48
	v_and_b32_e32 v37, 7, v13
	v_clz_i32_u32_e32 v38, v37
	s_delay_alu instid0(VALU_DEP_1) | instskip(NEXT) | instid1(VALU_DEP_1)
	v_min_u32_e32 v38, 32, v38
	v_subrev_nc_u32_e32 v39, 28, v38
	v_sub_nc_u32_e32 v38, 29, v38
	s_delay_alu instid0(VALU_DEP_1) | instskip(NEXT) | instid1(VALU_DEP_1)
	v_dual_cndmask_b32 v38, v48, v38 :: v_dual_lshlrev_b32 v39, v39, v13
	v_and_b32_e32 v39, 7, v39
	s_delay_alu instid0(VALU_DEP_2) | instskip(NEXT) | instid1(VALU_DEP_2)
	v_lshl_add_u32 v38, v38, 23, 0x3b800000
	v_cndmask_b32_e32 v37, v37, v39, vcc_lo
	v_and_b32_e32 v39, 0x80000000, v49
	s_delay_alu instid0(VALU_DEP_2) | instskip(NEXT) | instid1(VALU_DEP_1)
	v_lshlrev_b32_e32 v37, 20, v37
	v_or3_b32 v37, v39, v38, v37
.LBB6_8675:                             ;   in Loop: Header=BB6_8318 Depth=2
	s_or_b32 exec_lo, exec_lo, s26
	s_delay_alu instid0(VALU_DEP_1) | instskip(SKIP_1) | instid1(VALU_DEP_1)
	v_dual_max_f32 v37, v37, v37 :: v_dual_max_f32 v16, v16, v16
	s_mov_b32 s10, 0
	v_max_f32_e32 v37, v16, v37
	s_branch .LBB6_8677
.LBB6_8676:                             ;   in Loop: Header=BB6_8318 Depth=2
	s_mov_b32 s10, -1
                                        ; implicit-def: $vgpr37
.LBB6_8677:                             ;   in Loop: Header=BB6_8318 Depth=2
	s_delay_alu instid0(SALU_CYCLE_1)
	s_and_b32 vcc_lo, exec_lo, s10
	s_cbranch_vccz .LBB6_8687
; %bb.8678:                             ;   in Loop: Header=BB6_8318 Depth=2
	v_and_b32_e32 v37, 0xff, v17
	s_mov_b32 s10, 0
	s_mov_b32 s27, exec_lo
                                        ; implicit-def: $sgpr26
	s_delay_alu instid0(VALU_DEP_1)
	v_cmpx_lt_i16_e32 0x7f, v37
	s_xor_b32 s27, exec_lo, s27
	s_cbranch_execnz .LBB6_8980
; %bb.8679:                             ;   in Loop: Header=BB6_8318 Depth=2
	s_or_saveexec_b32 s27, s27
	v_mov_b32_e32 v16, s26
	s_xor_b32 exec_lo, exec_lo, s27
	s_cbranch_execnz .LBB6_8983
.LBB6_8680:                             ;   in Loop: Header=BB6_8318 Depth=2
	s_or_b32 exec_lo, exec_lo, s27
	s_and_saveexec_b32 s26, s10
	s_cbranch_execz .LBB6_8682
.LBB6_8681:                             ;   in Loop: Header=BB6_8318 Depth=2
	v_and_b32_e32 v16, 7, v17
	v_bfe_u32 v39, v17, 3, 4
	v_lshlrev_b32_e32 v48, 24, v17
	s_delay_alu instid0(VALU_DEP_3) | instskip(NEXT) | instid1(VALU_DEP_3)
	v_clz_i32_u32_e32 v37, v16
	v_cmp_eq_u32_e32 vcc_lo, 0, v39
	s_delay_alu instid0(VALU_DEP_2) | instskip(NEXT) | instid1(VALU_DEP_1)
	v_min_u32_e32 v37, 32, v37
	v_subrev_nc_u32_e32 v38, 28, v37
	v_sub_nc_u32_e32 v37, 29, v37
	s_delay_alu instid0(VALU_DEP_2) | instskip(NEXT) | instid1(VALU_DEP_1)
	v_lshlrev_b32_e32 v38, v38, v17
	v_dual_cndmask_b32 v37, v39, v37 :: v_dual_and_b32 v38, 7, v38
	s_delay_alu instid0(VALU_DEP_1) | instskip(NEXT) | instid1(VALU_DEP_2)
	v_lshl_add_u32 v37, v37, 23, 0x3b800000
	v_cndmask_b32_e32 v16, v16, v38, vcc_lo
	v_and_b32_e32 v38, 0x80000000, v48
	s_delay_alu instid0(VALU_DEP_2) | instskip(NEXT) | instid1(VALU_DEP_1)
	v_lshlrev_b32_e32 v16, 20, v16
	v_or3_b32 v16, v38, v37, v16
.LBB6_8682:                             ;   in Loop: Header=BB6_8318 Depth=2
	s_or_b32 exec_lo, exec_lo, s26
	v_and_b32_e32 v38, 0xff, v13
	s_mov_b32 s10, 0
	s_mov_b32 s27, exec_lo
                                        ; implicit-def: $sgpr26
	s_delay_alu instid0(VALU_DEP_1)
	v_cmpx_lt_i16_e32 0x7f, v38
	s_xor_b32 s27, exec_lo, s27
	s_cbranch_execnz .LBB6_8984
; %bb.8683:                             ;   in Loop: Header=BB6_8318 Depth=2
	s_or_saveexec_b32 s27, s27
	v_mov_b32_e32 v37, s26
	s_xor_b32 exec_lo, exec_lo, s27
	s_cbranch_execnz .LBB6_8987
.LBB6_8684:                             ;   in Loop: Header=BB6_8318 Depth=2
	s_or_b32 exec_lo, exec_lo, s27
	s_and_saveexec_b32 s26, s10
	s_cbranch_execz .LBB6_8686
.LBB6_8685:                             ;   in Loop: Header=BB6_8318 Depth=2
	v_bfe_u32 v48, v13, 3, 4
	v_lshlrev_b32_e32 v49, 24, v13
	s_delay_alu instid0(VALU_DEP_2) | instskip(SKIP_1) | instid1(VALU_DEP_1)
	v_cmp_eq_u32_e32 vcc_lo, 0, v48
	v_and_b32_e32 v37, 7, v13
	v_clz_i32_u32_e32 v38, v37
	s_delay_alu instid0(VALU_DEP_1) | instskip(NEXT) | instid1(VALU_DEP_1)
	v_min_u32_e32 v38, 32, v38
	v_subrev_nc_u32_e32 v39, 28, v38
	v_sub_nc_u32_e32 v38, 29, v38
	s_delay_alu instid0(VALU_DEP_1) | instskip(NEXT) | instid1(VALU_DEP_1)
	v_dual_cndmask_b32 v38, v48, v38 :: v_dual_lshlrev_b32 v39, v39, v13
	v_and_b32_e32 v39, 7, v39
	s_delay_alu instid0(VALU_DEP_2) | instskip(NEXT) | instid1(VALU_DEP_2)
	v_lshl_add_u32 v38, v38, 23, 0x3b800000
	v_cndmask_b32_e32 v37, v37, v39, vcc_lo
	v_and_b32_e32 v39, 0x80000000, v49
	s_delay_alu instid0(VALU_DEP_2) | instskip(NEXT) | instid1(VALU_DEP_1)
	v_lshlrev_b32_e32 v37, 20, v37
	v_or3_b32 v37, v39, v38, v37
.LBB6_8686:                             ;   in Loop: Header=BB6_8318 Depth=2
	s_or_b32 exec_lo, exec_lo, s26
	s_delay_alu instid0(VALU_DEP_1) | instskip(NEXT) | instid1(VALU_DEP_1)
	v_dual_max_f32 v37, v37, v37 :: v_dual_max_f32 v16, v16, v16
	v_min_f32_e32 v37, v16, v37
.LBB6_8687:                             ;   in Loop: Header=BB6_8318 Depth=2
	s_delay_alu instid0(VALU_DEP_1) | instskip(NEXT) | instid1(VALU_DEP_1)
	v_and_b32_e32 v16, 0x7f800000, v37
	v_cmp_ne_u32_e32 vcc_lo, 0x7f800000, v16
	v_mov_b32_e32 v16, 0x80
	s_and_saveexec_b32 s26, vcc_lo
	s_cbranch_execz .LBB6_8695
; %bb.8688:                             ;   in Loop: Header=BB6_8318 Depth=2
	v_mov_b32_e32 v16, 0
	s_mov_b32 s27, exec_lo
	v_cmpx_ne_u32_e32 0, v37
	s_cbranch_execz .LBB6_8694
; %bb.8689:                             ;   in Loop: Header=BB6_8318 Depth=2
	v_bfe_u32 v16, v37, 23, 8
	s_delay_alu instid0(VALU_DEP_1) | instskip(SKIP_1) | instid1(VALU_DEP_2)
	v_sub_nc_u32_e32 v39, 0x78, v16
	v_cmp_gt_u32_e32 vcc_lo, 0x79, v16
	v_dual_cndmask_b32 v39, 0, v39 :: v_dual_and_b32 v38, 0x7fffff, v37
	s_delay_alu instid0(VALU_DEP_1) | instskip(SKIP_2) | instid1(VALU_DEP_4)
	v_or_b32_e32 v48, 0x800000, v38
	v_cmp_eq_u32_e32 vcc_lo, 0, v16
	v_add_nc_u32_e32 v16, 0xffffff89, v16
	v_cndmask_b32_e64 v39, v39, 0x77, vcc_lo
	s_delay_alu instid0(VALU_DEP_2) | instskip(SKIP_1) | instid1(VALU_DEP_3)
	v_cndmask_b32_e64 v16, v16, 0xffffff8a, vcc_lo
	v_cndmask_b32_e32 v38, v48, v38, vcc_lo
	v_lshl_add_u32 v48, 0x100000, v39, -1
	v_lshlrev_b32_e64 v51, v39, 0x80000
	s_delay_alu instid0(VALU_DEP_3) | instskip(SKIP_1) | instid1(VALU_DEP_4)
	v_lshrrev_b32_e32 v49, v39, v38
	v_add_nc_u32_e32 v39, v39, v16
	v_and_b32_e32 v38, v48, v38
	s_delay_alu instid0(VALU_DEP_3) | instskip(NEXT) | instid1(VALU_DEP_2)
	v_bfe_u32 v50, v49, 20, 1
	v_cmp_eq_u32_e64 s10, v38, v51
	s_delay_alu instid0(VALU_DEP_2) | instskip(NEXT) | instid1(VALU_DEP_1)
	v_add_nc_u32_e32 v48, -1, v50
	v_cndmask_b32_e64 v38, 0, v48, s10
	v_lshrrev_b32_e32 v48, 23, v49
	s_mov_b32 s10, exec_lo
	s_delay_alu instid0(VALU_DEP_2) | instskip(NEXT) | instid1(VALU_DEP_2)
	v_add_nc_u32_e32 v38, v38, v49
	v_xor_b32_e32 v48, 1, v48
	s_delay_alu instid0(VALU_DEP_2) | instskip(NEXT) | instid1(VALU_DEP_1)
	v_and_b32_e32 v16, 0xfffff, v38
	v_add_nc_u32_e32 v38, v16, v49
                                        ; implicit-def: $vgpr16
	s_delay_alu instid0(VALU_DEP_3)
	v_cmpx_ne_u32_e64 v39, v48
	s_xor_b32 s10, exec_lo, s10
; %bb.8690:                             ;   in Loop: Header=BB6_8318 Depth=2
	s_delay_alu instid0(VALU_DEP_2) | instskip(SKIP_2) | instid1(VALU_DEP_2)
	v_cmp_lt_u32_e32 vcc_lo, 0xffffff, v38
	v_sub_nc_u32_e32 v16, v39, v48
	v_cndmask_b32_e64 v39, 0, 1, vcc_lo
	v_add_co_ci_u32_e32 v16, vcc_lo, 0, v16, vcc_lo
	s_delay_alu instid0(VALU_DEP_2)
	v_lshrrev_b32_e32 v38, v39, v38
; %bb.8691:                             ;   in Loop: Header=BB6_8318 Depth=2
	s_and_not1_saveexec_b32 s10, s10
; %bb.8692:                             ;   in Loop: Header=BB6_8318 Depth=2
	s_delay_alu instid0(VALU_DEP_1)
	v_bfe_u32 v16, v38, 23, 1
; %bb.8693:                             ;   in Loop: Header=BB6_8318 Depth=2
	s_or_b32 exec_lo, exec_lo, s10
	v_lshrrev_b32_e32 v38, 20, v38
	s_delay_alu instid0(VALU_DEP_2) | instskip(SKIP_2) | instid1(VALU_DEP_2)
	v_cmp_gt_i32_e32 vcc_lo, 16, v16
	v_lshrrev_b32_e32 v37, 24, v37
	v_min_i32_e32 v39, 15, v16
	v_dual_cndmask_b32 v38, 7, v38 :: v_dual_and_b32 v37, 0x80, v37
	s_delay_alu instid0(VALU_DEP_1) | instskip(SKIP_1) | instid1(VALU_DEP_2)
	v_or_b32_e32 v16, v16, v38
	v_and_b32_e32 v48, 7, v38
	v_cmp_ne_u32_e32 vcc_lo, 0, v16
	v_lshlrev_b32_e32 v39, 3, v39
	s_delay_alu instid0(VALU_DEP_1) | instskip(NEXT) | instid1(VALU_DEP_1)
	v_or3_b32 v37, v39, v37, v48
	v_cndmask_b32_e32 v16, 0, v37, vcc_lo
.LBB6_8694:                             ;   in Loop: Header=BB6_8318 Depth=2
	s_or_b32 exec_lo, exec_lo, s27
.LBB6_8695:                             ;   in Loop: Header=BB6_8318 Depth=2
	s_delay_alu instid0(SALU_CYCLE_1)
	s_or_b32 exec_lo, exec_lo, s26
	v_lshrrev_b16 v38, 8, v17
	v_lshrrev_b16 v37, 8, v13
	s_and_b32 vcc_lo, exec_lo, s25
	s_cbranch_vccz .LBB6_8705
; %bb.8696:                             ;   in Loop: Header=BB6_8318 Depth=2
	s_mov_b32 s10, 0
	s_mov_b32 s27, exec_lo
                                        ; implicit-def: $sgpr26
	v_cmpx_lt_i16_e32 0x7f, v38
	s_xor_b32 s27, exec_lo, s27
	s_cbranch_execnz .LBB6_8988
; %bb.8697:                             ;   in Loop: Header=BB6_8318 Depth=2
	s_or_saveexec_b32 s27, s27
	v_mov_b32_e32 v39, s26
	s_xor_b32 exec_lo, exec_lo, s27
	s_cbranch_execnz .LBB6_8991
.LBB6_8698:                             ;   in Loop: Header=BB6_8318 Depth=2
	s_or_b32 exec_lo, exec_lo, s27
	s_and_saveexec_b32 s26, s10
	s_cbranch_execz .LBB6_8700
.LBB6_8699:                             ;   in Loop: Header=BB6_8318 Depth=2
	v_and_b32_e32 v39, 0xffff, v38
	s_delay_alu instid0(VALU_DEP_1) | instskip(NEXT) | instid1(VALU_DEP_1)
	v_and_b32_e32 v48, 7, v39
	v_clz_i32_u32_e32 v49, v48
	s_delay_alu instid0(VALU_DEP_1) | instskip(NEXT) | instid1(VALU_DEP_1)
	v_min_u32_e32 v49, 32, v49
	v_subrev_nc_u32_e32 v50, 28, v49
	v_sub_nc_u32_e32 v49, 29, v49
	s_delay_alu instid0(VALU_DEP_2) | instskip(SKIP_1) | instid1(VALU_DEP_2)
	v_lshlrev_b32_e32 v50, v50, v39
	v_bfe_u32 v39, v39, 3, 4
	v_and_b32_e32 v50, 7, v50
	s_delay_alu instid0(VALU_DEP_2) | instskip(SKIP_1) | instid1(VALU_DEP_3)
	v_cmp_eq_u32_e32 vcc_lo, 0, v39
	v_cndmask_b32_e32 v39, v39, v49, vcc_lo
	v_dual_cndmask_b32 v48, v48, v50 :: v_dual_lshlrev_b32 v51, 16, v17
	s_delay_alu instid0(VALU_DEP_2) | instskip(NEXT) | instid1(VALU_DEP_2)
	v_lshl_add_u32 v39, v39, 23, 0x3b800000
	v_and_b32_e32 v49, 0x80000000, v51
	s_delay_alu instid0(VALU_DEP_3) | instskip(NEXT) | instid1(VALU_DEP_1)
	v_lshlrev_b32_e32 v48, 20, v48
	v_or3_b32 v39, v49, v39, v48
.LBB6_8700:                             ;   in Loop: Header=BB6_8318 Depth=2
	s_or_b32 exec_lo, exec_lo, s26
	s_mov_b32 s10, 0
	s_mov_b32 s27, exec_lo
                                        ; implicit-def: $sgpr26
	v_cmpx_lt_i16_e32 0x7f, v37
	s_xor_b32 s27, exec_lo, s27
	s_cbranch_execnz .LBB6_8992
; %bb.8701:                             ;   in Loop: Header=BB6_8318 Depth=2
	s_or_saveexec_b32 s27, s27
	v_mov_b32_e32 v48, s26
	s_xor_b32 exec_lo, exec_lo, s27
	s_cbranch_execnz .LBB6_8995
.LBB6_8702:                             ;   in Loop: Header=BB6_8318 Depth=2
	s_or_b32 exec_lo, exec_lo, s27
	s_and_saveexec_b32 s26, s10
	s_cbranch_execz .LBB6_8704
.LBB6_8703:                             ;   in Loop: Header=BB6_8318 Depth=2
	v_and_b32_e32 v48, 0xffff, v37
	v_lshlrev_b32_e32 v85, 16, v13
	s_delay_alu instid0(VALU_DEP_2) | instskip(NEXT) | instid1(VALU_DEP_1)
	v_and_b32_e32 v49, 7, v48
	v_clz_i32_u32_e32 v50, v49
	s_delay_alu instid0(VALU_DEP_1) | instskip(NEXT) | instid1(VALU_DEP_1)
	v_min_u32_e32 v50, 32, v50
	v_subrev_nc_u32_e32 v51, 28, v50
	v_sub_nc_u32_e32 v50, 29, v50
	s_delay_alu instid0(VALU_DEP_2) | instskip(SKIP_1) | instid1(VALU_DEP_2)
	v_lshlrev_b32_e32 v51, v51, v48
	v_bfe_u32 v48, v48, 3, 4
	v_and_b32_e32 v51, 7, v51
	s_delay_alu instid0(VALU_DEP_2) | instskip(NEXT) | instid1(VALU_DEP_2)
	v_cmp_eq_u32_e32 vcc_lo, 0, v48
	v_dual_cndmask_b32 v48, v48, v50 :: v_dual_cndmask_b32 v49, v49, v51
	v_and_b32_e32 v50, 0x80000000, v85
	s_delay_alu instid0(VALU_DEP_2) | instskip(NEXT) | instid1(VALU_DEP_3)
	v_lshl_add_u32 v48, v48, 23, 0x3b800000
	v_lshlrev_b32_e32 v49, 20, v49
	s_delay_alu instid0(VALU_DEP_1)
	v_or3_b32 v48, v50, v48, v49
.LBB6_8704:                             ;   in Loop: Header=BB6_8318 Depth=2
	s_or_b32 exec_lo, exec_lo, s26
	s_delay_alu instid0(VALU_DEP_1) | instskip(SKIP_1) | instid1(VALU_DEP_1)
	v_dual_max_f32 v48, v48, v48 :: v_dual_max_f32 v39, v39, v39
	s_mov_b32 s10, 0
	v_max_f32_e32 v39, v39, v48
	s_branch .LBB6_8706
.LBB6_8705:                             ;   in Loop: Header=BB6_8318 Depth=2
	s_mov_b32 s10, -1
                                        ; implicit-def: $vgpr39
.LBB6_8706:                             ;   in Loop: Header=BB6_8318 Depth=2
	s_delay_alu instid0(SALU_CYCLE_1)
	s_and_b32 vcc_lo, exec_lo, s10
	s_cbranch_vccz .LBB6_8716
; %bb.8707:                             ;   in Loop: Header=BB6_8318 Depth=2
	s_mov_b32 s10, 0
	s_mov_b32 s27, exec_lo
                                        ; implicit-def: $sgpr26
	v_cmpx_lt_i16_e32 0x7f, v38
	s_xor_b32 s27, exec_lo, s27
	s_cbranch_execnz .LBB6_8996
; %bb.8708:                             ;   in Loop: Header=BB6_8318 Depth=2
	s_or_saveexec_b32 s27, s27
	v_mov_b32_e32 v39, s26
	s_xor_b32 exec_lo, exec_lo, s27
	s_cbranch_execnz .LBB6_8999
.LBB6_8709:                             ;   in Loop: Header=BB6_8318 Depth=2
	s_or_b32 exec_lo, exec_lo, s27
	s_and_saveexec_b32 s26, s10
	s_cbranch_execz .LBB6_8711
.LBB6_8710:                             ;   in Loop: Header=BB6_8318 Depth=2
	v_and_b32_e32 v38, 0xffff, v38
	v_lshlrev_b32_e32 v50, 16, v17
	s_delay_alu instid0(VALU_DEP_2) | instskip(NEXT) | instid1(VALU_DEP_1)
	v_and_b32_e32 v39, 7, v38
	v_clz_i32_u32_e32 v48, v39
	s_delay_alu instid0(VALU_DEP_1) | instskip(NEXT) | instid1(VALU_DEP_1)
	v_min_u32_e32 v48, 32, v48
	v_subrev_nc_u32_e32 v49, 28, v48
	v_sub_nc_u32_e32 v48, 29, v48
	s_delay_alu instid0(VALU_DEP_2) | instskip(SKIP_1) | instid1(VALU_DEP_2)
	v_lshlrev_b32_e32 v49, v49, v38
	v_bfe_u32 v38, v38, 3, 4
	v_and_b32_e32 v49, 7, v49
	s_delay_alu instid0(VALU_DEP_2) | instskip(NEXT) | instid1(VALU_DEP_2)
	v_cmp_eq_u32_e32 vcc_lo, 0, v38
	v_dual_cndmask_b32 v38, v38, v48 :: v_dual_cndmask_b32 v39, v39, v49
	v_and_b32_e32 v48, 0x80000000, v50
	s_delay_alu instid0(VALU_DEP_2) | instskip(NEXT) | instid1(VALU_DEP_3)
	v_lshl_add_u32 v38, v38, 23, 0x3b800000
	v_lshlrev_b32_e32 v39, 20, v39
	s_delay_alu instid0(VALU_DEP_1)
	v_or3_b32 v39, v48, v38, v39
.LBB6_8711:                             ;   in Loop: Header=BB6_8318 Depth=2
	s_or_b32 exec_lo, exec_lo, s26
	s_mov_b32 s10, 0
	s_mov_b32 s27, exec_lo
                                        ; implicit-def: $sgpr26
	v_cmpx_lt_i16_e32 0x7f, v37
	s_xor_b32 s27, exec_lo, s27
	s_cbranch_execnz .LBB6_9000
; %bb.8712:                             ;   in Loop: Header=BB6_8318 Depth=2
	s_or_saveexec_b32 s27, s27
	v_mov_b32_e32 v38, s26
	s_xor_b32 exec_lo, exec_lo, s27
	s_cbranch_execnz .LBB6_9003
.LBB6_8713:                             ;   in Loop: Header=BB6_8318 Depth=2
	s_or_b32 exec_lo, exec_lo, s27
	s_and_saveexec_b32 s26, s10
	s_cbranch_execz .LBB6_8715
.LBB6_8714:                             ;   in Loop: Header=BB6_8318 Depth=2
	v_and_b32_e32 v37, 0xffff, v37
	v_lshlrev_b32_e32 v50, 16, v13
	s_delay_alu instid0(VALU_DEP_2) | instskip(NEXT) | instid1(VALU_DEP_1)
	v_and_b32_e32 v38, 7, v37
	v_clz_i32_u32_e32 v48, v38
	s_delay_alu instid0(VALU_DEP_1) | instskip(NEXT) | instid1(VALU_DEP_1)
	v_min_u32_e32 v48, 32, v48
	v_subrev_nc_u32_e32 v49, 28, v48
	v_sub_nc_u32_e32 v48, 29, v48
	s_delay_alu instid0(VALU_DEP_2) | instskip(SKIP_1) | instid1(VALU_DEP_2)
	v_lshlrev_b32_e32 v49, v49, v37
	v_bfe_u32 v37, v37, 3, 4
	v_and_b32_e32 v49, 7, v49
	s_delay_alu instid0(VALU_DEP_2) | instskip(NEXT) | instid1(VALU_DEP_2)
	v_cmp_eq_u32_e32 vcc_lo, 0, v37
	v_dual_cndmask_b32 v37, v37, v48 :: v_dual_cndmask_b32 v38, v38, v49
	v_and_b32_e32 v48, 0x80000000, v50
	s_delay_alu instid0(VALU_DEP_2) | instskip(NEXT) | instid1(VALU_DEP_3)
	v_lshl_add_u32 v37, v37, 23, 0x3b800000
	v_lshlrev_b32_e32 v38, 20, v38
	s_delay_alu instid0(VALU_DEP_1)
	v_or3_b32 v38, v48, v37, v38
.LBB6_8715:                             ;   in Loop: Header=BB6_8318 Depth=2
	s_or_b32 exec_lo, exec_lo, s26
	s_delay_alu instid0(VALU_DEP_1) | instskip(NEXT) | instid1(VALU_DEP_1)
	v_dual_max_f32 v37, v38, v38 :: v_dual_max_f32 v38, v39, v39
	v_min_f32_e32 v39, v38, v37
.LBB6_8716:                             ;   in Loop: Header=BB6_8318 Depth=2
	s_delay_alu instid0(VALU_DEP_1) | instskip(NEXT) | instid1(VALU_DEP_1)
	v_and_b32_e32 v37, 0x7f800000, v39
	v_cmp_ne_u32_e32 vcc_lo, 0x7f800000, v37
	v_mov_b32_e32 v37, 0x80
	s_and_saveexec_b32 s26, vcc_lo
	s_cbranch_execz .LBB6_8724
; %bb.8717:                             ;   in Loop: Header=BB6_8318 Depth=2
	v_mov_b32_e32 v37, 0
	s_mov_b32 s27, exec_lo
	v_cmpx_ne_u32_e32 0, v39
	s_cbranch_execz .LBB6_8723
; %bb.8718:                             ;   in Loop: Header=BB6_8318 Depth=2
	v_bfe_u32 v37, v39, 23, 8
	v_and_b32_e32 v38, 0x7fffff, v39
	s_delay_alu instid0(VALU_DEP_2) | instskip(SKIP_1) | instid1(VALU_DEP_3)
	v_sub_nc_u32_e32 v48, 0x78, v37
	v_cmp_gt_u32_e32 vcc_lo, 0x79, v37
	v_or_b32_e32 v49, 0x800000, v38
	s_delay_alu instid0(VALU_DEP_3) | instskip(SKIP_2) | instid1(VALU_DEP_3)
	v_cndmask_b32_e32 v48, 0, v48, vcc_lo
	v_cmp_eq_u32_e32 vcc_lo, 0, v37
	v_add_nc_u32_e32 v37, 0xffffff89, v37
	v_cndmask_b32_e64 v48, v48, 0x77, vcc_lo
	v_cndmask_b32_e32 v38, v49, v38, vcc_lo
	s_delay_alu instid0(VALU_DEP_3) | instskip(NEXT) | instid1(VALU_DEP_3)
	v_cndmask_b32_e64 v37, v37, 0xffffff8a, vcc_lo
	v_lshl_add_u32 v49, 0x100000, v48, -1
	s_delay_alu instid0(VALU_DEP_3) | instskip(SKIP_1) | instid1(VALU_DEP_4)
	v_lshrrev_b32_e32 v50, v48, v38
	v_lshlrev_b32_e64 v85, v48, 0x80000
	v_add_nc_u32_e32 v48, v48, v37
	s_delay_alu instid0(VALU_DEP_4) | instskip(NEXT) | instid1(VALU_DEP_4)
	v_and_b32_e32 v38, v49, v38
	v_bfe_u32 v51, v50, 20, 1
	s_delay_alu instid0(VALU_DEP_2) | instskip(NEXT) | instid1(VALU_DEP_2)
	v_cmp_eq_u32_e64 s10, v38, v85
	v_add_nc_u32_e32 v49, -1, v51
	s_delay_alu instid0(VALU_DEP_1) | instskip(SKIP_2) | instid1(VALU_DEP_2)
	v_cndmask_b32_e64 v38, 0, v49, s10
	v_lshrrev_b32_e32 v49, 23, v50
	s_mov_b32 s10, exec_lo
	v_add_nc_u32_e32 v38, v38, v50
	s_delay_alu instid0(VALU_DEP_2) | instskip(NEXT) | instid1(VALU_DEP_2)
	v_xor_b32_e32 v49, 1, v49
	v_and_b32_e32 v37, 0xfffff, v38
	s_delay_alu instid0(VALU_DEP_1) | instskip(NEXT) | instid1(VALU_DEP_3)
	v_add_nc_u32_e32 v38, v37, v50
                                        ; implicit-def: $vgpr37
	v_cmpx_ne_u32_e64 v48, v49
	s_xor_b32 s10, exec_lo, s10
; %bb.8719:                             ;   in Loop: Header=BB6_8318 Depth=2
	s_delay_alu instid0(VALU_DEP_2) | instskip(SKIP_2) | instid1(VALU_DEP_2)
	v_cmp_lt_u32_e32 vcc_lo, 0xffffff, v38
	v_sub_nc_u32_e32 v37, v48, v49
	v_cndmask_b32_e64 v48, 0, 1, vcc_lo
	v_add_co_ci_u32_e32 v37, vcc_lo, 0, v37, vcc_lo
	s_delay_alu instid0(VALU_DEP_2)
	v_lshrrev_b32_e32 v38, v48, v38
; %bb.8720:                             ;   in Loop: Header=BB6_8318 Depth=2
	s_and_not1_saveexec_b32 s10, s10
; %bb.8721:                             ;   in Loop: Header=BB6_8318 Depth=2
	s_delay_alu instid0(VALU_DEP_1)
	v_bfe_u32 v37, v38, 23, 1
; %bb.8722:                             ;   in Loop: Header=BB6_8318 Depth=2
	s_or_b32 exec_lo, exec_lo, s10
	v_lshrrev_b32_e32 v38, 20, v38
	s_delay_alu instid0(VALU_DEP_2) | instskip(SKIP_2) | instid1(VALU_DEP_2)
	v_cmp_gt_i32_e32 vcc_lo, 16, v37
	v_lshrrev_b32_e32 v39, 24, v39
	v_min_i32_e32 v48, 15, v37
	v_dual_cndmask_b32 v38, 7, v38 :: v_dual_and_b32 v39, 0x80, v39
	s_delay_alu instid0(VALU_DEP_1) | instskip(SKIP_1) | instid1(VALU_DEP_2)
	v_or_b32_e32 v37, v37, v38
	v_and_b32_e32 v49, 7, v38
	v_cmp_ne_u32_e32 vcc_lo, 0, v37
	v_lshlrev_b32_e32 v48, 3, v48
	s_delay_alu instid0(VALU_DEP_1) | instskip(NEXT) | instid1(VALU_DEP_1)
	v_or3_b32 v38, v48, v39, v49
	v_cndmask_b32_e32 v37, 0, v38, vcc_lo
.LBB6_8723:                             ;   in Loop: Header=BB6_8318 Depth=2
	s_or_b32 exec_lo, exec_lo, s27
.LBB6_8724:                             ;   in Loop: Header=BB6_8318 Depth=2
	s_delay_alu instid0(SALU_CYCLE_1)
	s_or_b32 exec_lo, exec_lo, s26
	v_lshrrev_b32_e32 v39, 16, v17
	v_lshrrev_b32_e32 v38, 16, v13
	s_and_b32 vcc_lo, exec_lo, s25
	s_cbranch_vccz .LBB6_8734
; %bb.8725:                             ;   in Loop: Header=BB6_8318 Depth=2
	s_delay_alu instid0(VALU_DEP_2) | instskip(SKIP_2) | instid1(VALU_DEP_1)
	v_and_b32_e32 v49, 0xff, v39
	s_mov_b32 s10, 0
	s_mov_b32 s27, exec_lo
                                        ; implicit-def: $sgpr26
	v_cmpx_lt_i16_e32 0x7f, v49
	s_xor_b32 s27, exec_lo, s27
	s_cbranch_execnz .LBB6_9004
; %bb.8726:                             ;   in Loop: Header=BB6_8318 Depth=2
	s_or_saveexec_b32 s27, s27
	v_mov_b32_e32 v48, s26
	s_xor_b32 exec_lo, exec_lo, s27
	s_cbranch_execnz .LBB6_9007
.LBB6_8727:                             ;   in Loop: Header=BB6_8318 Depth=2
	s_or_b32 exec_lo, exec_lo, s27
	s_and_saveexec_b32 s26, s10
	s_cbranch_execz .LBB6_8729
.LBB6_8728:                             ;   in Loop: Header=BB6_8318 Depth=2
	v_bfe_u32 v48, v17, 16, 3
	v_bfe_u32 v51, v17, 19, 4
	s_delay_alu instid0(VALU_DEP_2) | instskip(NEXT) | instid1(VALU_DEP_2)
	v_clz_i32_u32_e32 v49, v48
	v_cmp_eq_u32_e32 vcc_lo, 0, v51
	s_delay_alu instid0(VALU_DEP_2) | instskip(NEXT) | instid1(VALU_DEP_1)
	v_min_u32_e32 v49, 32, v49
	v_subrev_nc_u32_e32 v50, 28, v49
	v_sub_nc_u32_e32 v49, 29, v49
	s_delay_alu instid0(VALU_DEP_1) | instskip(NEXT) | instid1(VALU_DEP_1)
	v_dual_cndmask_b32 v49, v51, v49 :: v_dual_lshlrev_b32 v50, v50, v39
	v_and_b32_e32 v50, 7, v50
	v_lshlrev_b32_e32 v85, 24, v39
	s_delay_alu instid0(VALU_DEP_3) | instskip(NEXT) | instid1(VALU_DEP_3)
	v_lshl_add_u32 v49, v49, 23, 0x3b800000
	v_cndmask_b32_e32 v48, v48, v50, vcc_lo
	s_delay_alu instid0(VALU_DEP_3) | instskip(NEXT) | instid1(VALU_DEP_2)
	v_and_b32_e32 v50, 0x80000000, v85
	v_lshlrev_b32_e32 v48, 20, v48
	s_delay_alu instid0(VALU_DEP_1)
	v_or3_b32 v48, v50, v49, v48
.LBB6_8729:                             ;   in Loop: Header=BB6_8318 Depth=2
	s_or_b32 exec_lo, exec_lo, s26
	v_and_b32_e32 v50, 0xff, v38
	s_mov_b32 s10, 0
	s_mov_b32 s27, exec_lo
                                        ; implicit-def: $sgpr26
	s_delay_alu instid0(VALU_DEP_1)
	v_cmpx_lt_i16_e32 0x7f, v50
	s_xor_b32 s27, exec_lo, s27
	s_cbranch_execnz .LBB6_9008
; %bb.8730:                             ;   in Loop: Header=BB6_8318 Depth=2
	s_or_saveexec_b32 s27, s27
	v_mov_b32_e32 v49, s26
	s_xor_b32 exec_lo, exec_lo, s27
	s_cbranch_execnz .LBB6_9011
.LBB6_8731:                             ;   in Loop: Header=BB6_8318 Depth=2
	s_or_b32 exec_lo, exec_lo, s27
	s_and_saveexec_b32 s26, s10
	s_cbranch_execz .LBB6_8733
.LBB6_8732:                             ;   in Loop: Header=BB6_8318 Depth=2
	v_bfe_u32 v49, v13, 16, 3
	v_bfe_u32 v85, v13, 19, 4
	s_delay_alu instid0(VALU_DEP_2) | instskip(NEXT) | instid1(VALU_DEP_2)
	v_clz_i32_u32_e32 v50, v49
	v_cmp_eq_u32_e32 vcc_lo, 0, v85
	s_delay_alu instid0(VALU_DEP_2) | instskip(NEXT) | instid1(VALU_DEP_1)
	v_min_u32_e32 v50, 32, v50
	v_subrev_nc_u32_e32 v51, 28, v50
	v_sub_nc_u32_e32 v50, 29, v50
	s_delay_alu instid0(VALU_DEP_2) | instskip(NEXT) | instid1(VALU_DEP_1)
	v_lshlrev_b32_e32 v51, v51, v38
	v_dual_cndmask_b32 v50, v85, v50 :: v_dual_and_b32 v51, 7, v51
	v_lshlrev_b32_e32 v86, 24, v38
	s_delay_alu instid0(VALU_DEP_2) | instskip(NEXT) | instid1(VALU_DEP_3)
	v_lshl_add_u32 v50, v50, 23, 0x3b800000
	v_cndmask_b32_e32 v49, v49, v51, vcc_lo
	s_delay_alu instid0(VALU_DEP_3) | instskip(NEXT) | instid1(VALU_DEP_2)
	v_and_b32_e32 v51, 0x80000000, v86
	v_lshlrev_b32_e32 v49, 20, v49
	s_delay_alu instid0(VALU_DEP_1)
	v_or3_b32 v49, v51, v50, v49
.LBB6_8733:                             ;   in Loop: Header=BB6_8318 Depth=2
	s_or_b32 exec_lo, exec_lo, s26
	s_delay_alu instid0(VALU_DEP_1) | instskip(SKIP_1) | instid1(VALU_DEP_1)
	v_dual_max_f32 v49, v49, v49 :: v_dual_max_f32 v48, v48, v48
	s_mov_b32 s10, 0
	v_max_f32_e32 v48, v48, v49
	s_branch .LBB6_8735
.LBB6_8734:                             ;   in Loop: Header=BB6_8318 Depth=2
	s_mov_b32 s10, -1
                                        ; implicit-def: $vgpr48
.LBB6_8735:                             ;   in Loop: Header=BB6_8318 Depth=2
	s_delay_alu instid0(SALU_CYCLE_1)
	s_and_b32 vcc_lo, exec_lo, s10
	s_cbranch_vccz .LBB6_8745
; %bb.8736:                             ;   in Loop: Header=BB6_8318 Depth=2
	v_and_b32_e32 v49, 0xff, v39
	s_mov_b32 s10, 0
	s_mov_b32 s27, exec_lo
                                        ; implicit-def: $sgpr26
	s_delay_alu instid0(VALU_DEP_1)
	v_cmpx_lt_i16_e32 0x7f, v49
	s_xor_b32 s27, exec_lo, s27
	s_cbranch_execnz .LBB6_9012
; %bb.8737:                             ;   in Loop: Header=BB6_8318 Depth=2
	s_or_saveexec_b32 s27, s27
	v_mov_b32_e32 v48, s26
	s_xor_b32 exec_lo, exec_lo, s27
	s_cbranch_execnz .LBB6_9015
.LBB6_8738:                             ;   in Loop: Header=BB6_8318 Depth=2
	s_or_b32 exec_lo, exec_lo, s27
	s_and_saveexec_b32 s26, s10
	s_cbranch_execz .LBB6_8740
.LBB6_8739:                             ;   in Loop: Header=BB6_8318 Depth=2
	v_bfe_u32 v48, v17, 16, 3
	v_bfe_u32 v51, v17, 19, 4
	s_delay_alu instid0(VALU_DEP_2) | instskip(NEXT) | instid1(VALU_DEP_2)
	v_clz_i32_u32_e32 v49, v48
	v_cmp_eq_u32_e32 vcc_lo, 0, v51
	s_delay_alu instid0(VALU_DEP_2) | instskip(NEXT) | instid1(VALU_DEP_1)
	v_min_u32_e32 v49, 32, v49
	v_subrev_nc_u32_e32 v50, 28, v49
	v_sub_nc_u32_e32 v49, 29, v49
	s_delay_alu instid0(VALU_DEP_1) | instskip(NEXT) | instid1(VALU_DEP_1)
	v_dual_cndmask_b32 v49, v51, v49 :: v_dual_lshlrev_b32 v50, v50, v39
	v_and_b32_e32 v50, 7, v50
	v_lshlrev_b32_e32 v39, 24, v39
	s_delay_alu instid0(VALU_DEP_3) | instskip(NEXT) | instid1(VALU_DEP_2)
	v_lshl_add_u32 v49, v49, 23, 0x3b800000
	v_dual_cndmask_b32 v48, v48, v50 :: v_dual_and_b32 v39, 0x80000000, v39
	s_delay_alu instid0(VALU_DEP_1) | instskip(NEXT) | instid1(VALU_DEP_1)
	v_lshlrev_b32_e32 v48, 20, v48
	v_or3_b32 v48, v39, v49, v48
.LBB6_8740:                             ;   in Loop: Header=BB6_8318 Depth=2
	s_or_b32 exec_lo, exec_lo, s26
	v_and_b32_e32 v49, 0xff, v38
	s_mov_b32 s10, 0
	s_mov_b32 s27, exec_lo
                                        ; implicit-def: $sgpr26
	s_delay_alu instid0(VALU_DEP_1)
	v_cmpx_lt_i16_e32 0x7f, v49
	s_xor_b32 s27, exec_lo, s27
	s_cbranch_execnz .LBB6_9016
; %bb.8741:                             ;   in Loop: Header=BB6_8318 Depth=2
	s_or_saveexec_b32 s27, s27
	v_mov_b32_e32 v39, s26
	s_xor_b32 exec_lo, exec_lo, s27
	s_cbranch_execnz .LBB6_9019
.LBB6_8742:                             ;   in Loop: Header=BB6_8318 Depth=2
	s_or_b32 exec_lo, exec_lo, s27
	s_and_saveexec_b32 s26, s10
	s_cbranch_execz .LBB6_8744
.LBB6_8743:                             ;   in Loop: Header=BB6_8318 Depth=2
	v_bfe_u32 v39, v13, 16, 3
	v_bfe_u32 v51, v13, 19, 4
	s_delay_alu instid0(VALU_DEP_2) | instskip(NEXT) | instid1(VALU_DEP_2)
	v_clz_i32_u32_e32 v49, v39
	v_cmp_eq_u32_e32 vcc_lo, 0, v51
	s_delay_alu instid0(VALU_DEP_2) | instskip(NEXT) | instid1(VALU_DEP_1)
	v_min_u32_e32 v49, 32, v49
	v_subrev_nc_u32_e32 v50, 28, v49
	v_sub_nc_u32_e32 v49, 29, v49
	s_delay_alu instid0(VALU_DEP_1) | instskip(SKIP_1) | instid1(VALU_DEP_2)
	v_dual_cndmask_b32 v49, v51, v49 :: v_dual_lshlrev_b32 v50, v50, v38
	v_lshlrev_b32_e32 v38, 24, v38
	v_and_b32_e32 v50, 7, v50
	s_delay_alu instid0(VALU_DEP_3) | instskip(NEXT) | instid1(VALU_DEP_3)
	v_lshl_add_u32 v49, v49, 23, 0x3b800000
	v_and_b32_e32 v38, 0x80000000, v38
	s_delay_alu instid0(VALU_DEP_3) | instskip(NEXT) | instid1(VALU_DEP_1)
	v_cndmask_b32_e32 v39, v39, v50, vcc_lo
	v_lshlrev_b32_e32 v39, 20, v39
	s_delay_alu instid0(VALU_DEP_1)
	v_or3_b32 v39, v38, v49, v39
.LBB6_8744:                             ;   in Loop: Header=BB6_8318 Depth=2
	s_or_b32 exec_lo, exec_lo, s26
	s_delay_alu instid0(VALU_DEP_1) | instskip(NEXT) | instid1(VALU_DEP_1)
	v_dual_max_f32 v38, v39, v39 :: v_dual_max_f32 v39, v48, v48
	v_min_f32_e32 v48, v39, v38
.LBB6_8745:                             ;   in Loop: Header=BB6_8318 Depth=2
	s_delay_alu instid0(VALU_DEP_1) | instskip(NEXT) | instid1(VALU_DEP_1)
	v_and_b32_e32 v38, 0x7f800000, v48
	v_cmp_ne_u32_e32 vcc_lo, 0x7f800000, v38
	v_mov_b32_e32 v38, 0x80
	s_and_saveexec_b32 s26, vcc_lo
	s_cbranch_execz .LBB6_8753
; %bb.8746:                             ;   in Loop: Header=BB6_8318 Depth=2
	v_mov_b32_e32 v38, 0
	s_mov_b32 s27, exec_lo
	v_cmpx_ne_u32_e32 0, v48
	s_cbranch_execz .LBB6_8752
; %bb.8747:                             ;   in Loop: Header=BB6_8318 Depth=2
	v_bfe_u32 v38, v48, 23, 8
	v_and_b32_e32 v39, 0x7fffff, v48
	s_delay_alu instid0(VALU_DEP_2) | instskip(SKIP_1) | instid1(VALU_DEP_3)
	v_sub_nc_u32_e32 v49, 0x78, v38
	v_cmp_gt_u32_e32 vcc_lo, 0x79, v38
	v_or_b32_e32 v50, 0x800000, v39
	s_delay_alu instid0(VALU_DEP_3) | instskip(SKIP_2) | instid1(VALU_DEP_3)
	v_cndmask_b32_e32 v49, 0, v49, vcc_lo
	v_cmp_eq_u32_e32 vcc_lo, 0, v38
	v_add_nc_u32_e32 v38, 0xffffff89, v38
	v_cndmask_b32_e64 v49, v49, 0x77, vcc_lo
	v_cndmask_b32_e32 v39, v50, v39, vcc_lo
	s_delay_alu instid0(VALU_DEP_3) | instskip(NEXT) | instid1(VALU_DEP_3)
	v_cndmask_b32_e64 v38, v38, 0xffffff8a, vcc_lo
	v_lshl_add_u32 v50, 0x100000, v49, -1
	s_delay_alu instid0(VALU_DEP_3) | instskip(SKIP_1) | instid1(VALU_DEP_4)
	v_lshrrev_b32_e32 v51, v49, v39
	v_lshlrev_b32_e64 v86, v49, 0x80000
	v_add_nc_u32_e32 v49, v49, v38
	s_delay_alu instid0(VALU_DEP_4) | instskip(NEXT) | instid1(VALU_DEP_4)
	v_and_b32_e32 v39, v50, v39
	v_bfe_u32 v85, v51, 20, 1
	s_delay_alu instid0(VALU_DEP_2) | instskip(NEXT) | instid1(VALU_DEP_2)
	v_cmp_eq_u32_e64 s10, v39, v86
	v_add_nc_u32_e32 v50, -1, v85
	s_delay_alu instid0(VALU_DEP_1) | instskip(SKIP_2) | instid1(VALU_DEP_2)
	v_cndmask_b32_e64 v39, 0, v50, s10
	v_lshrrev_b32_e32 v50, 23, v51
	s_mov_b32 s10, exec_lo
	v_add_nc_u32_e32 v39, v39, v51
	s_delay_alu instid0(VALU_DEP_2) | instskip(NEXT) | instid1(VALU_DEP_2)
	v_xor_b32_e32 v50, 1, v50
	v_and_b32_e32 v38, 0xfffff, v39
	s_delay_alu instid0(VALU_DEP_1) | instskip(NEXT) | instid1(VALU_DEP_3)
	v_add_nc_u32_e32 v39, v38, v51
                                        ; implicit-def: $vgpr38
	v_cmpx_ne_u32_e64 v49, v50
	s_xor_b32 s10, exec_lo, s10
; %bb.8748:                             ;   in Loop: Header=BB6_8318 Depth=2
	s_delay_alu instid0(VALU_DEP_2) | instskip(SKIP_2) | instid1(VALU_DEP_2)
	v_cmp_lt_u32_e32 vcc_lo, 0xffffff, v39
	v_sub_nc_u32_e32 v38, v49, v50
	v_cndmask_b32_e64 v49, 0, 1, vcc_lo
	v_add_co_ci_u32_e32 v38, vcc_lo, 0, v38, vcc_lo
	s_delay_alu instid0(VALU_DEP_2)
	v_lshrrev_b32_e32 v39, v49, v39
; %bb.8749:                             ;   in Loop: Header=BB6_8318 Depth=2
	s_and_not1_saveexec_b32 s10, s10
; %bb.8750:                             ;   in Loop: Header=BB6_8318 Depth=2
	s_delay_alu instid0(VALU_DEP_1)
	v_bfe_u32 v38, v39, 23, 1
; %bb.8751:                             ;   in Loop: Header=BB6_8318 Depth=2
	s_or_b32 exec_lo, exec_lo, s10
	v_lshrrev_b32_e32 v39, 20, v39
	s_delay_alu instid0(VALU_DEP_2) | instskip(SKIP_2) | instid1(VALU_DEP_2)
	v_cmp_gt_i32_e32 vcc_lo, 16, v38
	v_lshrrev_b32_e32 v48, 24, v48
	v_min_i32_e32 v49, 15, v38
	v_dual_cndmask_b32 v39, 7, v39 :: v_dual_and_b32 v48, 0x80, v48
	s_delay_alu instid0(VALU_DEP_1) | instskip(SKIP_1) | instid1(VALU_DEP_2)
	v_or_b32_e32 v38, v38, v39
	v_and_b32_e32 v50, 7, v39
	v_cmp_ne_u32_e32 vcc_lo, 0, v38
	v_lshlrev_b32_e32 v49, 3, v49
	s_delay_alu instid0(VALU_DEP_1) | instskip(NEXT) | instid1(VALU_DEP_1)
	v_and_b32_e32 v49, 0xf8, v49
	v_or3_b32 v39, v49, v48, v50
	s_delay_alu instid0(VALU_DEP_1)
	v_cndmask_b32_e32 v38, 0, v39, vcc_lo
.LBB6_8752:                             ;   in Loop: Header=BB6_8318 Depth=2
	s_or_b32 exec_lo, exec_lo, s27
.LBB6_8753:                             ;   in Loop: Header=BB6_8318 Depth=2
	s_delay_alu instid0(SALU_CYCLE_1)
	s_or_b32 exec_lo, exec_lo, s26
	v_lshrrev_b32_e32 v48, 24, v17
	v_lshrrev_b32_e32 v39, 24, v13
	s_and_b32 vcc_lo, exec_lo, s25
	s_cbranch_vccz .LBB6_8763
; %bb.8754:                             ;   in Loop: Header=BB6_8318 Depth=2
	s_mov_b32 s10, 0
	s_mov_b32 s27, exec_lo
                                        ; implicit-def: $sgpr26
	v_cmpx_lt_i16_e32 0x7f, v48
	s_xor_b32 s27, exec_lo, s27
	s_cbranch_execnz .LBB6_9020
; %bb.8755:                             ;   in Loop: Header=BB6_8318 Depth=2
	s_or_saveexec_b32 s27, s27
	v_mov_b32_e32 v49, s26
	s_xor_b32 exec_lo, exec_lo, s27
	s_cbranch_execnz .LBB6_9023
.LBB6_8756:                             ;   in Loop: Header=BB6_8318 Depth=2
	s_or_b32 exec_lo, exec_lo, s27
	s_and_saveexec_b32 s26, s10
	s_cbranch_execz .LBB6_8758
.LBB6_8757:                             ;   in Loop: Header=BB6_8318 Depth=2
	v_bfe_u32 v49, v17, 24, 3
	v_bfe_u32 v85, v17, 27, 4
	s_delay_alu instid0(VALU_DEP_2) | instskip(NEXT) | instid1(VALU_DEP_2)
	v_clz_i32_u32_e32 v50, v49
	v_cmp_eq_u32_e32 vcc_lo, 0, v85
	s_delay_alu instid0(VALU_DEP_2) | instskip(NEXT) | instid1(VALU_DEP_1)
	v_min_u32_e32 v50, 32, v50
	v_subrev_nc_u32_e32 v51, 28, v50
	v_sub_nc_u32_e32 v50, 29, v50
	s_delay_alu instid0(VALU_DEP_1) | instskip(NEXT) | instid1(VALU_DEP_1)
	v_dual_cndmask_b32 v50, v85, v50 :: v_dual_lshlrev_b32 v51, v51, v48
	v_and_b32_e32 v51, 7, v51
	s_delay_alu instid0(VALU_DEP_2) | instskip(NEXT) | instid1(VALU_DEP_2)
	v_lshl_add_u32 v50, v50, 23, 0x3b800000
	v_cndmask_b32_e32 v49, v49, v51, vcc_lo
	v_and_b32_e32 v51, 0x80000000, v17
	s_delay_alu instid0(VALU_DEP_2) | instskip(NEXT) | instid1(VALU_DEP_1)
	v_lshlrev_b32_e32 v49, 20, v49
	v_or3_b32 v49, v51, v50, v49
.LBB6_8758:                             ;   in Loop: Header=BB6_8318 Depth=2
	s_or_b32 exec_lo, exec_lo, s26
	s_mov_b32 s10, 0
	s_mov_b32 s27, exec_lo
                                        ; implicit-def: $sgpr26
	v_cmpx_lt_i16_e32 0x7f, v39
	s_xor_b32 s27, exec_lo, s27
	s_cbranch_execnz .LBB6_9024
; %bb.8759:                             ;   in Loop: Header=BB6_8318 Depth=2
	s_or_saveexec_b32 s27, s27
	v_mov_b32_e32 v50, s26
	s_xor_b32 exec_lo, exec_lo, s27
	s_cbranch_execnz .LBB6_9027
.LBB6_8760:                             ;   in Loop: Header=BB6_8318 Depth=2
	s_or_b32 exec_lo, exec_lo, s27
	s_and_saveexec_b32 s26, s10
	s_cbranch_execz .LBB6_8762
.LBB6_8761:                             ;   in Loop: Header=BB6_8318 Depth=2
	v_bfe_u32 v50, v13, 24, 3
	v_bfe_u32 v86, v13, 27, 4
	s_delay_alu instid0(VALU_DEP_2) | instskip(NEXT) | instid1(VALU_DEP_2)
	v_clz_i32_u32_e32 v51, v50
	v_cmp_eq_u32_e32 vcc_lo, 0, v86
	s_delay_alu instid0(VALU_DEP_2) | instskip(NEXT) | instid1(VALU_DEP_1)
	v_min_u32_e32 v51, 32, v51
	v_subrev_nc_u32_e32 v85, 28, v51
	v_sub_nc_u32_e32 v51, 29, v51
	s_delay_alu instid0(VALU_DEP_2) | instskip(NEXT) | instid1(VALU_DEP_1)
	v_lshlrev_b32_e32 v85, v85, v39
	v_and_b32_e32 v85, 7, v85
	s_delay_alu instid0(VALU_DEP_1) | instskip(NEXT) | instid1(VALU_DEP_4)
	v_cndmask_b32_e32 v50, v50, v85, vcc_lo
	v_cndmask_b32_e32 v51, v86, v51, vcc_lo
	v_and_b32_e32 v85, 0x80000000, v13
	s_delay_alu instid0(VALU_DEP_3) | instskip(NEXT) | instid1(VALU_DEP_3)
	v_lshlrev_b32_e32 v50, 20, v50
	v_lshl_add_u32 v51, v51, 23, 0x3b800000
	s_delay_alu instid0(VALU_DEP_1)
	v_or3_b32 v50, v85, v51, v50
.LBB6_8762:                             ;   in Loop: Header=BB6_8318 Depth=2
	s_or_b32 exec_lo, exec_lo, s26
	s_delay_alu instid0(VALU_DEP_1) | instskip(SKIP_1) | instid1(VALU_DEP_1)
	v_dual_max_f32 v50, v50, v50 :: v_dual_max_f32 v49, v49, v49
	s_mov_b32 s10, 0
	v_max_f32_e32 v49, v49, v50
	s_branch .LBB6_8764
.LBB6_8763:                             ;   in Loop: Header=BB6_8318 Depth=2
	s_mov_b32 s10, -1
                                        ; implicit-def: $vgpr49
.LBB6_8764:                             ;   in Loop: Header=BB6_8318 Depth=2
	s_delay_alu instid0(SALU_CYCLE_1)
	s_and_b32 vcc_lo, exec_lo, s10
	s_cbranch_vccz .LBB6_8774
; %bb.8765:                             ;   in Loop: Header=BB6_8318 Depth=2
	s_mov_b32 s10, 0
	s_mov_b32 s27, exec_lo
                                        ; implicit-def: $sgpr26
	v_cmpx_lt_i16_e32 0x7f, v48
	s_xor_b32 s27, exec_lo, s27
	s_cbranch_execnz .LBB6_9028
; %bb.8766:                             ;   in Loop: Header=BB6_8318 Depth=2
	s_or_saveexec_b32 s27, s27
	v_mov_b32_e32 v49, s26
	s_xor_b32 exec_lo, exec_lo, s27
	s_cbranch_execnz .LBB6_9031
.LBB6_8767:                             ;   in Loop: Header=BB6_8318 Depth=2
	s_or_b32 exec_lo, exec_lo, s27
	s_and_saveexec_b32 s26, s10
	s_cbranch_execz .LBB6_8769
.LBB6_8768:                             ;   in Loop: Header=BB6_8318 Depth=2
	v_bfe_u32 v49, v17, 24, 3
	s_delay_alu instid0(VALU_DEP_1) | instskip(NEXT) | instid1(VALU_DEP_1)
	v_clz_i32_u32_e32 v50, v49
	v_min_u32_e32 v50, 32, v50
	s_delay_alu instid0(VALU_DEP_1) | instskip(SKIP_1) | instid1(VALU_DEP_2)
	v_subrev_nc_u32_e32 v51, 28, v50
	v_sub_nc_u32_e32 v50, 29, v50
	v_lshlrev_b32_e32 v48, v51, v48
	v_bfe_u32 v51, v17, 27, 4
	v_and_b32_e32 v17, 0x80000000, v17
	s_delay_alu instid0(VALU_DEP_3) | instskip(NEXT) | instid1(VALU_DEP_3)
	v_and_b32_e32 v48, 7, v48
	v_cmp_eq_u32_e32 vcc_lo, 0, v51
	v_cndmask_b32_e32 v50, v51, v50, vcc_lo
	s_delay_alu instid0(VALU_DEP_3) | instskip(NEXT) | instid1(VALU_DEP_2)
	v_cndmask_b32_e32 v48, v49, v48, vcc_lo
	v_lshl_add_u32 v49, v50, 23, 0x3b800000
	s_delay_alu instid0(VALU_DEP_2) | instskip(NEXT) | instid1(VALU_DEP_1)
	v_lshlrev_b32_e32 v48, 20, v48
	v_or3_b32 v49, v17, v49, v48
.LBB6_8769:                             ;   in Loop: Header=BB6_8318 Depth=2
	s_or_b32 exec_lo, exec_lo, s26
	s_mov_b32 s10, 0
	s_mov_b32 s27, exec_lo
                                        ; implicit-def: $sgpr26
	v_cmpx_lt_i16_e32 0x7f, v39
	s_xor_b32 s27, exec_lo, s27
	s_cbranch_execnz .LBB6_9032
; %bb.8770:                             ;   in Loop: Header=BB6_8318 Depth=2
	s_or_saveexec_b32 s27, s27
	v_mov_b32_e32 v17, s26
	s_xor_b32 exec_lo, exec_lo, s27
	s_cbranch_execnz .LBB6_9035
.LBB6_8771:                             ;   in Loop: Header=BB6_8318 Depth=2
	s_or_b32 exec_lo, exec_lo, s27
	s_and_saveexec_b32 s26, s10
	s_cbranch_execz .LBB6_8773
.LBB6_8772:                             ;   in Loop: Header=BB6_8318 Depth=2
	v_bfe_u32 v17, v13, 24, 3
	s_delay_alu instid0(VALU_DEP_1) | instskip(NEXT) | instid1(VALU_DEP_1)
	v_clz_i32_u32_e32 v48, v17
	v_min_u32_e32 v48, 32, v48
	s_delay_alu instid0(VALU_DEP_1) | instskip(SKIP_1) | instid1(VALU_DEP_2)
	v_subrev_nc_u32_e32 v50, 28, v48
	v_sub_nc_u32_e32 v48, 29, v48
	v_lshlrev_b32_e32 v39, v50, v39
	v_bfe_u32 v50, v13, 27, 4
	v_and_b32_e32 v13, 0x80000000, v13
	s_delay_alu instid0(VALU_DEP_2) | instskip(NEXT) | instid1(VALU_DEP_4)
	v_cmp_eq_u32_e32 vcc_lo, 0, v50
	v_dual_cndmask_b32 v48, v50, v48 :: v_dual_and_b32 v39, 7, v39
	s_delay_alu instid0(VALU_DEP_1) | instskip(NEXT) | instid1(VALU_DEP_2)
	v_cndmask_b32_e32 v17, v17, v39, vcc_lo
	v_lshl_add_u32 v39, v48, 23, 0x3b800000
	s_delay_alu instid0(VALU_DEP_2) | instskip(NEXT) | instid1(VALU_DEP_1)
	v_lshlrev_b32_e32 v17, 20, v17
	v_or3_b32 v17, v13, v39, v17
.LBB6_8773:                             ;   in Loop: Header=BB6_8318 Depth=2
	s_or_b32 exec_lo, exec_lo, s26
	s_delay_alu instid0(VALU_DEP_1) | instskip(SKIP_1) | instid1(VALU_DEP_1)
	v_max_f32_e32 v13, v17, v17
	v_max_f32_e32 v17, v49, v49
	v_min_f32_e32 v49, v17, v13
.LBB6_8774:                             ;   in Loop: Header=BB6_8318 Depth=2
	s_delay_alu instid0(VALU_DEP_1) | instskip(NEXT) | instid1(VALU_DEP_1)
	v_and_b32_e32 v13, 0x7f800000, v49
	v_cmp_ne_u32_e32 vcc_lo, 0x7f800000, v13
	v_mov_b32_e32 v13, 0x8000
	s_and_saveexec_b32 s26, vcc_lo
	s_cbranch_execz .LBB6_8317
; %bb.8775:                             ;   in Loop: Header=BB6_8318 Depth=2
	v_mov_b32_e32 v13, 0
	s_mov_b32 s27, exec_lo
	v_cmpx_ne_u32_e32 0, v49
	s_cbranch_execz .LBB6_8316
; %bb.8776:                             ;   in Loop: Header=BB6_8318 Depth=2
	v_bfe_u32 v13, v49, 23, 8
	v_and_b32_e32 v17, 0x7fffff, v49
	s_delay_alu instid0(VALU_DEP_2) | instskip(SKIP_1) | instid1(VALU_DEP_3)
	v_sub_nc_u32_e32 v39, 0x78, v13
	v_cmp_gt_u32_e32 vcc_lo, 0x79, v13
	v_or_b32_e32 v48, 0x800000, v17
	s_delay_alu instid0(VALU_DEP_3) | instskip(SKIP_2) | instid1(VALU_DEP_3)
	v_cndmask_b32_e32 v39, 0, v39, vcc_lo
	v_cmp_eq_u32_e32 vcc_lo, 0, v13
	v_add_nc_u32_e32 v13, 0xffffff89, v13
	v_cndmask_b32_e64 v39, v39, 0x77, vcc_lo
	v_cndmask_b32_e32 v17, v48, v17, vcc_lo
	s_delay_alu instid0(VALU_DEP_3) | instskip(NEXT) | instid1(VALU_DEP_3)
	v_cndmask_b32_e64 v13, v13, 0xffffff8a, vcc_lo
	v_lshl_add_u32 v48, 0x100000, v39, -1
	s_delay_alu instid0(VALU_DEP_3) | instskip(SKIP_1) | instid1(VALU_DEP_4)
	v_lshrrev_b32_e32 v50, v39, v17
	v_lshlrev_b32_e64 v85, v39, 0x80000
	v_add_nc_u32_e32 v39, v39, v13
	s_delay_alu instid0(VALU_DEP_4) | instskip(NEXT) | instid1(VALU_DEP_4)
	v_and_b32_e32 v17, v48, v17
	v_bfe_u32 v51, v50, 20, 1
	s_delay_alu instid0(VALU_DEP_2) | instskip(NEXT) | instid1(VALU_DEP_2)
	v_cmp_eq_u32_e64 s10, v17, v85
	v_add_nc_u32_e32 v48, -1, v51
	s_delay_alu instid0(VALU_DEP_1) | instskip(SKIP_2) | instid1(VALU_DEP_2)
	v_cndmask_b32_e64 v17, 0, v48, s10
	v_lshrrev_b32_e32 v48, 23, v50
	s_mov_b32 s10, exec_lo
	v_add_nc_u32_e32 v17, v17, v50
	s_delay_alu instid0(VALU_DEP_2) | instskip(NEXT) | instid1(VALU_DEP_2)
	v_xor_b32_e32 v48, 1, v48
	v_and_b32_e32 v13, 0xfffff, v17
	s_delay_alu instid0(VALU_DEP_1) | instskip(NEXT) | instid1(VALU_DEP_3)
	v_add_nc_u32_e32 v17, v13, v50
                                        ; implicit-def: $vgpr13
	v_cmpx_ne_u32_e64 v39, v48
	s_xor_b32 s10, exec_lo, s10
; %bb.8777:                             ;   in Loop: Header=BB6_8318 Depth=2
	s_delay_alu instid0(VALU_DEP_2) | instskip(SKIP_2) | instid1(VALU_DEP_2)
	v_cmp_lt_u32_e32 vcc_lo, 0xffffff, v17
	v_sub_nc_u32_e32 v13, v39, v48
	v_cndmask_b32_e64 v39, 0, 1, vcc_lo
	v_add_co_ci_u32_e32 v13, vcc_lo, 0, v13, vcc_lo
	s_delay_alu instid0(VALU_DEP_2)
	v_lshrrev_b32_e32 v17, v39, v17
; %bb.8778:                             ;   in Loop: Header=BB6_8318 Depth=2
	s_and_not1_saveexec_b32 s10, s10
	s_cbranch_execz .LBB6_8315
; %bb.8779:                             ;   in Loop: Header=BB6_8318 Depth=2
	s_delay_alu instid0(VALU_DEP_1)
	v_bfe_u32 v13, v17, 23, 1
	s_branch .LBB6_8315
.LBB6_8780:                             ;   in Loop: Header=BB6_8318 Depth=2
	s_mov_b32 s10, -1
	s_mov_b32 s28, exec_lo
                                        ; implicit-def: $sgpr26
	v_cmpx_eq_u16_e32 0x80, v29
; %bb.8781:                             ;   in Loop: Header=BB6_8318 Depth=2
	s_mov_b32 s26, 0x7f800001
	s_xor_b32 s10, exec_lo, -1
; %bb.8782:                             ;   in Loop: Header=BB6_8318 Depth=2
	s_or_b32 exec_lo, exec_lo, s28
	s_delay_alu instid0(SALU_CYCLE_1)
	s_and_b32 s10, s10, exec_lo
                                        ; implicit-def: $vgpr29
	s_or_saveexec_b32 s27, s27
	v_mov_b32_e32 v28, s26
	s_xor_b32 exec_lo, exec_lo, s27
	s_cbranch_execz .LBB6_8321
.LBB6_8783:                             ;   in Loop: Header=BB6_8318 Depth=2
	v_cmp_ne_u16_e32 vcc_lo, 0, v29
	v_mov_b32_e32 v28, 0
	s_and_not1_b32 s10, s10, exec_lo
	s_and_b32 s26, vcc_lo, exec_lo
	s_delay_alu instid0(SALU_CYCLE_1)
	s_or_b32 s10, s10, s26
	s_or_b32 exec_lo, exec_lo, s27
	s_and_saveexec_b32 s26, s10
	s_cbranch_execnz .LBB6_8322
	s_branch .LBB6_8323
.LBB6_8784:                             ;   in Loop: Header=BB6_8318 Depth=2
	s_mov_b32 s10, -1
	s_mov_b32 s28, exec_lo
                                        ; implicit-def: $sgpr26
	v_cmpx_eq_u16_e32 0x80, v32
; %bb.8785:                             ;   in Loop: Header=BB6_8318 Depth=2
	s_mov_b32 s26, 0x7f800001
	s_xor_b32 s10, exec_lo, -1
; %bb.8786:                             ;   in Loop: Header=BB6_8318 Depth=2
	s_or_b32 exec_lo, exec_lo, s28
	s_delay_alu instid0(SALU_CYCLE_1)
	s_and_b32 s10, s10, exec_lo
                                        ; implicit-def: $vgpr32
	s_or_saveexec_b32 s27, s27
	v_mov_b32_e32 v29, s26
	s_xor_b32 exec_lo, exec_lo, s27
	s_cbranch_execz .LBB6_8325
.LBB6_8787:                             ;   in Loop: Header=BB6_8318 Depth=2
	v_cmp_ne_u16_e32 vcc_lo, 0, v32
	v_mov_b32_e32 v29, 0
	s_and_not1_b32 s10, s10, exec_lo
	s_and_b32 s26, vcc_lo, exec_lo
	s_delay_alu instid0(SALU_CYCLE_1)
	s_or_b32 s10, s10, s26
	s_or_b32 exec_lo, exec_lo, s27
	s_and_saveexec_b32 s26, s10
	s_cbranch_execnz .LBB6_8326
	s_branch .LBB6_8327
.LBB6_8788:                             ;   in Loop: Header=BB6_8318 Depth=2
	s_mov_b32 s10, -1
	s_mov_b32 s28, exec_lo
                                        ; implicit-def: $sgpr26
	v_cmpx_eq_u16_e32 0x80, v29
; %bb.8789:                             ;   in Loop: Header=BB6_8318 Depth=2
	s_mov_b32 s26, 0x7f800001
	s_xor_b32 s10, exec_lo, -1
; %bb.8790:                             ;   in Loop: Header=BB6_8318 Depth=2
	s_or_b32 exec_lo, exec_lo, s28
	s_delay_alu instid0(SALU_CYCLE_1)
	s_and_b32 s10, s10, exec_lo
                                        ; implicit-def: $vgpr29
	s_or_saveexec_b32 s27, s27
	v_mov_b32_e32 v28, s26
	s_xor_b32 exec_lo, exec_lo, s27
	s_cbranch_execz .LBB6_8332
.LBB6_8791:                             ;   in Loop: Header=BB6_8318 Depth=2
	v_cmp_ne_u16_e32 vcc_lo, 0, v29
	v_mov_b32_e32 v28, 0
	s_and_not1_b32 s10, s10, exec_lo
	s_and_b32 s26, vcc_lo, exec_lo
	s_delay_alu instid0(SALU_CYCLE_1)
	s_or_b32 s10, s10, s26
	s_or_b32 exec_lo, exec_lo, s27
	s_and_saveexec_b32 s26, s10
	s_cbranch_execnz .LBB6_8333
	s_branch .LBB6_8334
.LBB6_8792:                             ;   in Loop: Header=BB6_8318 Depth=2
	s_mov_b32 s10, -1
	s_mov_b32 s28, exec_lo
                                        ; implicit-def: $sgpr26
	v_cmpx_eq_u16_e32 0x80, v32
; %bb.8793:                             ;   in Loop: Header=BB6_8318 Depth=2
	s_mov_b32 s26, 0x7f800001
	s_xor_b32 s10, exec_lo, -1
; %bb.8794:                             ;   in Loop: Header=BB6_8318 Depth=2
	s_or_b32 exec_lo, exec_lo, s28
	s_delay_alu instid0(SALU_CYCLE_1)
	s_and_b32 s10, s10, exec_lo
                                        ; implicit-def: $vgpr32
	s_or_saveexec_b32 s27, s27
	v_mov_b32_e32 v29, s26
	s_xor_b32 exec_lo, exec_lo, s27
	s_cbranch_execz .LBB6_8336
.LBB6_8795:                             ;   in Loop: Header=BB6_8318 Depth=2
	v_cmp_ne_u16_e32 vcc_lo, 0, v32
	v_mov_b32_e32 v29, 0
	s_and_not1_b32 s10, s10, exec_lo
	s_and_b32 s26, vcc_lo, exec_lo
	s_delay_alu instid0(SALU_CYCLE_1)
	s_or_b32 s10, s10, s26
	s_or_b32 exec_lo, exec_lo, s27
	s_and_saveexec_b32 s26, s10
	s_cbranch_execnz .LBB6_8337
	s_branch .LBB6_8338
.LBB6_8796:                             ;   in Loop: Header=BB6_8318 Depth=2
	s_mov_b32 s10, -1
	s_mov_b32 s28, exec_lo
                                        ; implicit-def: $sgpr26
	v_cmpx_eq_u16_e32 0x80, v32
; %bb.8797:                             ;   in Loop: Header=BB6_8318 Depth=2
	s_mov_b32 s26, 0x7f800001
	s_xor_b32 s10, exec_lo, -1
; %bb.8798:                             ;   in Loop: Header=BB6_8318 Depth=2
	s_or_b32 exec_lo, exec_lo, s28
	s_delay_alu instid0(SALU_CYCLE_1)
	s_and_b32 s10, s10, exec_lo
	s_or_saveexec_b32 s27, s27
	v_mov_b32_e32 v33, s26
	s_xor_b32 exec_lo, exec_lo, s27
	s_cbranch_execz .LBB6_8350
.LBB6_8799:                             ;   in Loop: Header=BB6_8318 Depth=2
	v_cmp_ne_u16_e32 vcc_lo, 0, v32
	v_mov_b32_e32 v33, 0
	s_and_not1_b32 s10, s10, exec_lo
	s_and_b32 s26, vcc_lo, exec_lo
	s_delay_alu instid0(SALU_CYCLE_1)
	s_or_b32 s10, s10, s26
	s_or_b32 exec_lo, exec_lo, s27
	s_and_saveexec_b32 s26, s10
	s_cbranch_execnz .LBB6_8351
	s_branch .LBB6_8352
.LBB6_8800:                             ;   in Loop: Header=BB6_8318 Depth=2
	s_mov_b32 s10, -1
	s_mov_b32 s28, exec_lo
                                        ; implicit-def: $sgpr26
	v_cmpx_eq_u16_e32 0x80, v29
; %bb.8801:                             ;   in Loop: Header=BB6_8318 Depth=2
	s_mov_b32 s26, 0x7f800001
	s_xor_b32 s10, exec_lo, -1
; %bb.8802:                             ;   in Loop: Header=BB6_8318 Depth=2
	s_or_b32 exec_lo, exec_lo, s28
	s_delay_alu instid0(SALU_CYCLE_1)
	s_and_b32 s10, s10, exec_lo
	s_or_saveexec_b32 s27, s27
	v_mov_b32_e32 v34, s26
	s_xor_b32 exec_lo, exec_lo, s27
	s_cbranch_execz .LBB6_8354
.LBB6_8803:                             ;   in Loop: Header=BB6_8318 Depth=2
	v_cmp_ne_u16_e32 vcc_lo, 0, v29
	v_mov_b32_e32 v34, 0
	s_and_not1_b32 s10, s10, exec_lo
	s_and_b32 s26, vcc_lo, exec_lo
	s_delay_alu instid0(SALU_CYCLE_1)
	s_or_b32 s10, s10, s26
	s_or_b32 exec_lo, exec_lo, s27
	s_and_saveexec_b32 s26, s10
	s_cbranch_execnz .LBB6_8355
	s_branch .LBB6_8356
.LBB6_8804:                             ;   in Loop: Header=BB6_8318 Depth=2
	s_mov_b32 s10, -1
	s_mov_b32 s28, exec_lo
                                        ; implicit-def: $sgpr26
	v_cmpx_eq_u16_e32 0x80, v32
; %bb.8805:                             ;   in Loop: Header=BB6_8318 Depth=2
	s_mov_b32 s26, 0x7f800001
	s_xor_b32 s10, exec_lo, -1
; %bb.8806:                             ;   in Loop: Header=BB6_8318 Depth=2
	s_or_b32 exec_lo, exec_lo, s28
	s_delay_alu instid0(SALU_CYCLE_1)
	s_and_b32 s10, s10, exec_lo
	s_or_saveexec_b32 s27, s27
	v_mov_b32_e32 v33, s26
	s_xor_b32 exec_lo, exec_lo, s27
	s_cbranch_execz .LBB6_8361
.LBB6_8807:                             ;   in Loop: Header=BB6_8318 Depth=2
	v_cmp_ne_u16_e32 vcc_lo, 0, v32
	v_mov_b32_e32 v33, 0
	s_and_not1_b32 s10, s10, exec_lo
	s_and_b32 s26, vcc_lo, exec_lo
	s_delay_alu instid0(SALU_CYCLE_1)
	s_or_b32 s10, s10, s26
	s_or_b32 exec_lo, exec_lo, s27
	s_and_saveexec_b32 s26, s10
	s_cbranch_execnz .LBB6_8362
	s_branch .LBB6_8363
.LBB6_8808:                             ;   in Loop: Header=BB6_8318 Depth=2
	s_mov_b32 s10, -1
	s_mov_b32 s28, exec_lo
                                        ; implicit-def: $sgpr26
	v_cmpx_eq_u16_e32 0x80, v29
; %bb.8809:                             ;   in Loop: Header=BB6_8318 Depth=2
	s_mov_b32 s26, 0x7f800001
	s_xor_b32 s10, exec_lo, -1
; %bb.8810:                             ;   in Loop: Header=BB6_8318 Depth=2
	s_or_b32 exec_lo, exec_lo, s28
	s_delay_alu instid0(SALU_CYCLE_1)
	s_and_b32 s10, s10, exec_lo
	s_or_saveexec_b32 s27, s27
	v_mov_b32_e32 v32, s26
	s_xor_b32 exec_lo, exec_lo, s27
	s_cbranch_execz .LBB6_8365
.LBB6_8811:                             ;   in Loop: Header=BB6_8318 Depth=2
	v_cmp_ne_u16_e32 vcc_lo, 0, v29
	v_mov_b32_e32 v32, 0
	s_and_not1_b32 s10, s10, exec_lo
	s_and_b32 s26, vcc_lo, exec_lo
	s_delay_alu instid0(SALU_CYCLE_1)
	s_or_b32 s10, s10, s26
	s_or_b32 exec_lo, exec_lo, s27
	s_and_saveexec_b32 s26, s10
	s_cbranch_execnz .LBB6_8366
	s_branch .LBB6_8367
.LBB6_8812:                             ;   in Loop: Header=BB6_8318 Depth=2
	s_mov_b32 s10, -1
	s_mov_b32 s28, exec_lo
                                        ; implicit-def: $sgpr26
	v_cmpx_eq_u16_e32 0x80, v35
; %bb.8813:                             ;   in Loop: Header=BB6_8318 Depth=2
	s_mov_b32 s26, 0x7f800001
	s_xor_b32 s10, exec_lo, -1
; %bb.8814:                             ;   in Loop: Header=BB6_8318 Depth=2
	s_or_b32 exec_lo, exec_lo, s28
	s_delay_alu instid0(SALU_CYCLE_1)
	s_and_b32 s10, s10, exec_lo
                                        ; implicit-def: $vgpr35
	s_or_saveexec_b32 s27, s27
	v_mov_b32_e32 v34, s26
	s_xor_b32 exec_lo, exec_lo, s27
	s_cbranch_execz .LBB6_8379
.LBB6_8815:                             ;   in Loop: Header=BB6_8318 Depth=2
	v_cmp_ne_u16_e32 vcc_lo, 0, v35
	v_mov_b32_e32 v34, 0
	s_and_not1_b32 s10, s10, exec_lo
	s_and_b32 s26, vcc_lo, exec_lo
	s_delay_alu instid0(SALU_CYCLE_1)
	s_or_b32 s10, s10, s26
	s_or_b32 exec_lo, exec_lo, s27
	s_and_saveexec_b32 s26, s10
	s_cbranch_execnz .LBB6_8380
	s_branch .LBB6_8381
.LBB6_8816:                             ;   in Loop: Header=BB6_8318 Depth=2
	s_mov_b32 s10, -1
	s_mov_b32 s28, exec_lo
                                        ; implicit-def: $sgpr26
	v_cmpx_eq_u16_e32 0x80, v36
; %bb.8817:                             ;   in Loop: Header=BB6_8318 Depth=2
	s_mov_b32 s26, 0x7f800001
	s_xor_b32 s10, exec_lo, -1
; %bb.8818:                             ;   in Loop: Header=BB6_8318 Depth=2
	s_or_b32 exec_lo, exec_lo, s28
	s_delay_alu instid0(SALU_CYCLE_1)
	s_and_b32 s10, s10, exec_lo
                                        ; implicit-def: $vgpr36
	s_or_saveexec_b32 s27, s27
	v_mov_b32_e32 v35, s26
	s_xor_b32 exec_lo, exec_lo, s27
	s_cbranch_execz .LBB6_8383
.LBB6_8819:                             ;   in Loop: Header=BB6_8318 Depth=2
	v_cmp_ne_u16_e32 vcc_lo, 0, v36
	v_mov_b32_e32 v35, 0
	s_and_not1_b32 s10, s10, exec_lo
	s_and_b32 s26, vcc_lo, exec_lo
	s_delay_alu instid0(SALU_CYCLE_1)
	s_or_b32 s10, s10, s26
	s_or_b32 exec_lo, exec_lo, s27
	s_and_saveexec_b32 s26, s10
	s_cbranch_execnz .LBB6_8384
	s_branch .LBB6_8385
.LBB6_8820:                             ;   in Loop: Header=BB6_8318 Depth=2
	s_mov_b32 s10, -1
	s_mov_b32 s28, exec_lo
                                        ; implicit-def: $sgpr26
	v_cmpx_eq_u16_e32 0x80, v35
; %bb.8821:                             ;   in Loop: Header=BB6_8318 Depth=2
	s_mov_b32 s26, 0x7f800001
	s_xor_b32 s10, exec_lo, -1
; %bb.8822:                             ;   in Loop: Header=BB6_8318 Depth=2
	s_or_b32 exec_lo, exec_lo, s28
	s_delay_alu instid0(SALU_CYCLE_1)
	s_and_b32 s10, s10, exec_lo
                                        ; implicit-def: $vgpr35
	s_or_saveexec_b32 s27, s27
	v_mov_b32_e32 v34, s26
	s_xor_b32 exec_lo, exec_lo, s27
	s_cbranch_execz .LBB6_8390
.LBB6_8823:                             ;   in Loop: Header=BB6_8318 Depth=2
	v_cmp_ne_u16_e32 vcc_lo, 0, v35
	v_mov_b32_e32 v34, 0
	s_and_not1_b32 s10, s10, exec_lo
	s_and_b32 s26, vcc_lo, exec_lo
	s_delay_alu instid0(SALU_CYCLE_1)
	s_or_b32 s10, s10, s26
	s_or_b32 exec_lo, exec_lo, s27
	s_and_saveexec_b32 s26, s10
	s_cbranch_execnz .LBB6_8391
	s_branch .LBB6_8392
.LBB6_8824:                             ;   in Loop: Header=BB6_8318 Depth=2
	s_mov_b32 s10, -1
	s_mov_b32 s28, exec_lo
                                        ; implicit-def: $sgpr26
	v_cmpx_eq_u16_e32 0x80, v35
; %bb.8825:                             ;   in Loop: Header=BB6_8318 Depth=2
	s_mov_b32 s26, 0x7f800001
	s_xor_b32 s10, exec_lo, -1
; %bb.8826:                             ;   in Loop: Header=BB6_8318 Depth=2
	s_or_b32 exec_lo, exec_lo, s28
	s_delay_alu instid0(SALU_CYCLE_1)
	s_and_b32 s10, s10, exec_lo
                                        ; implicit-def: $vgpr35
	s_or_saveexec_b32 s27, s27
	v_mov_b32_e32 v33, s26
	s_xor_b32 exec_lo, exec_lo, s27
	s_cbranch_execz .LBB6_8394
.LBB6_8827:                             ;   in Loop: Header=BB6_8318 Depth=2
	v_cmp_ne_u16_e32 vcc_lo, 0, v35
	v_mov_b32_e32 v33, 0
	s_and_not1_b32 s10, s10, exec_lo
	s_and_b32 s26, vcc_lo, exec_lo
	s_delay_alu instid0(SALU_CYCLE_1)
	s_or_b32 s10, s10, s26
	s_or_b32 exec_lo, exec_lo, s27
	s_and_saveexec_b32 s26, s10
	s_cbranch_execnz .LBB6_8395
	s_branch .LBB6_8396
.LBB6_8828:                             ;   in Loop: Header=BB6_8318 Depth=2
	s_mov_b32 s10, -1
	s_mov_b32 s28, exec_lo
                                        ; implicit-def: $sgpr26
	v_cmpx_eq_u16_e32 0x80, v34
; %bb.8829:                             ;   in Loop: Header=BB6_8318 Depth=2
	s_mov_b32 s26, 0x7f800001
	s_xor_b32 s10, exec_lo, -1
; %bb.8830:                             ;   in Loop: Header=BB6_8318 Depth=2
	s_or_b32 exec_lo, exec_lo, s28
	s_delay_alu instid0(SALU_CYCLE_1)
	s_and_b32 s10, s10, exec_lo
	s_or_saveexec_b32 s27, s27
	v_mov_b32_e32 v35, s26
	s_xor_b32 exec_lo, exec_lo, s27
	s_cbranch_execz .LBB6_8408
.LBB6_8831:                             ;   in Loop: Header=BB6_8318 Depth=2
	v_cmp_ne_u16_e32 vcc_lo, 0, v34
	v_mov_b32_e32 v35, 0
	s_and_not1_b32 s10, s10, exec_lo
	s_and_b32 s26, vcc_lo, exec_lo
	s_delay_alu instid0(SALU_CYCLE_1)
	s_or_b32 s10, s10, s26
	s_or_b32 exec_lo, exec_lo, s27
	s_and_saveexec_b32 s26, s10
	s_cbranch_execnz .LBB6_8409
	s_branch .LBB6_8410
.LBB6_8832:                             ;   in Loop: Header=BB6_8318 Depth=2
	s_mov_b32 s10, -1
	s_mov_b32 s28, exec_lo
                                        ; implicit-def: $sgpr26
	v_cmpx_eq_u16_e32 0x80, v33
; %bb.8833:                             ;   in Loop: Header=BB6_8318 Depth=2
	s_mov_b32 s26, 0x7f800001
	s_xor_b32 s10, exec_lo, -1
; %bb.8834:                             ;   in Loop: Header=BB6_8318 Depth=2
	s_or_b32 exec_lo, exec_lo, s28
	s_delay_alu instid0(SALU_CYCLE_1)
	s_and_b32 s10, s10, exec_lo
	s_or_saveexec_b32 s27, s27
	v_mov_b32_e32 v36, s26
	s_xor_b32 exec_lo, exec_lo, s27
	s_cbranch_execz .LBB6_8412
.LBB6_8835:                             ;   in Loop: Header=BB6_8318 Depth=2
	v_cmp_ne_u16_e32 vcc_lo, 0, v33
	v_mov_b32_e32 v36, 0
	s_and_not1_b32 s10, s10, exec_lo
	s_and_b32 s26, vcc_lo, exec_lo
	s_delay_alu instid0(SALU_CYCLE_1)
	s_or_b32 s10, s10, s26
	s_or_b32 exec_lo, exec_lo, s27
	s_and_saveexec_b32 s26, s10
	s_cbranch_execnz .LBB6_8413
	s_branch .LBB6_8414
.LBB6_8836:                             ;   in Loop: Header=BB6_8318 Depth=2
	s_mov_b32 s10, -1
	s_mov_b32 s28, exec_lo
                                        ; implicit-def: $sgpr26
	v_cmpx_eq_u16_e32 0x80, v34
; %bb.8837:                             ;   in Loop: Header=BB6_8318 Depth=2
	s_mov_b32 s26, 0x7f800001
	s_xor_b32 s10, exec_lo, -1
; %bb.8838:                             ;   in Loop: Header=BB6_8318 Depth=2
	s_or_b32 exec_lo, exec_lo, s28
	s_delay_alu instid0(SALU_CYCLE_1)
	s_and_b32 s10, s10, exec_lo
	s_or_saveexec_b32 s27, s27
	v_mov_b32_e32 v35, s26
	s_xor_b32 exec_lo, exec_lo, s27
	s_cbranch_execz .LBB6_8419
.LBB6_8839:                             ;   in Loop: Header=BB6_8318 Depth=2
	v_cmp_ne_u16_e32 vcc_lo, 0, v34
	v_mov_b32_e32 v35, 0
	s_and_not1_b32 s10, s10, exec_lo
	s_and_b32 s26, vcc_lo, exec_lo
	s_delay_alu instid0(SALU_CYCLE_1)
	s_or_b32 s10, s10, s26
	s_or_b32 exec_lo, exec_lo, s27
	s_and_saveexec_b32 s26, s10
	s_cbranch_execnz .LBB6_8420
	s_branch .LBB6_8421
.LBB6_8840:                             ;   in Loop: Header=BB6_8318 Depth=2
	s_mov_b32 s10, -1
	s_mov_b32 s28, exec_lo
                                        ; implicit-def: $sgpr26
	v_cmpx_eq_u16_e32 0x80, v33
; %bb.8841:                             ;   in Loop: Header=BB6_8318 Depth=2
	s_mov_b32 s26, 0x7f800001
	s_xor_b32 s10, exec_lo, -1
; %bb.8842:                             ;   in Loop: Header=BB6_8318 Depth=2
	s_or_b32 exec_lo, exec_lo, s28
	s_delay_alu instid0(SALU_CYCLE_1)
	s_and_b32 s10, s10, exec_lo
	s_or_saveexec_b32 s27, s27
	v_mov_b32_e32 v14, s26
	s_xor_b32 exec_lo, exec_lo, s27
	s_cbranch_execz .LBB6_8423
.LBB6_8843:                             ;   in Loop: Header=BB6_8318 Depth=2
	v_cmp_ne_u16_e32 vcc_lo, 0, v33
	v_mov_b32_e32 v14, 0
	s_and_not1_b32 s10, s10, exec_lo
	s_and_b32 s26, vcc_lo, exec_lo
	s_delay_alu instid0(SALU_CYCLE_1)
	s_or_b32 s10, s10, s26
	s_or_b32 exec_lo, exec_lo, s27
	s_and_saveexec_b32 s26, s10
	s_cbranch_execnz .LBB6_8424
	s_branch .LBB6_8425
.LBB6_8844:                             ;   in Loop: Header=BB6_8318 Depth=2
	s_mov_b32 s10, -1
	s_mov_b32 s28, exec_lo
                                        ; implicit-def: $sgpr26
	v_cmpx_eq_u16_e32 0x80, v33
; %bb.8845:                             ;   in Loop: Header=BB6_8318 Depth=2
	s_mov_b32 s26, 0x7f800001
	s_xor_b32 s10, exec_lo, -1
; %bb.8846:                             ;   in Loop: Header=BB6_8318 Depth=2
	s_or_b32 exec_lo, exec_lo, s28
	s_delay_alu instid0(SALU_CYCLE_1)
	s_and_b32 s10, s10, exec_lo
                                        ; implicit-def: $vgpr33
	s_or_saveexec_b32 s27, s27
	v_mov_b32_e32 v14, s26
	s_xor_b32 exec_lo, exec_lo, s27
	s_cbranch_execz .LBB6_8437
.LBB6_8847:                             ;   in Loop: Header=BB6_8318 Depth=2
	v_cmp_ne_u16_e32 vcc_lo, 0, v33
	v_mov_b32_e32 v14, 0
	s_and_not1_b32 s10, s10, exec_lo
	s_and_b32 s26, vcc_lo, exec_lo
	s_delay_alu instid0(SALU_CYCLE_1)
	s_or_b32 s10, s10, s26
	s_or_b32 exec_lo, exec_lo, s27
	s_and_saveexec_b32 s26, s10
	s_cbranch_execnz .LBB6_8438
	s_branch .LBB6_8439
.LBB6_8848:                             ;   in Loop: Header=BB6_8318 Depth=2
	s_mov_b32 s10, -1
	s_mov_b32 s28, exec_lo
                                        ; implicit-def: $sgpr26
	v_cmpx_eq_u16_e32 0x80, v34
; %bb.8849:                             ;   in Loop: Header=BB6_8318 Depth=2
	s_mov_b32 s26, 0x7f800001
	s_xor_b32 s10, exec_lo, -1
; %bb.8850:                             ;   in Loop: Header=BB6_8318 Depth=2
	s_or_b32 exec_lo, exec_lo, s28
	s_delay_alu instid0(SALU_CYCLE_1)
	s_and_b32 s10, s10, exec_lo
                                        ; implicit-def: $vgpr34
	s_or_saveexec_b32 s27, s27
	v_mov_b32_e32 v33, s26
	s_xor_b32 exec_lo, exec_lo, s27
	s_cbranch_execz .LBB6_8441
.LBB6_8851:                             ;   in Loop: Header=BB6_8318 Depth=2
	v_cmp_ne_u16_e32 vcc_lo, 0, v34
	v_mov_b32_e32 v33, 0
	s_and_not1_b32 s10, s10, exec_lo
	s_and_b32 s26, vcc_lo, exec_lo
	s_delay_alu instid0(SALU_CYCLE_1)
	s_or_b32 s10, s10, s26
	s_or_b32 exec_lo, exec_lo, s27
	s_and_saveexec_b32 s26, s10
	s_cbranch_execnz .LBB6_8442
	s_branch .LBB6_8443
.LBB6_8852:                             ;   in Loop: Header=BB6_8318 Depth=2
	s_mov_b32 s10, -1
	s_mov_b32 s28, exec_lo
                                        ; implicit-def: $sgpr26
	v_cmpx_eq_u16_e32 0x80, v33
; %bb.8853:                             ;   in Loop: Header=BB6_8318 Depth=2
	s_mov_b32 s26, 0x7f800001
	s_xor_b32 s10, exec_lo, -1
; %bb.8854:                             ;   in Loop: Header=BB6_8318 Depth=2
	s_or_b32 exec_lo, exec_lo, s28
	s_delay_alu instid0(SALU_CYCLE_1)
	s_and_b32 s10, s10, exec_lo
                                        ; implicit-def: $vgpr33
	s_or_saveexec_b32 s27, s27
	v_mov_b32_e32 v14, s26
	s_xor_b32 exec_lo, exec_lo, s27
	s_cbranch_execz .LBB6_8448
.LBB6_8855:                             ;   in Loop: Header=BB6_8318 Depth=2
	v_cmp_ne_u16_e32 vcc_lo, 0, v33
	v_mov_b32_e32 v14, 0
	s_and_not1_b32 s10, s10, exec_lo
	s_and_b32 s26, vcc_lo, exec_lo
	s_delay_alu instid0(SALU_CYCLE_1)
	s_or_b32 s10, s10, s26
	s_or_b32 exec_lo, exec_lo, s27
	s_and_saveexec_b32 s26, s10
	s_cbranch_execnz .LBB6_8449
	s_branch .LBB6_8450
.LBB6_8856:                             ;   in Loop: Header=BB6_8318 Depth=2
	s_mov_b32 s10, -1
	s_mov_b32 s28, exec_lo
                                        ; implicit-def: $sgpr26
	v_cmpx_eq_u16_e32 0x80, v34
; %bb.8857:                             ;   in Loop: Header=BB6_8318 Depth=2
	s_mov_b32 s26, 0x7f800001
	s_xor_b32 s10, exec_lo, -1
; %bb.8858:                             ;   in Loop: Header=BB6_8318 Depth=2
	s_or_b32 exec_lo, exec_lo, s28
	s_delay_alu instid0(SALU_CYCLE_1)
	s_and_b32 s10, s10, exec_lo
                                        ; implicit-def: $vgpr34
	s_or_saveexec_b32 s27, s27
	v_mov_b32_e32 v33, s26
	s_xor_b32 exec_lo, exec_lo, s27
	s_cbranch_execz .LBB6_8452
.LBB6_8859:                             ;   in Loop: Header=BB6_8318 Depth=2
	v_cmp_ne_u16_e32 vcc_lo, 0, v34
	v_mov_b32_e32 v33, 0
	s_and_not1_b32 s10, s10, exec_lo
	s_and_b32 s26, vcc_lo, exec_lo
	s_delay_alu instid0(SALU_CYCLE_1)
	s_or_b32 s10, s10, s26
	s_or_b32 exec_lo, exec_lo, s27
	s_and_saveexec_b32 s26, s10
	s_cbranch_execnz .LBB6_8453
	s_branch .LBB6_8454
.LBB6_8860:                             ;   in Loop: Header=BB6_8318 Depth=2
	s_mov_b32 s10, -1
	s_mov_b32 s28, exec_lo
                                        ; implicit-def: $sgpr26
	v_cmpx_eq_u16_e32 0x80, v34
; %bb.8861:                             ;   in Loop: Header=BB6_8318 Depth=2
	s_mov_b32 s26, 0x7f800001
	s_xor_b32 s10, exec_lo, -1
; %bb.8862:                             ;   in Loop: Header=BB6_8318 Depth=2
	s_or_b32 exec_lo, exec_lo, s28
	s_delay_alu instid0(SALU_CYCLE_1)
	s_and_b32 s10, s10, exec_lo
	s_or_saveexec_b32 s27, s27
	v_mov_b32_e32 v35, s26
	s_xor_b32 exec_lo, exec_lo, s27
	s_cbranch_execz .LBB6_8466
.LBB6_8863:                             ;   in Loop: Header=BB6_8318 Depth=2
	v_cmp_ne_u16_e32 vcc_lo, 0, v34
	v_mov_b32_e32 v35, 0
	s_and_not1_b32 s10, s10, exec_lo
	s_and_b32 s26, vcc_lo, exec_lo
	s_delay_alu instid0(SALU_CYCLE_1)
	s_or_b32 s10, s10, s26
	s_or_b32 exec_lo, exec_lo, s27
	s_and_saveexec_b32 s26, s10
	s_cbranch_execnz .LBB6_8467
	s_branch .LBB6_8468
.LBB6_8864:                             ;   in Loop: Header=BB6_8318 Depth=2
	s_mov_b32 s10, -1
	s_mov_b32 s28, exec_lo
                                        ; implicit-def: $sgpr26
	v_cmpx_eq_u16_e32 0x80, v33
; %bb.8865:                             ;   in Loop: Header=BB6_8318 Depth=2
	s_mov_b32 s26, 0x7f800001
	s_xor_b32 s10, exec_lo, -1
; %bb.8866:                             ;   in Loop: Header=BB6_8318 Depth=2
	s_or_b32 exec_lo, exec_lo, s28
	s_delay_alu instid0(SALU_CYCLE_1)
	s_and_b32 s10, s10, exec_lo
	s_or_saveexec_b32 s27, s27
	v_mov_b32_e32 v36, s26
	s_xor_b32 exec_lo, exec_lo, s27
	s_cbranch_execz .LBB6_8470
.LBB6_8867:                             ;   in Loop: Header=BB6_8318 Depth=2
	v_cmp_ne_u16_e32 vcc_lo, 0, v33
	v_mov_b32_e32 v36, 0
	s_and_not1_b32 s10, s10, exec_lo
	s_and_b32 s26, vcc_lo, exec_lo
	s_delay_alu instid0(SALU_CYCLE_1)
	s_or_b32 s10, s10, s26
	s_or_b32 exec_lo, exec_lo, s27
	s_and_saveexec_b32 s26, s10
	s_cbranch_execnz .LBB6_8471
	s_branch .LBB6_8472
.LBB6_8868:                             ;   in Loop: Header=BB6_8318 Depth=2
	s_mov_b32 s10, -1
	s_mov_b32 s28, exec_lo
                                        ; implicit-def: $sgpr26
	v_cmpx_eq_u16_e32 0x80, v34
; %bb.8869:                             ;   in Loop: Header=BB6_8318 Depth=2
	s_mov_b32 s26, 0x7f800001
	s_xor_b32 s10, exec_lo, -1
; %bb.8870:                             ;   in Loop: Header=BB6_8318 Depth=2
	s_or_b32 exec_lo, exec_lo, s28
	s_delay_alu instid0(SALU_CYCLE_1)
	s_and_b32 s10, s10, exec_lo
	s_or_saveexec_b32 s27, s27
	v_mov_b32_e32 v35, s26
	s_xor_b32 exec_lo, exec_lo, s27
	s_cbranch_execz .LBB6_8477
.LBB6_8871:                             ;   in Loop: Header=BB6_8318 Depth=2
	v_cmp_ne_u16_e32 vcc_lo, 0, v34
	v_mov_b32_e32 v35, 0
	s_and_not1_b32 s10, s10, exec_lo
	s_and_b32 s26, vcc_lo, exec_lo
	s_delay_alu instid0(SALU_CYCLE_1)
	s_or_b32 s10, s10, s26
	s_or_b32 exec_lo, exec_lo, s27
	s_and_saveexec_b32 s26, s10
	s_cbranch_execnz .LBB6_8478
	s_branch .LBB6_8479
.LBB6_8872:                             ;   in Loop: Header=BB6_8318 Depth=2
	s_mov_b32 s10, -1
	s_mov_b32 s28, exec_lo
                                        ; implicit-def: $sgpr26
	v_cmpx_eq_u16_e32 0x80, v33
; %bb.8873:                             ;   in Loop: Header=BB6_8318 Depth=2
	s_mov_b32 s26, 0x7f800001
	s_xor_b32 s10, exec_lo, -1
; %bb.8874:                             ;   in Loop: Header=BB6_8318 Depth=2
	s_or_b32 exec_lo, exec_lo, s28
	s_delay_alu instid0(SALU_CYCLE_1)
	s_and_b32 s10, s10, exec_lo
	s_or_saveexec_b32 s27, s27
	v_mov_b32_e32 v34, s26
	s_xor_b32 exec_lo, exec_lo, s27
	s_cbranch_execz .LBB6_8481
.LBB6_8875:                             ;   in Loop: Header=BB6_8318 Depth=2
	v_cmp_ne_u16_e32 vcc_lo, 0, v33
	v_mov_b32_e32 v34, 0
	s_and_not1_b32 s10, s10, exec_lo
	s_and_b32 s26, vcc_lo, exec_lo
	s_delay_alu instid0(SALU_CYCLE_1)
	s_or_b32 s10, s10, s26
	s_or_b32 exec_lo, exec_lo, s27
	s_and_saveexec_b32 s26, s10
	s_cbranch_execnz .LBB6_8482
	s_branch .LBB6_8483
.LBB6_8876:                             ;   in Loop: Header=BB6_8318 Depth=2
	s_mov_b32 s10, -1
	s_mov_b32 s28, exec_lo
                                        ; implicit-def: $sgpr26
	v_cmpx_eq_u16_e32 0x80, v37
; %bb.8877:                             ;   in Loop: Header=BB6_8318 Depth=2
	s_mov_b32 s26, 0x7f800001
	s_xor_b32 s10, exec_lo, -1
; %bb.8878:                             ;   in Loop: Header=BB6_8318 Depth=2
	s_or_b32 exec_lo, exec_lo, s28
	s_delay_alu instid0(SALU_CYCLE_1)
	s_and_b32 s10, s10, exec_lo
                                        ; implicit-def: $vgpr37
	s_or_saveexec_b32 s27, s27
	v_mov_b32_e32 v36, s26
	s_xor_b32 exec_lo, exec_lo, s27
	s_cbranch_execz .LBB6_8495
.LBB6_8879:                             ;   in Loop: Header=BB6_8318 Depth=2
	v_cmp_ne_u16_e32 vcc_lo, 0, v37
	v_mov_b32_e32 v36, 0
	s_and_not1_b32 s10, s10, exec_lo
	s_and_b32 s26, vcc_lo, exec_lo
	s_delay_alu instid0(SALU_CYCLE_1)
	s_or_b32 s10, s10, s26
	s_or_b32 exec_lo, exec_lo, s27
	s_and_saveexec_b32 s26, s10
	s_cbranch_execnz .LBB6_8496
	s_branch .LBB6_8497
.LBB6_8880:                             ;   in Loop: Header=BB6_8318 Depth=2
	s_mov_b32 s10, -1
	s_mov_b32 s28, exec_lo
                                        ; implicit-def: $sgpr26
	v_cmpx_eq_u16_e32 0x80, v38
; %bb.8881:                             ;   in Loop: Header=BB6_8318 Depth=2
	s_mov_b32 s26, 0x7f800001
	s_xor_b32 s10, exec_lo, -1
; %bb.8882:                             ;   in Loop: Header=BB6_8318 Depth=2
	s_or_b32 exec_lo, exec_lo, s28
	s_delay_alu instid0(SALU_CYCLE_1)
	s_and_b32 s10, s10, exec_lo
                                        ; implicit-def: $vgpr38
	s_or_saveexec_b32 s27, s27
	v_mov_b32_e32 v37, s26
	s_xor_b32 exec_lo, exec_lo, s27
	s_cbranch_execz .LBB6_8499
.LBB6_8883:                             ;   in Loop: Header=BB6_8318 Depth=2
	v_cmp_ne_u16_e32 vcc_lo, 0, v38
	v_mov_b32_e32 v37, 0
	s_and_not1_b32 s10, s10, exec_lo
	s_and_b32 s26, vcc_lo, exec_lo
	s_delay_alu instid0(SALU_CYCLE_1)
	s_or_b32 s10, s10, s26
	s_or_b32 exec_lo, exec_lo, s27
	s_and_saveexec_b32 s26, s10
	s_cbranch_execnz .LBB6_8500
	s_branch .LBB6_8501
.LBB6_8884:                             ;   in Loop: Header=BB6_8318 Depth=2
	s_mov_b32 s10, -1
	s_mov_b32 s28, exec_lo
                                        ; implicit-def: $sgpr26
	v_cmpx_eq_u16_e32 0x80, v37
; %bb.8885:                             ;   in Loop: Header=BB6_8318 Depth=2
	s_mov_b32 s26, 0x7f800001
	s_xor_b32 s10, exec_lo, -1
; %bb.8886:                             ;   in Loop: Header=BB6_8318 Depth=2
	s_or_b32 exec_lo, exec_lo, s28
	s_delay_alu instid0(SALU_CYCLE_1)
	s_and_b32 s10, s10, exec_lo
                                        ; implicit-def: $vgpr37
	s_or_saveexec_b32 s27, s27
	v_mov_b32_e32 v36, s26
	s_xor_b32 exec_lo, exec_lo, s27
	s_cbranch_execz .LBB6_8506
.LBB6_8887:                             ;   in Loop: Header=BB6_8318 Depth=2
	v_cmp_ne_u16_e32 vcc_lo, 0, v37
	v_mov_b32_e32 v36, 0
	s_and_not1_b32 s10, s10, exec_lo
	s_and_b32 s26, vcc_lo, exec_lo
	s_delay_alu instid0(SALU_CYCLE_1)
	s_or_b32 s10, s10, s26
	s_or_b32 exec_lo, exec_lo, s27
	s_and_saveexec_b32 s26, s10
	s_cbranch_execnz .LBB6_8507
	s_branch .LBB6_8508
.LBB6_8888:                             ;   in Loop: Header=BB6_8318 Depth=2
	s_mov_b32 s10, -1
	s_mov_b32 s28, exec_lo
                                        ; implicit-def: $sgpr26
	v_cmpx_eq_u16_e32 0x80, v37
; %bb.8889:                             ;   in Loop: Header=BB6_8318 Depth=2
	s_mov_b32 s26, 0x7f800001
	s_xor_b32 s10, exec_lo, -1
; %bb.8890:                             ;   in Loop: Header=BB6_8318 Depth=2
	s_or_b32 exec_lo, exec_lo, s28
	s_delay_alu instid0(SALU_CYCLE_1)
	s_and_b32 s10, s10, exec_lo
                                        ; implicit-def: $vgpr37
	s_or_saveexec_b32 s27, s27
	v_mov_b32_e32 v35, s26
	s_xor_b32 exec_lo, exec_lo, s27
	s_cbranch_execz .LBB6_8510
.LBB6_8891:                             ;   in Loop: Header=BB6_8318 Depth=2
	v_cmp_ne_u16_e32 vcc_lo, 0, v37
	v_mov_b32_e32 v35, 0
	s_and_not1_b32 s10, s10, exec_lo
	s_and_b32 s26, vcc_lo, exec_lo
	s_delay_alu instid0(SALU_CYCLE_1)
	s_or_b32 s10, s10, s26
	s_or_b32 exec_lo, exec_lo, s27
	s_and_saveexec_b32 s26, s10
	s_cbranch_execnz .LBB6_8511
	s_branch .LBB6_8512
.LBB6_8892:                             ;   in Loop: Header=BB6_8318 Depth=2
	s_mov_b32 s10, -1
	s_mov_b32 s28, exec_lo
                                        ; implicit-def: $sgpr26
	v_cmpx_eq_u16_e32 0x80, v36
; %bb.8893:                             ;   in Loop: Header=BB6_8318 Depth=2
	s_mov_b32 s26, 0x7f800001
	s_xor_b32 s10, exec_lo, -1
; %bb.8894:                             ;   in Loop: Header=BB6_8318 Depth=2
	s_or_b32 exec_lo, exec_lo, s28
	s_delay_alu instid0(SALU_CYCLE_1)
	s_and_b32 s10, s10, exec_lo
	s_or_saveexec_b32 s27, s27
	v_mov_b32_e32 v37, s26
	s_xor_b32 exec_lo, exec_lo, s27
	s_cbranch_execz .LBB6_8524
.LBB6_8895:                             ;   in Loop: Header=BB6_8318 Depth=2
	v_cmp_ne_u16_e32 vcc_lo, 0, v36
	v_mov_b32_e32 v37, 0
	s_and_not1_b32 s10, s10, exec_lo
	s_and_b32 s26, vcc_lo, exec_lo
	s_delay_alu instid0(SALU_CYCLE_1)
	s_or_b32 s10, s10, s26
	s_or_b32 exec_lo, exec_lo, s27
	s_and_saveexec_b32 s26, s10
	s_cbranch_execnz .LBB6_8525
	s_branch .LBB6_8526
.LBB6_8896:                             ;   in Loop: Header=BB6_8318 Depth=2
	s_mov_b32 s10, -1
	s_mov_b32 s28, exec_lo
                                        ; implicit-def: $sgpr26
	v_cmpx_eq_u16_e32 0x80, v35
; %bb.8897:                             ;   in Loop: Header=BB6_8318 Depth=2
	s_mov_b32 s26, 0x7f800001
	s_xor_b32 s10, exec_lo, -1
; %bb.8898:                             ;   in Loop: Header=BB6_8318 Depth=2
	s_or_b32 exec_lo, exec_lo, s28
	s_delay_alu instid0(SALU_CYCLE_1)
	s_and_b32 s10, s10, exec_lo
	s_or_saveexec_b32 s27, s27
	v_mov_b32_e32 v38, s26
	s_xor_b32 exec_lo, exec_lo, s27
	s_cbranch_execz .LBB6_8528
.LBB6_8899:                             ;   in Loop: Header=BB6_8318 Depth=2
	v_cmp_ne_u16_e32 vcc_lo, 0, v35
	v_mov_b32_e32 v38, 0
	s_and_not1_b32 s10, s10, exec_lo
	s_and_b32 s26, vcc_lo, exec_lo
	s_delay_alu instid0(SALU_CYCLE_1)
	s_or_b32 s10, s10, s26
	s_or_b32 exec_lo, exec_lo, s27
	s_and_saveexec_b32 s26, s10
	s_cbranch_execnz .LBB6_8529
	s_branch .LBB6_8530
.LBB6_8900:                             ;   in Loop: Header=BB6_8318 Depth=2
	s_mov_b32 s10, -1
	s_mov_b32 s28, exec_lo
                                        ; implicit-def: $sgpr26
	v_cmpx_eq_u16_e32 0x80, v36
; %bb.8901:                             ;   in Loop: Header=BB6_8318 Depth=2
	s_mov_b32 s26, 0x7f800001
	s_xor_b32 s10, exec_lo, -1
; %bb.8902:                             ;   in Loop: Header=BB6_8318 Depth=2
	s_or_b32 exec_lo, exec_lo, s28
	s_delay_alu instid0(SALU_CYCLE_1)
	s_and_b32 s10, s10, exec_lo
	s_or_saveexec_b32 s27, s27
	v_mov_b32_e32 v37, s26
	s_xor_b32 exec_lo, exec_lo, s27
	s_cbranch_execz .LBB6_8535
.LBB6_8903:                             ;   in Loop: Header=BB6_8318 Depth=2
	v_cmp_ne_u16_e32 vcc_lo, 0, v36
	v_mov_b32_e32 v37, 0
	s_and_not1_b32 s10, s10, exec_lo
	s_and_b32 s26, vcc_lo, exec_lo
	s_delay_alu instid0(SALU_CYCLE_1)
	s_or_b32 s10, s10, s26
	s_or_b32 exec_lo, exec_lo, s27
	s_and_saveexec_b32 s26, s10
	s_cbranch_execnz .LBB6_8536
	s_branch .LBB6_8537
.LBB6_8904:                             ;   in Loop: Header=BB6_8318 Depth=2
	s_mov_b32 s10, -1
	s_mov_b32 s28, exec_lo
                                        ; implicit-def: $sgpr26
	v_cmpx_eq_u16_e32 0x80, v35
; %bb.8905:                             ;   in Loop: Header=BB6_8318 Depth=2
	s_mov_b32 s26, 0x7f800001
	s_xor_b32 s10, exec_lo, -1
; %bb.8906:                             ;   in Loop: Header=BB6_8318 Depth=2
	s_or_b32 exec_lo, exec_lo, s28
	s_delay_alu instid0(SALU_CYCLE_1)
	s_and_b32 s10, s10, exec_lo
	s_or_saveexec_b32 s27, s27
	v_mov_b32_e32 v15, s26
	s_xor_b32 exec_lo, exec_lo, s27
	s_cbranch_execz .LBB6_8539
.LBB6_8907:                             ;   in Loop: Header=BB6_8318 Depth=2
	v_cmp_ne_u16_e32 vcc_lo, 0, v35
	v_mov_b32_e32 v15, 0
	s_and_not1_b32 s10, s10, exec_lo
	s_and_b32 s26, vcc_lo, exec_lo
	s_delay_alu instid0(SALU_CYCLE_1)
	s_or_b32 s10, s10, s26
	s_or_b32 exec_lo, exec_lo, s27
	s_and_saveexec_b32 s26, s10
	s_cbranch_execnz .LBB6_8540
	s_branch .LBB6_8541
.LBB6_8908:                             ;   in Loop: Header=BB6_8318 Depth=2
	s_mov_b32 s10, -1
	s_mov_b32 s28, exec_lo
                                        ; implicit-def: $sgpr26
	v_cmpx_eq_u16_e32 0x80, v35
; %bb.8909:                             ;   in Loop: Header=BB6_8318 Depth=2
	s_mov_b32 s26, 0x7f800001
	s_xor_b32 s10, exec_lo, -1
; %bb.8910:                             ;   in Loop: Header=BB6_8318 Depth=2
	s_or_b32 exec_lo, exec_lo, s28
	s_delay_alu instid0(SALU_CYCLE_1)
	s_and_b32 s10, s10, exec_lo
                                        ; implicit-def: $vgpr35
	s_or_saveexec_b32 s27, s27
	v_mov_b32_e32 v15, s26
	s_xor_b32 exec_lo, exec_lo, s27
	s_cbranch_execz .LBB6_8553
.LBB6_8911:                             ;   in Loop: Header=BB6_8318 Depth=2
	v_cmp_ne_u16_e32 vcc_lo, 0, v35
	v_mov_b32_e32 v15, 0
	s_and_not1_b32 s10, s10, exec_lo
	s_and_b32 s26, vcc_lo, exec_lo
	s_delay_alu instid0(SALU_CYCLE_1)
	s_or_b32 s10, s10, s26
	s_or_b32 exec_lo, exec_lo, s27
	s_and_saveexec_b32 s26, s10
	s_cbranch_execnz .LBB6_8554
	s_branch .LBB6_8555
.LBB6_8912:                             ;   in Loop: Header=BB6_8318 Depth=2
	s_mov_b32 s10, -1
	s_mov_b32 s28, exec_lo
                                        ; implicit-def: $sgpr26
	v_cmpx_eq_u16_e32 0x80, v36
; %bb.8913:                             ;   in Loop: Header=BB6_8318 Depth=2
	s_mov_b32 s26, 0x7f800001
	s_xor_b32 s10, exec_lo, -1
; %bb.8914:                             ;   in Loop: Header=BB6_8318 Depth=2
	s_or_b32 exec_lo, exec_lo, s28
	s_delay_alu instid0(SALU_CYCLE_1)
	s_and_b32 s10, s10, exec_lo
                                        ; implicit-def: $vgpr36
	s_or_saveexec_b32 s27, s27
	v_mov_b32_e32 v35, s26
	s_xor_b32 exec_lo, exec_lo, s27
	s_cbranch_execz .LBB6_8557
.LBB6_8915:                             ;   in Loop: Header=BB6_8318 Depth=2
	v_cmp_ne_u16_e32 vcc_lo, 0, v36
	v_mov_b32_e32 v35, 0
	s_and_not1_b32 s10, s10, exec_lo
	s_and_b32 s26, vcc_lo, exec_lo
	s_delay_alu instid0(SALU_CYCLE_1)
	s_or_b32 s10, s10, s26
	s_or_b32 exec_lo, exec_lo, s27
	s_and_saveexec_b32 s26, s10
	s_cbranch_execnz .LBB6_8558
	s_branch .LBB6_8559
.LBB6_8916:                             ;   in Loop: Header=BB6_8318 Depth=2
	s_mov_b32 s10, -1
	s_mov_b32 s28, exec_lo
                                        ; implicit-def: $sgpr26
	v_cmpx_eq_u16_e32 0x80, v35
; %bb.8917:                             ;   in Loop: Header=BB6_8318 Depth=2
	s_mov_b32 s26, 0x7f800001
	s_xor_b32 s10, exec_lo, -1
; %bb.8918:                             ;   in Loop: Header=BB6_8318 Depth=2
	s_or_b32 exec_lo, exec_lo, s28
	s_delay_alu instid0(SALU_CYCLE_1)
	s_and_b32 s10, s10, exec_lo
                                        ; implicit-def: $vgpr35
	s_or_saveexec_b32 s27, s27
	v_mov_b32_e32 v15, s26
	s_xor_b32 exec_lo, exec_lo, s27
	s_cbranch_execz .LBB6_8564
.LBB6_8919:                             ;   in Loop: Header=BB6_8318 Depth=2
	v_cmp_ne_u16_e32 vcc_lo, 0, v35
	v_mov_b32_e32 v15, 0
	s_and_not1_b32 s10, s10, exec_lo
	s_and_b32 s26, vcc_lo, exec_lo
	s_delay_alu instid0(SALU_CYCLE_1)
	s_or_b32 s10, s10, s26
	s_or_b32 exec_lo, exec_lo, s27
	s_and_saveexec_b32 s26, s10
	s_cbranch_execnz .LBB6_8565
	s_branch .LBB6_8566
.LBB6_8920:                             ;   in Loop: Header=BB6_8318 Depth=2
	s_mov_b32 s10, -1
	s_mov_b32 s28, exec_lo
                                        ; implicit-def: $sgpr26
	v_cmpx_eq_u16_e32 0x80, v36
; %bb.8921:                             ;   in Loop: Header=BB6_8318 Depth=2
	s_mov_b32 s26, 0x7f800001
	s_xor_b32 s10, exec_lo, -1
; %bb.8922:                             ;   in Loop: Header=BB6_8318 Depth=2
	s_or_b32 exec_lo, exec_lo, s28
	s_delay_alu instid0(SALU_CYCLE_1)
	s_and_b32 s10, s10, exec_lo
                                        ; implicit-def: $vgpr36
	s_or_saveexec_b32 s27, s27
	v_mov_b32_e32 v35, s26
	s_xor_b32 exec_lo, exec_lo, s27
	s_cbranch_execz .LBB6_8568
.LBB6_8923:                             ;   in Loop: Header=BB6_8318 Depth=2
	v_cmp_ne_u16_e32 vcc_lo, 0, v36
	v_mov_b32_e32 v35, 0
	s_and_not1_b32 s10, s10, exec_lo
	s_and_b32 s26, vcc_lo, exec_lo
	s_delay_alu instid0(SALU_CYCLE_1)
	s_or_b32 s10, s10, s26
	s_or_b32 exec_lo, exec_lo, s27
	s_and_saveexec_b32 s26, s10
	s_cbranch_execnz .LBB6_8569
	s_branch .LBB6_8570
.LBB6_8924:                             ;   in Loop: Header=BB6_8318 Depth=2
	s_mov_b32 s10, -1
	s_mov_b32 s28, exec_lo
                                        ; implicit-def: $sgpr26
	v_cmpx_eq_u16_e32 0x80, v36
; %bb.8925:                             ;   in Loop: Header=BB6_8318 Depth=2
	s_mov_b32 s26, 0x7f800001
	s_xor_b32 s10, exec_lo, -1
; %bb.8926:                             ;   in Loop: Header=BB6_8318 Depth=2
	s_or_b32 exec_lo, exec_lo, s28
	s_delay_alu instid0(SALU_CYCLE_1)
	s_and_b32 s10, s10, exec_lo
	s_or_saveexec_b32 s27, s27
	v_mov_b32_e32 v37, s26
	s_xor_b32 exec_lo, exec_lo, s27
	s_cbranch_execz .LBB6_8582
.LBB6_8927:                             ;   in Loop: Header=BB6_8318 Depth=2
	v_cmp_ne_u16_e32 vcc_lo, 0, v36
	v_mov_b32_e32 v37, 0
	s_and_not1_b32 s10, s10, exec_lo
	s_and_b32 s26, vcc_lo, exec_lo
	s_delay_alu instid0(SALU_CYCLE_1)
	s_or_b32 s10, s10, s26
	s_or_b32 exec_lo, exec_lo, s27
	s_and_saveexec_b32 s26, s10
	s_cbranch_execnz .LBB6_8583
	s_branch .LBB6_8584
.LBB6_8928:                             ;   in Loop: Header=BB6_8318 Depth=2
	s_mov_b32 s10, -1
	s_mov_b32 s28, exec_lo
                                        ; implicit-def: $sgpr26
	v_cmpx_eq_u16_e32 0x80, v35
; %bb.8929:                             ;   in Loop: Header=BB6_8318 Depth=2
	s_mov_b32 s26, 0x7f800001
	s_xor_b32 s10, exec_lo, -1
; %bb.8930:                             ;   in Loop: Header=BB6_8318 Depth=2
	s_or_b32 exec_lo, exec_lo, s28
	s_delay_alu instid0(SALU_CYCLE_1)
	s_and_b32 s10, s10, exec_lo
	s_or_saveexec_b32 s27, s27
	v_mov_b32_e32 v38, s26
	s_xor_b32 exec_lo, exec_lo, s27
	s_cbranch_execz .LBB6_8586
.LBB6_8931:                             ;   in Loop: Header=BB6_8318 Depth=2
	v_cmp_ne_u16_e32 vcc_lo, 0, v35
	v_mov_b32_e32 v38, 0
	s_and_not1_b32 s10, s10, exec_lo
	s_and_b32 s26, vcc_lo, exec_lo
	s_delay_alu instid0(SALU_CYCLE_1)
	s_or_b32 s10, s10, s26
	s_or_b32 exec_lo, exec_lo, s27
	s_and_saveexec_b32 s26, s10
	s_cbranch_execnz .LBB6_8587
	s_branch .LBB6_8588
.LBB6_8932:                             ;   in Loop: Header=BB6_8318 Depth=2
	s_mov_b32 s10, -1
	s_mov_b32 s28, exec_lo
                                        ; implicit-def: $sgpr26
	v_cmpx_eq_u16_e32 0x80, v36
; %bb.8933:                             ;   in Loop: Header=BB6_8318 Depth=2
	s_mov_b32 s26, 0x7f800001
	s_xor_b32 s10, exec_lo, -1
; %bb.8934:                             ;   in Loop: Header=BB6_8318 Depth=2
	s_or_b32 exec_lo, exec_lo, s28
	s_delay_alu instid0(SALU_CYCLE_1)
	s_and_b32 s10, s10, exec_lo
	s_or_saveexec_b32 s27, s27
	v_mov_b32_e32 v37, s26
	s_xor_b32 exec_lo, exec_lo, s27
	s_cbranch_execz .LBB6_8593
.LBB6_8935:                             ;   in Loop: Header=BB6_8318 Depth=2
	v_cmp_ne_u16_e32 vcc_lo, 0, v36
	v_mov_b32_e32 v37, 0
	s_and_not1_b32 s10, s10, exec_lo
	s_and_b32 s26, vcc_lo, exec_lo
	s_delay_alu instid0(SALU_CYCLE_1)
	s_or_b32 s10, s10, s26
	s_or_b32 exec_lo, exec_lo, s27
	s_and_saveexec_b32 s26, s10
	s_cbranch_execnz .LBB6_8594
	s_branch .LBB6_8595
.LBB6_8936:                             ;   in Loop: Header=BB6_8318 Depth=2
	s_mov_b32 s10, -1
	s_mov_b32 s28, exec_lo
                                        ; implicit-def: $sgpr26
	v_cmpx_eq_u16_e32 0x80, v35
; %bb.8937:                             ;   in Loop: Header=BB6_8318 Depth=2
	s_mov_b32 s26, 0x7f800001
	s_xor_b32 s10, exec_lo, -1
; %bb.8938:                             ;   in Loop: Header=BB6_8318 Depth=2
	s_or_b32 exec_lo, exec_lo, s28
	s_delay_alu instid0(SALU_CYCLE_1)
	s_and_b32 s10, s10, exec_lo
	s_or_saveexec_b32 s27, s27
	v_mov_b32_e32 v36, s26
	s_xor_b32 exec_lo, exec_lo, s27
	s_cbranch_execz .LBB6_8597
.LBB6_8939:                             ;   in Loop: Header=BB6_8318 Depth=2
	v_cmp_ne_u16_e32 vcc_lo, 0, v35
	v_mov_b32_e32 v36, 0
	s_and_not1_b32 s10, s10, exec_lo
	s_and_b32 s26, vcc_lo, exec_lo
	s_delay_alu instid0(SALU_CYCLE_1)
	s_or_b32 s10, s10, s26
	s_or_b32 exec_lo, exec_lo, s27
	s_and_saveexec_b32 s26, s10
	s_cbranch_execnz .LBB6_8598
	s_branch .LBB6_8599
.LBB6_8940:                             ;   in Loop: Header=BB6_8318 Depth=2
	s_mov_b32 s10, -1
	s_mov_b32 s28, exec_lo
                                        ; implicit-def: $sgpr26
	v_cmpx_eq_u16_e32 0x80, v39
; %bb.8941:                             ;   in Loop: Header=BB6_8318 Depth=2
	s_mov_b32 s26, 0x7f800001
	s_xor_b32 s10, exec_lo, -1
; %bb.8942:                             ;   in Loop: Header=BB6_8318 Depth=2
	s_or_b32 exec_lo, exec_lo, s28
	s_delay_alu instid0(SALU_CYCLE_1)
	s_and_b32 s10, s10, exec_lo
                                        ; implicit-def: $vgpr39
	s_or_saveexec_b32 s27, s27
	v_mov_b32_e32 v38, s26
	s_xor_b32 exec_lo, exec_lo, s27
	s_cbranch_execz .LBB6_8611
.LBB6_8943:                             ;   in Loop: Header=BB6_8318 Depth=2
	v_cmp_ne_u16_e32 vcc_lo, 0, v39
	v_mov_b32_e32 v38, 0
	s_and_not1_b32 s10, s10, exec_lo
	s_and_b32 s26, vcc_lo, exec_lo
	s_delay_alu instid0(SALU_CYCLE_1)
	s_or_b32 s10, s10, s26
	s_or_b32 exec_lo, exec_lo, s27
	s_and_saveexec_b32 s26, s10
	s_cbranch_execnz .LBB6_8612
	s_branch .LBB6_8613
.LBB6_8944:                             ;   in Loop: Header=BB6_8318 Depth=2
	s_mov_b32 s10, -1
	s_mov_b32 s28, exec_lo
                                        ; implicit-def: $sgpr26
	v_cmpx_eq_u16_e32 0x80, v48
; %bb.8945:                             ;   in Loop: Header=BB6_8318 Depth=2
	s_mov_b32 s26, 0x7f800001
	s_xor_b32 s10, exec_lo, -1
; %bb.8946:                             ;   in Loop: Header=BB6_8318 Depth=2
	s_or_b32 exec_lo, exec_lo, s28
	s_delay_alu instid0(SALU_CYCLE_1)
	s_and_b32 s10, s10, exec_lo
                                        ; implicit-def: $vgpr48
	s_or_saveexec_b32 s27, s27
	v_mov_b32_e32 v39, s26
	s_xor_b32 exec_lo, exec_lo, s27
	s_cbranch_execz .LBB6_8615
.LBB6_8947:                             ;   in Loop: Header=BB6_8318 Depth=2
	v_cmp_ne_u16_e32 vcc_lo, 0, v48
	v_mov_b32_e32 v39, 0
	s_and_not1_b32 s10, s10, exec_lo
	s_and_b32 s26, vcc_lo, exec_lo
	s_delay_alu instid0(SALU_CYCLE_1)
	s_or_b32 s10, s10, s26
	s_or_b32 exec_lo, exec_lo, s27
	s_and_saveexec_b32 s26, s10
	s_cbranch_execnz .LBB6_8616
	s_branch .LBB6_8617
.LBB6_8948:                             ;   in Loop: Header=BB6_8318 Depth=2
	s_mov_b32 s10, -1
	s_mov_b32 s28, exec_lo
                                        ; implicit-def: $sgpr26
	v_cmpx_eq_u16_e32 0x80, v39
; %bb.8949:                             ;   in Loop: Header=BB6_8318 Depth=2
	s_mov_b32 s26, 0x7f800001
	s_xor_b32 s10, exec_lo, -1
; %bb.8950:                             ;   in Loop: Header=BB6_8318 Depth=2
	s_or_b32 exec_lo, exec_lo, s28
	s_delay_alu instid0(SALU_CYCLE_1)
	s_and_b32 s10, s10, exec_lo
                                        ; implicit-def: $vgpr39
	s_or_saveexec_b32 s27, s27
	v_mov_b32_e32 v38, s26
	s_xor_b32 exec_lo, exec_lo, s27
	s_cbranch_execz .LBB6_8622
.LBB6_8951:                             ;   in Loop: Header=BB6_8318 Depth=2
	v_cmp_ne_u16_e32 vcc_lo, 0, v39
	v_mov_b32_e32 v38, 0
	s_and_not1_b32 s10, s10, exec_lo
	s_and_b32 s26, vcc_lo, exec_lo
	s_delay_alu instid0(SALU_CYCLE_1)
	s_or_b32 s10, s10, s26
	s_or_b32 exec_lo, exec_lo, s27
	s_and_saveexec_b32 s26, s10
	s_cbranch_execnz .LBB6_8623
	s_branch .LBB6_8624
.LBB6_8952:                             ;   in Loop: Header=BB6_8318 Depth=2
	s_mov_b32 s10, -1
	s_mov_b32 s28, exec_lo
                                        ; implicit-def: $sgpr26
	v_cmpx_eq_u16_e32 0x80, v39
; %bb.8953:                             ;   in Loop: Header=BB6_8318 Depth=2
	s_mov_b32 s26, 0x7f800001
	s_xor_b32 s10, exec_lo, -1
; %bb.8954:                             ;   in Loop: Header=BB6_8318 Depth=2
	s_or_b32 exec_lo, exec_lo, s28
	s_delay_alu instid0(SALU_CYCLE_1)
	s_and_b32 s10, s10, exec_lo
                                        ; implicit-def: $vgpr39
	s_or_saveexec_b32 s27, s27
	v_mov_b32_e32 v37, s26
	s_xor_b32 exec_lo, exec_lo, s27
	s_cbranch_execz .LBB6_8626
.LBB6_8955:                             ;   in Loop: Header=BB6_8318 Depth=2
	v_cmp_ne_u16_e32 vcc_lo, 0, v39
	v_mov_b32_e32 v37, 0
	s_and_not1_b32 s10, s10, exec_lo
	s_and_b32 s26, vcc_lo, exec_lo
	s_delay_alu instid0(SALU_CYCLE_1)
	s_or_b32 s10, s10, s26
	s_or_b32 exec_lo, exec_lo, s27
	s_and_saveexec_b32 s26, s10
	s_cbranch_execnz .LBB6_8627
	s_branch .LBB6_8628
.LBB6_8956:                             ;   in Loop: Header=BB6_8318 Depth=2
	s_mov_b32 s10, -1
	s_mov_b32 s28, exec_lo
                                        ; implicit-def: $sgpr26
	v_cmpx_eq_u16_e32 0x80, v38
; %bb.8957:                             ;   in Loop: Header=BB6_8318 Depth=2
	s_mov_b32 s26, 0x7f800001
	s_xor_b32 s10, exec_lo, -1
; %bb.8958:                             ;   in Loop: Header=BB6_8318 Depth=2
	s_or_b32 exec_lo, exec_lo, s28
	s_delay_alu instid0(SALU_CYCLE_1)
	s_and_b32 s10, s10, exec_lo
	s_or_saveexec_b32 s27, s27
	v_mov_b32_e32 v39, s26
	s_xor_b32 exec_lo, exec_lo, s27
	s_cbranch_execz .LBB6_8640
.LBB6_8959:                             ;   in Loop: Header=BB6_8318 Depth=2
	v_cmp_ne_u16_e32 vcc_lo, 0, v38
	v_mov_b32_e32 v39, 0
	s_and_not1_b32 s10, s10, exec_lo
	s_and_b32 s26, vcc_lo, exec_lo
	s_delay_alu instid0(SALU_CYCLE_1)
	s_or_b32 s10, s10, s26
	s_or_b32 exec_lo, exec_lo, s27
	s_and_saveexec_b32 s26, s10
	s_cbranch_execnz .LBB6_8641
	s_branch .LBB6_8642
.LBB6_8960:                             ;   in Loop: Header=BB6_8318 Depth=2
	s_mov_b32 s10, -1
	s_mov_b32 s28, exec_lo
                                        ; implicit-def: $sgpr26
	v_cmpx_eq_u16_e32 0x80, v37
; %bb.8961:                             ;   in Loop: Header=BB6_8318 Depth=2
	s_mov_b32 s26, 0x7f800001
	s_xor_b32 s10, exec_lo, -1
; %bb.8962:                             ;   in Loop: Header=BB6_8318 Depth=2
	s_or_b32 exec_lo, exec_lo, s28
	s_delay_alu instid0(SALU_CYCLE_1)
	s_and_b32 s10, s10, exec_lo
	s_or_saveexec_b32 s27, s27
	v_mov_b32_e32 v48, s26
	s_xor_b32 exec_lo, exec_lo, s27
	s_cbranch_execz .LBB6_8644
.LBB6_8963:                             ;   in Loop: Header=BB6_8318 Depth=2
	v_cmp_ne_u16_e32 vcc_lo, 0, v37
	v_mov_b32_e32 v48, 0
	s_and_not1_b32 s10, s10, exec_lo
	s_and_b32 s26, vcc_lo, exec_lo
	s_delay_alu instid0(SALU_CYCLE_1)
	s_or_b32 s10, s10, s26
	s_or_b32 exec_lo, exec_lo, s27
	s_and_saveexec_b32 s26, s10
	s_cbranch_execnz .LBB6_8645
	s_branch .LBB6_8646
.LBB6_8964:                             ;   in Loop: Header=BB6_8318 Depth=2
	s_mov_b32 s10, -1
	s_mov_b32 s28, exec_lo
                                        ; implicit-def: $sgpr26
	v_cmpx_eq_u16_e32 0x80, v38
; %bb.8965:                             ;   in Loop: Header=BB6_8318 Depth=2
	s_mov_b32 s26, 0x7f800001
	s_xor_b32 s10, exec_lo, -1
; %bb.8966:                             ;   in Loop: Header=BB6_8318 Depth=2
	s_or_b32 exec_lo, exec_lo, s28
	s_delay_alu instid0(SALU_CYCLE_1)
	s_and_b32 s10, s10, exec_lo
	s_or_saveexec_b32 s27, s27
	v_mov_b32_e32 v39, s26
	s_xor_b32 exec_lo, exec_lo, s27
	s_cbranch_execz .LBB6_8651
.LBB6_8967:                             ;   in Loop: Header=BB6_8318 Depth=2
	v_cmp_ne_u16_e32 vcc_lo, 0, v38
	v_mov_b32_e32 v39, 0
	s_and_not1_b32 s10, s10, exec_lo
	s_and_b32 s26, vcc_lo, exec_lo
	s_delay_alu instid0(SALU_CYCLE_1)
	s_or_b32 s10, s10, s26
	s_or_b32 exec_lo, exec_lo, s27
	s_and_saveexec_b32 s26, s10
	s_cbranch_execnz .LBB6_8652
	s_branch .LBB6_8653
.LBB6_8968:                             ;   in Loop: Header=BB6_8318 Depth=2
	s_mov_b32 s10, -1
	s_mov_b32 s28, exec_lo
                                        ; implicit-def: $sgpr26
	v_cmpx_eq_u16_e32 0x80, v37
; %bb.8969:                             ;   in Loop: Header=BB6_8318 Depth=2
	s_mov_b32 s26, 0x7f800001
	s_xor_b32 s10, exec_lo, -1
; %bb.8970:                             ;   in Loop: Header=BB6_8318 Depth=2
	s_or_b32 exec_lo, exec_lo, s28
	s_delay_alu instid0(SALU_CYCLE_1)
	s_and_b32 s10, s10, exec_lo
	s_or_saveexec_b32 s27, s27
	v_mov_b32_e32 v16, s26
	s_xor_b32 exec_lo, exec_lo, s27
	s_cbranch_execz .LBB6_8655
.LBB6_8971:                             ;   in Loop: Header=BB6_8318 Depth=2
	v_cmp_ne_u16_e32 vcc_lo, 0, v37
	v_mov_b32_e32 v16, 0
	s_and_not1_b32 s10, s10, exec_lo
	s_and_b32 s26, vcc_lo, exec_lo
	s_delay_alu instid0(SALU_CYCLE_1)
	s_or_b32 s10, s10, s26
	s_or_b32 exec_lo, exec_lo, s27
	s_and_saveexec_b32 s26, s10
	s_cbranch_execnz .LBB6_8656
	s_branch .LBB6_8657
.LBB6_8972:                             ;   in Loop: Header=BB6_8318 Depth=2
	s_mov_b32 s10, -1
	s_mov_b32 s28, exec_lo
                                        ; implicit-def: $sgpr26
	v_cmpx_eq_u16_e32 0x80, v37
; %bb.8973:                             ;   in Loop: Header=BB6_8318 Depth=2
	s_mov_b32 s26, 0x7f800001
	s_xor_b32 s10, exec_lo, -1
; %bb.8974:                             ;   in Loop: Header=BB6_8318 Depth=2
	s_or_b32 exec_lo, exec_lo, s28
	s_delay_alu instid0(SALU_CYCLE_1)
	s_and_b32 s10, s10, exec_lo
                                        ; implicit-def: $vgpr37
	s_or_saveexec_b32 s27, s27
	v_mov_b32_e32 v16, s26
	s_xor_b32 exec_lo, exec_lo, s27
	s_cbranch_execz .LBB6_8669
.LBB6_8975:                             ;   in Loop: Header=BB6_8318 Depth=2
	v_cmp_ne_u16_e32 vcc_lo, 0, v37
	v_mov_b32_e32 v16, 0
	s_and_not1_b32 s10, s10, exec_lo
	s_and_b32 s26, vcc_lo, exec_lo
	s_delay_alu instid0(SALU_CYCLE_1)
	s_or_b32 s10, s10, s26
	s_or_b32 exec_lo, exec_lo, s27
	s_and_saveexec_b32 s26, s10
	s_cbranch_execnz .LBB6_8670
	s_branch .LBB6_8671
.LBB6_8976:                             ;   in Loop: Header=BB6_8318 Depth=2
	s_mov_b32 s10, -1
	s_mov_b32 s28, exec_lo
                                        ; implicit-def: $sgpr26
	v_cmpx_eq_u16_e32 0x80, v38
; %bb.8977:                             ;   in Loop: Header=BB6_8318 Depth=2
	s_mov_b32 s26, 0x7f800001
	s_xor_b32 s10, exec_lo, -1
; %bb.8978:                             ;   in Loop: Header=BB6_8318 Depth=2
	s_or_b32 exec_lo, exec_lo, s28
	s_delay_alu instid0(SALU_CYCLE_1)
	s_and_b32 s10, s10, exec_lo
                                        ; implicit-def: $vgpr38
	s_or_saveexec_b32 s27, s27
	v_mov_b32_e32 v37, s26
	s_xor_b32 exec_lo, exec_lo, s27
	s_cbranch_execz .LBB6_8673
.LBB6_8979:                             ;   in Loop: Header=BB6_8318 Depth=2
	v_cmp_ne_u16_e32 vcc_lo, 0, v38
	v_mov_b32_e32 v37, 0
	s_and_not1_b32 s10, s10, exec_lo
	s_and_b32 s26, vcc_lo, exec_lo
	s_delay_alu instid0(SALU_CYCLE_1)
	s_or_b32 s10, s10, s26
	s_or_b32 exec_lo, exec_lo, s27
	s_and_saveexec_b32 s26, s10
	s_cbranch_execnz .LBB6_8674
	s_branch .LBB6_8675
.LBB6_8980:                             ;   in Loop: Header=BB6_8318 Depth=2
	s_mov_b32 s10, -1
	s_mov_b32 s28, exec_lo
                                        ; implicit-def: $sgpr26
	v_cmpx_eq_u16_e32 0x80, v37
; %bb.8981:                             ;   in Loop: Header=BB6_8318 Depth=2
	s_mov_b32 s26, 0x7f800001
	s_xor_b32 s10, exec_lo, -1
; %bb.8982:                             ;   in Loop: Header=BB6_8318 Depth=2
	s_or_b32 exec_lo, exec_lo, s28
	s_delay_alu instid0(SALU_CYCLE_1)
	s_and_b32 s10, s10, exec_lo
                                        ; implicit-def: $vgpr37
	s_or_saveexec_b32 s27, s27
	v_mov_b32_e32 v16, s26
	s_xor_b32 exec_lo, exec_lo, s27
	s_cbranch_execz .LBB6_8680
.LBB6_8983:                             ;   in Loop: Header=BB6_8318 Depth=2
	v_cmp_ne_u16_e32 vcc_lo, 0, v37
	v_mov_b32_e32 v16, 0
	s_and_not1_b32 s10, s10, exec_lo
	s_and_b32 s26, vcc_lo, exec_lo
	s_delay_alu instid0(SALU_CYCLE_1)
	s_or_b32 s10, s10, s26
	s_or_b32 exec_lo, exec_lo, s27
	s_and_saveexec_b32 s26, s10
	s_cbranch_execnz .LBB6_8681
	s_branch .LBB6_8682
.LBB6_8984:                             ;   in Loop: Header=BB6_8318 Depth=2
	s_mov_b32 s10, -1
	s_mov_b32 s28, exec_lo
                                        ; implicit-def: $sgpr26
	v_cmpx_eq_u16_e32 0x80, v38
; %bb.8985:                             ;   in Loop: Header=BB6_8318 Depth=2
	s_mov_b32 s26, 0x7f800001
	s_xor_b32 s10, exec_lo, -1
; %bb.8986:                             ;   in Loop: Header=BB6_8318 Depth=2
	s_or_b32 exec_lo, exec_lo, s28
	s_delay_alu instid0(SALU_CYCLE_1)
	s_and_b32 s10, s10, exec_lo
                                        ; implicit-def: $vgpr38
	s_or_saveexec_b32 s27, s27
	v_mov_b32_e32 v37, s26
	s_xor_b32 exec_lo, exec_lo, s27
	s_cbranch_execz .LBB6_8684
.LBB6_8987:                             ;   in Loop: Header=BB6_8318 Depth=2
	v_cmp_ne_u16_e32 vcc_lo, 0, v38
	v_mov_b32_e32 v37, 0
	s_and_not1_b32 s10, s10, exec_lo
	s_and_b32 s26, vcc_lo, exec_lo
	s_delay_alu instid0(SALU_CYCLE_1)
	s_or_b32 s10, s10, s26
	s_or_b32 exec_lo, exec_lo, s27
	s_and_saveexec_b32 s26, s10
	s_cbranch_execnz .LBB6_8685
	s_branch .LBB6_8686
.LBB6_8988:                             ;   in Loop: Header=BB6_8318 Depth=2
	s_mov_b32 s10, -1
	s_mov_b32 s28, exec_lo
                                        ; implicit-def: $sgpr26
	v_cmpx_eq_u16_e32 0x80, v38
; %bb.8989:                             ;   in Loop: Header=BB6_8318 Depth=2
	s_mov_b32 s26, 0x7f800001
	s_xor_b32 s10, exec_lo, -1
; %bb.8990:                             ;   in Loop: Header=BB6_8318 Depth=2
	s_or_b32 exec_lo, exec_lo, s28
	s_delay_alu instid0(SALU_CYCLE_1)
	s_and_b32 s10, s10, exec_lo
	s_or_saveexec_b32 s27, s27
	v_mov_b32_e32 v39, s26
	s_xor_b32 exec_lo, exec_lo, s27
	s_cbranch_execz .LBB6_8698
.LBB6_8991:                             ;   in Loop: Header=BB6_8318 Depth=2
	v_cmp_ne_u16_e32 vcc_lo, 0, v38
	v_mov_b32_e32 v39, 0
	s_and_not1_b32 s10, s10, exec_lo
	s_and_b32 s26, vcc_lo, exec_lo
	s_delay_alu instid0(SALU_CYCLE_1)
	s_or_b32 s10, s10, s26
	s_or_b32 exec_lo, exec_lo, s27
	s_and_saveexec_b32 s26, s10
	s_cbranch_execnz .LBB6_8699
	s_branch .LBB6_8700
.LBB6_8992:                             ;   in Loop: Header=BB6_8318 Depth=2
	s_mov_b32 s10, -1
	s_mov_b32 s28, exec_lo
                                        ; implicit-def: $sgpr26
	v_cmpx_eq_u16_e32 0x80, v37
; %bb.8993:                             ;   in Loop: Header=BB6_8318 Depth=2
	s_mov_b32 s26, 0x7f800001
	s_xor_b32 s10, exec_lo, -1
; %bb.8994:                             ;   in Loop: Header=BB6_8318 Depth=2
	s_or_b32 exec_lo, exec_lo, s28
	s_delay_alu instid0(SALU_CYCLE_1)
	s_and_b32 s10, s10, exec_lo
	s_or_saveexec_b32 s27, s27
	v_mov_b32_e32 v48, s26
	s_xor_b32 exec_lo, exec_lo, s27
	s_cbranch_execz .LBB6_8702
.LBB6_8995:                             ;   in Loop: Header=BB6_8318 Depth=2
	v_cmp_ne_u16_e32 vcc_lo, 0, v37
	v_mov_b32_e32 v48, 0
	s_and_not1_b32 s10, s10, exec_lo
	s_and_b32 s26, vcc_lo, exec_lo
	s_delay_alu instid0(SALU_CYCLE_1)
	s_or_b32 s10, s10, s26
	s_or_b32 exec_lo, exec_lo, s27
	s_and_saveexec_b32 s26, s10
	s_cbranch_execnz .LBB6_8703
	s_branch .LBB6_8704
.LBB6_8996:                             ;   in Loop: Header=BB6_8318 Depth=2
	s_mov_b32 s10, -1
	s_mov_b32 s28, exec_lo
                                        ; implicit-def: $sgpr26
	v_cmpx_eq_u16_e32 0x80, v38
; %bb.8997:                             ;   in Loop: Header=BB6_8318 Depth=2
	s_mov_b32 s26, 0x7f800001
	s_xor_b32 s10, exec_lo, -1
; %bb.8998:                             ;   in Loop: Header=BB6_8318 Depth=2
	s_or_b32 exec_lo, exec_lo, s28
	s_delay_alu instid0(SALU_CYCLE_1)
	s_and_b32 s10, s10, exec_lo
	s_or_saveexec_b32 s27, s27
	v_mov_b32_e32 v39, s26
	s_xor_b32 exec_lo, exec_lo, s27
	s_cbranch_execz .LBB6_8709
.LBB6_8999:                             ;   in Loop: Header=BB6_8318 Depth=2
	v_cmp_ne_u16_e32 vcc_lo, 0, v38
	v_mov_b32_e32 v39, 0
	s_and_not1_b32 s10, s10, exec_lo
	s_and_b32 s26, vcc_lo, exec_lo
	s_delay_alu instid0(SALU_CYCLE_1)
	s_or_b32 s10, s10, s26
	s_or_b32 exec_lo, exec_lo, s27
	s_and_saveexec_b32 s26, s10
	s_cbranch_execnz .LBB6_8710
	s_branch .LBB6_8711
.LBB6_9000:                             ;   in Loop: Header=BB6_8318 Depth=2
	s_mov_b32 s10, -1
	s_mov_b32 s28, exec_lo
                                        ; implicit-def: $sgpr26
	v_cmpx_eq_u16_e32 0x80, v37
; %bb.9001:                             ;   in Loop: Header=BB6_8318 Depth=2
	s_mov_b32 s26, 0x7f800001
	s_xor_b32 s10, exec_lo, -1
; %bb.9002:                             ;   in Loop: Header=BB6_8318 Depth=2
	s_or_b32 exec_lo, exec_lo, s28
	s_delay_alu instid0(SALU_CYCLE_1)
	s_and_b32 s10, s10, exec_lo
	s_or_saveexec_b32 s27, s27
	v_mov_b32_e32 v38, s26
	s_xor_b32 exec_lo, exec_lo, s27
	s_cbranch_execz .LBB6_8713
.LBB6_9003:                             ;   in Loop: Header=BB6_8318 Depth=2
	v_cmp_ne_u16_e32 vcc_lo, 0, v37
	v_mov_b32_e32 v38, 0
	s_and_not1_b32 s10, s10, exec_lo
	s_and_b32 s26, vcc_lo, exec_lo
	s_delay_alu instid0(SALU_CYCLE_1)
	s_or_b32 s10, s10, s26
	s_or_b32 exec_lo, exec_lo, s27
	s_and_saveexec_b32 s26, s10
	s_cbranch_execnz .LBB6_8714
	s_branch .LBB6_8715
.LBB6_9004:                             ;   in Loop: Header=BB6_8318 Depth=2
	s_mov_b32 s10, -1
	s_mov_b32 s28, exec_lo
                                        ; implicit-def: $sgpr26
	v_cmpx_eq_u16_e32 0x80, v49
; %bb.9005:                             ;   in Loop: Header=BB6_8318 Depth=2
	s_mov_b32 s26, 0x7f800001
	s_xor_b32 s10, exec_lo, -1
; %bb.9006:                             ;   in Loop: Header=BB6_8318 Depth=2
	s_or_b32 exec_lo, exec_lo, s28
	s_delay_alu instid0(SALU_CYCLE_1)
	s_and_b32 s10, s10, exec_lo
                                        ; implicit-def: $vgpr49
	s_or_saveexec_b32 s27, s27
	v_mov_b32_e32 v48, s26
	s_xor_b32 exec_lo, exec_lo, s27
	s_cbranch_execz .LBB6_8727
.LBB6_9007:                             ;   in Loop: Header=BB6_8318 Depth=2
	v_cmp_ne_u16_e32 vcc_lo, 0, v49
	v_mov_b32_e32 v48, 0
	s_and_not1_b32 s10, s10, exec_lo
	s_and_b32 s26, vcc_lo, exec_lo
	s_delay_alu instid0(SALU_CYCLE_1)
	s_or_b32 s10, s10, s26
	s_or_b32 exec_lo, exec_lo, s27
	s_and_saveexec_b32 s26, s10
	s_cbranch_execnz .LBB6_8728
	s_branch .LBB6_8729
.LBB6_9008:                             ;   in Loop: Header=BB6_8318 Depth=2
	s_mov_b32 s10, -1
	s_mov_b32 s28, exec_lo
                                        ; implicit-def: $sgpr26
	v_cmpx_eq_u16_e32 0x80, v50
; %bb.9009:                             ;   in Loop: Header=BB6_8318 Depth=2
	s_mov_b32 s26, 0x7f800001
	s_xor_b32 s10, exec_lo, -1
; %bb.9010:                             ;   in Loop: Header=BB6_8318 Depth=2
	s_or_b32 exec_lo, exec_lo, s28
	s_delay_alu instid0(SALU_CYCLE_1)
	s_and_b32 s10, s10, exec_lo
                                        ; implicit-def: $vgpr50
	s_or_saveexec_b32 s27, s27
	v_mov_b32_e32 v49, s26
	s_xor_b32 exec_lo, exec_lo, s27
	s_cbranch_execz .LBB6_8731
.LBB6_9011:                             ;   in Loop: Header=BB6_8318 Depth=2
	v_cmp_ne_u16_e32 vcc_lo, 0, v50
	v_mov_b32_e32 v49, 0
	s_and_not1_b32 s10, s10, exec_lo
	s_and_b32 s26, vcc_lo, exec_lo
	s_delay_alu instid0(SALU_CYCLE_1)
	s_or_b32 s10, s10, s26
	s_or_b32 exec_lo, exec_lo, s27
	s_and_saveexec_b32 s26, s10
	s_cbranch_execnz .LBB6_8732
	s_branch .LBB6_8733
.LBB6_9012:                             ;   in Loop: Header=BB6_8318 Depth=2
	s_mov_b32 s10, -1
	s_mov_b32 s28, exec_lo
                                        ; implicit-def: $sgpr26
	v_cmpx_eq_u16_e32 0x80, v49
; %bb.9013:                             ;   in Loop: Header=BB6_8318 Depth=2
	s_mov_b32 s26, 0x7f800001
	s_xor_b32 s10, exec_lo, -1
; %bb.9014:                             ;   in Loop: Header=BB6_8318 Depth=2
	s_or_b32 exec_lo, exec_lo, s28
	s_delay_alu instid0(SALU_CYCLE_1)
	s_and_b32 s10, s10, exec_lo
                                        ; implicit-def: $vgpr49
	s_or_saveexec_b32 s27, s27
	v_mov_b32_e32 v48, s26
	s_xor_b32 exec_lo, exec_lo, s27
	s_cbranch_execz .LBB6_8738
.LBB6_9015:                             ;   in Loop: Header=BB6_8318 Depth=2
	v_cmp_ne_u16_e32 vcc_lo, 0, v49
	v_mov_b32_e32 v48, 0
	s_and_not1_b32 s10, s10, exec_lo
	s_and_b32 s26, vcc_lo, exec_lo
	s_delay_alu instid0(SALU_CYCLE_1)
	s_or_b32 s10, s10, s26
	s_or_b32 exec_lo, exec_lo, s27
	s_and_saveexec_b32 s26, s10
	s_cbranch_execnz .LBB6_8739
	s_branch .LBB6_8740
.LBB6_9016:                             ;   in Loop: Header=BB6_8318 Depth=2
	s_mov_b32 s10, -1
	s_mov_b32 s28, exec_lo
                                        ; implicit-def: $sgpr26
	v_cmpx_eq_u16_e32 0x80, v49
; %bb.9017:                             ;   in Loop: Header=BB6_8318 Depth=2
	s_mov_b32 s26, 0x7f800001
	s_xor_b32 s10, exec_lo, -1
; %bb.9018:                             ;   in Loop: Header=BB6_8318 Depth=2
	s_or_b32 exec_lo, exec_lo, s28
	s_delay_alu instid0(SALU_CYCLE_1)
	s_and_b32 s10, s10, exec_lo
                                        ; implicit-def: $vgpr49
	s_or_saveexec_b32 s27, s27
	v_mov_b32_e32 v39, s26
	s_xor_b32 exec_lo, exec_lo, s27
	s_cbranch_execz .LBB6_8742
.LBB6_9019:                             ;   in Loop: Header=BB6_8318 Depth=2
	v_cmp_ne_u16_e32 vcc_lo, 0, v49
	v_mov_b32_e32 v39, 0
	s_and_not1_b32 s10, s10, exec_lo
	s_and_b32 s26, vcc_lo, exec_lo
	s_delay_alu instid0(SALU_CYCLE_1)
	s_or_b32 s10, s10, s26
	s_or_b32 exec_lo, exec_lo, s27
	s_and_saveexec_b32 s26, s10
	s_cbranch_execnz .LBB6_8743
	s_branch .LBB6_8744
.LBB6_9020:                             ;   in Loop: Header=BB6_8318 Depth=2
	s_mov_b32 s10, -1
	s_mov_b32 s28, exec_lo
                                        ; implicit-def: $sgpr26
	v_cmpx_eq_u16_e32 0x80, v48
; %bb.9021:                             ;   in Loop: Header=BB6_8318 Depth=2
	s_mov_b32 s26, 0x7f800001
	s_xor_b32 s10, exec_lo, -1
; %bb.9022:                             ;   in Loop: Header=BB6_8318 Depth=2
	s_or_b32 exec_lo, exec_lo, s28
	s_delay_alu instid0(SALU_CYCLE_1)
	s_and_b32 s10, s10, exec_lo
	s_or_saveexec_b32 s27, s27
	v_mov_b32_e32 v49, s26
	s_xor_b32 exec_lo, exec_lo, s27
	s_cbranch_execz .LBB6_8756
.LBB6_9023:                             ;   in Loop: Header=BB6_8318 Depth=2
	v_cmp_ne_u16_e32 vcc_lo, 0, v48
	v_mov_b32_e32 v49, 0
	s_and_not1_b32 s10, s10, exec_lo
	s_and_b32 s26, vcc_lo, exec_lo
	s_delay_alu instid0(SALU_CYCLE_1)
	s_or_b32 s10, s10, s26
	s_or_b32 exec_lo, exec_lo, s27
	s_and_saveexec_b32 s26, s10
	s_cbranch_execnz .LBB6_8757
	s_branch .LBB6_8758
.LBB6_9024:                             ;   in Loop: Header=BB6_8318 Depth=2
	s_mov_b32 s10, -1
	s_mov_b32 s28, exec_lo
                                        ; implicit-def: $sgpr26
	v_cmpx_eq_u16_e32 0x80, v39
; %bb.9025:                             ;   in Loop: Header=BB6_8318 Depth=2
	s_mov_b32 s26, 0x7f800001
	s_xor_b32 s10, exec_lo, -1
; %bb.9026:                             ;   in Loop: Header=BB6_8318 Depth=2
	s_or_b32 exec_lo, exec_lo, s28
	s_delay_alu instid0(SALU_CYCLE_1)
	s_and_b32 s10, s10, exec_lo
	s_or_saveexec_b32 s27, s27
	v_mov_b32_e32 v50, s26
	s_xor_b32 exec_lo, exec_lo, s27
	s_cbranch_execz .LBB6_8760
.LBB6_9027:                             ;   in Loop: Header=BB6_8318 Depth=2
	v_cmp_ne_u16_e32 vcc_lo, 0, v39
	v_mov_b32_e32 v50, 0
	s_and_not1_b32 s10, s10, exec_lo
	s_and_b32 s26, vcc_lo, exec_lo
	s_delay_alu instid0(SALU_CYCLE_1)
	s_or_b32 s10, s10, s26
	s_or_b32 exec_lo, exec_lo, s27
	s_and_saveexec_b32 s26, s10
	s_cbranch_execnz .LBB6_8761
	s_branch .LBB6_8762
.LBB6_9028:                             ;   in Loop: Header=BB6_8318 Depth=2
	s_mov_b32 s10, -1
	s_mov_b32 s28, exec_lo
                                        ; implicit-def: $sgpr26
	v_cmpx_eq_u16_e32 0x80, v48
; %bb.9029:                             ;   in Loop: Header=BB6_8318 Depth=2
	s_mov_b32 s26, 0x7f800001
	s_xor_b32 s10, exec_lo, -1
; %bb.9030:                             ;   in Loop: Header=BB6_8318 Depth=2
	s_or_b32 exec_lo, exec_lo, s28
	s_delay_alu instid0(SALU_CYCLE_1)
	s_and_b32 s10, s10, exec_lo
	s_or_saveexec_b32 s27, s27
	v_mov_b32_e32 v49, s26
	s_xor_b32 exec_lo, exec_lo, s27
	s_cbranch_execz .LBB6_8767
.LBB6_9031:                             ;   in Loop: Header=BB6_8318 Depth=2
	v_cmp_ne_u16_e32 vcc_lo, 0, v48
	v_mov_b32_e32 v49, 0
	s_and_not1_b32 s10, s10, exec_lo
	s_and_b32 s26, vcc_lo, exec_lo
	s_delay_alu instid0(SALU_CYCLE_1)
	s_or_b32 s10, s10, s26
	s_or_b32 exec_lo, exec_lo, s27
	s_and_saveexec_b32 s26, s10
	s_cbranch_execnz .LBB6_8768
	s_branch .LBB6_8769
.LBB6_9032:                             ;   in Loop: Header=BB6_8318 Depth=2
	s_mov_b32 s10, -1
	s_mov_b32 s28, exec_lo
                                        ; implicit-def: $sgpr26
	v_cmpx_eq_u16_e32 0x80, v39
; %bb.9033:                             ;   in Loop: Header=BB6_8318 Depth=2
	s_mov_b32 s26, 0x7f800001
	s_xor_b32 s10, exec_lo, -1
; %bb.9034:                             ;   in Loop: Header=BB6_8318 Depth=2
	s_or_b32 exec_lo, exec_lo, s28
	s_delay_alu instid0(SALU_CYCLE_1)
	s_and_b32 s10, s10, exec_lo
	s_or_saveexec_b32 s27, s27
	v_mov_b32_e32 v17, s26
	s_xor_b32 exec_lo, exec_lo, s27
	s_cbranch_execz .LBB6_8771
.LBB6_9035:                             ;   in Loop: Header=BB6_8318 Depth=2
	v_cmp_ne_u16_e32 vcc_lo, 0, v39
	v_mov_b32_e32 v17, 0
	s_and_not1_b32 s10, s10, exec_lo
	s_and_b32 s26, vcc_lo, exec_lo
	s_delay_alu instid0(SALU_CYCLE_1)
	s_or_b32 s10, s10, s26
	s_or_b32 exec_lo, exec_lo, s27
	s_and_saveexec_b32 s26, s10
	s_cbranch_execnz .LBB6_8772
	s_branch .LBB6_8773
.LBB6_9036:                             ;   in Loop: Header=BB6_5345 Depth=1
	s_or_b32 exec_lo, exec_lo, s24
.LBB6_9037:                             ;   in Loop: Header=BB6_5345 Depth=1
	s_delay_alu instid0(SALU_CYCLE_1) | instskip(SKIP_3) | instid1(VALU_DEP_1)
	s_or_b32 exec_lo, exec_lo, s23
	v_dual_mov_b32 v16, 0 :: v_dual_and_b32 v11, 15, v134
	s_mov_b32 s10, 0
	s_mov_b32 s23, exec_lo
                                        ; implicit-def: $vgpr18
                                        ; implicit-def: $vgpr10
	v_cndmask_b32_e64 v17, v25, v11, s7
	s_delay_alu instid0(VALU_DEP_1)
	v_cmpx_ne_u32_e32 0, v17
	s_cbranch_execz .LBB6_9039
; %bb.9038:                             ;   in Loop: Header=BB6_5345 Depth=1
	v_cmp_lt_i32_e32 vcc_lo, 0, v26
	v_sub_nc_u32_e32 v11, v25, v11
	v_and_b32_e32 v12, 0x3ffffe00, v134
	s_mov_b32 s10, exec_lo
	v_cndmask_b32_e32 v10, 0, v87, vcc_lo
	s_delay_alu instid0(VALU_DEP_3) | instskip(NEXT) | instid1(VALU_DEP_2)
	v_cndmask_b32_e64 v11, 0, v11, s7
	v_sub_nc_u32_e32 v10, v10, v26
	s_delay_alu instid0(VALU_DEP_2) | instskip(NEXT) | instid1(VALU_DEP_2)
	v_add_nc_u32_e32 v16, v11, v12
	v_lshl_add_u32 v18, v10, 5, v24
	s_delay_alu instid0(VALU_DEP_1) | instskip(NEXT) | instid1(VALU_DEP_1)
	v_ashrrev_i32_e32 v10, 31, v18
	v_lshrrev_b32_e32 v10, 27, v10
	s_delay_alu instid0(VALU_DEP_1) | instskip(NEXT) | instid1(VALU_DEP_1)
	v_add_nc_u32_e32 v10, v18, v10
	v_ashrrev_i32_e32 v10, 5, v10
.LBB6_9039:                             ;   in Loop: Header=BB6_5345 Depth=1
	s_or_b32 exec_lo, exec_lo, s23
	s_delay_alu instid0(SALU_CYCLE_1)
	s_and_b32 s7, s10, exec_lo
.LBB6_9040:                             ;   in Loop: Header=BB6_5345 Depth=1
	s_or_b32 exec_lo, exec_lo, s22
.LBB6_9041:                             ;   in Loop: Header=BB6_5345 Depth=1
	s_and_saveexec_b32 s10, s7
	s_cbranch_execz .LBB6_10537
; %bb.9042:                             ;   in Loop: Header=BB6_5345 Depth=1
	s_delay_alu instid0(VALU_DEP_1) | instskip(SKIP_1) | instid1(VALU_DEP_1)
	v_ashrrev_i32_e32 v11, 31, v17
	s_mov_b32 s22, exec_lo
	v_lshrrev_b32_e32 v11, 22, v11
	s_delay_alu instid0(VALU_DEP_1) | instskip(NEXT) | instid1(VALU_DEP_1)
	v_add_nc_u32_e32 v11, v17, v11
	v_ashrrev_i32_e32 v20, 10, v11
	s_waitcnt vmcnt(0)
	s_delay_alu instid0(VALU_DEP_1) | instskip(NEXT) | instid1(VALU_DEP_1)
	v_sub_nc_u32_e32 v19, v20, v10
	v_cmpx_lt_i32_e32 0, v19
	s_cbranch_execz .LBB6_10487
; %bb.9043:                             ;   in Loop: Header=BB6_5345 Depth=1
	s_cbranch_execnz .LBB6_11051
; %bb.9044:                             ;   in Loop: Header=BB6_5345 Depth=1
	v_ashrrev_i32_e32 v11, 31, v18
	ds_load_b64 v[21:22], v0
	v_lshlrev_b32_e32 v10, 10, v10
	s_bitcmp1_b32 s21, 0
	s_mov_b32 s24, 0
	v_lshrrev_b32_e32 v11, 27, v11
	s_cselect_b32 s23, -1, 0
	s_delay_alu instid0(VALU_DEP_1) | instskip(NEXT) | instid1(VALU_DEP_1)
	v_add_nc_u32_e32 v11, v18, v11
	v_and_b32_e32 v15, 0xffffffe0, v11
	ds_load_b128 v[11:14], v0
	v_sub_nc_u32_e32 v15, v18, v15
	s_waitcnt lgkmcnt(1)
	v_add_co_u32 v21, vcc_lo, 0x3e0, v21
	v_add_co_ci_u32_e32 v22, vcc_lo, 0, v22, vcc_lo
	s_delay_alu instid0(VALU_DEP_3) | instskip(NEXT) | instid1(VALU_DEP_1)
	v_add3_u32 v15, v16, v15, v10
	v_ashrrev_i32_e32 v23, 31, v15
	s_waitcnt lgkmcnt(0)
	v_add_co_u32 v10, vcc_lo, v11, v15
	s_delay_alu instid0(VALU_DEP_2)
	v_add_co_ci_u32_e32 v11, vcc_lo, v12, v23, vcc_lo
	v_add_co_u32 v12, vcc_lo, v13, v15
	v_add_co_ci_u32_e32 v13, vcc_lo, v14, v23, vcc_lo
	v_add_co_u32 v14, vcc_lo, v21, v15
	v_add_co_ci_u32_e32 v15, vcc_lo, v22, v23, vcc_lo
	s_branch .LBB6_9048
.LBB6_9045:                             ;   in Loop: Header=BB6_9048 Depth=2
	s_or_b32 exec_lo, exec_lo, s7
	s_delay_alu instid0(VALU_DEP_1) | instskip(NEXT) | instid1(VALU_DEP_2)
	v_lshrrev_b32_e32 v22, 20, v22
	v_cmp_gt_i32_e32 vcc_lo, 16, v21
	v_lshrrev_b32_e32 v25, 24, v28
	v_min_i32_e32 v28, 15, v21
	s_delay_alu instid0(VALU_DEP_2) | instskip(NEXT) | instid1(VALU_DEP_1)
	v_dual_cndmask_b32 v22, 7, v22 :: v_dual_and_b32 v25, 0x80, v25
	v_or_b32_e32 v21, v21, v22
	v_and_b32_e32 v33, 7, v22
	s_delay_alu instid0(VALU_DEP_2) | instskip(SKIP_1) | instid1(VALU_DEP_1)
	v_cmp_ne_u32_e32 vcc_lo, 0, v21
	v_lshlrev_b32_e32 v28, 3, v28
	v_or3_b32 v22, v28, v25, v33
	s_delay_alu instid0(VALU_DEP_1)
	v_cndmask_b32_e32 v21, 0, v22, vcc_lo
.LBB6_9046:                             ;   in Loop: Header=BB6_9048 Depth=2
	s_or_b32 exec_lo, exec_lo, s26
.LBB6_9047:                             ;   in Loop: Header=BB6_9048 Depth=2
	s_delay_alu instid0(SALU_CYCLE_1)
	s_or_b32 exec_lo, exec_lo, s25
	v_add_co_u32 v180, vcc_lo, 0xfffffc20, v14
	v_add_co_ci_u32_e32 v181, vcc_lo, -1, v15, vcc_lo
	v_add_co_u32 v22, vcc_lo, 0xfffffc40, v14
	v_sub_nc_u32_e32 v19, v19, v87
	flat_store_b8 v[180:181], v23 glc slc dlc
	v_add_co_ci_u32_e32 v23, vcc_lo, -1, v15, vcc_lo
	v_add_co_u32 v180, vcc_lo, 0xfffffc60, v14
	v_add_co_ci_u32_e32 v181, vcc_lo, -1, v15, vcc_lo
	v_add_co_u32 v182, vcc_lo, 0xfffffc80, v14
	v_add_co_ci_u32_e32 v183, vcc_lo, -1, v15, vcc_lo
	v_add_co_u32 v39, vcc_lo, 0xfffffca0, v14
	v_add_co_ci_u32_e32 v40, vcc_lo, -1, v15, vcc_lo
	v_add_co_u32 v41, vcc_lo, 0xfffffcc0, v14
	v_add_co_ci_u32_e32 v42, vcc_lo, -1, v15, vcc_lo
	flat_store_b8 v[22:23], v26 glc slc dlc
	flat_store_b8 v[180:181], v29 glc slc dlc
	flat_store_b8 v[182:183], v34 glc slc dlc
	flat_store_b8 v[39:40], v37 glc slc dlc
	flat_store_b8 v[41:42], v48 glc slc dlc
	v_add_co_u32 v22, vcc_lo, 0xfffffce0, v14
	v_add_co_ci_u32_e32 v23, vcc_lo, -1, v15, vcc_lo
	v_add_co_u32 v25, vcc_lo, 0xfffffd00, v14
	v_add_co_ci_u32_e32 v26, vcc_lo, -1, v15, vcc_lo
	v_add_co_u32 v28, vcc_lo, 0xfffffd20, v14
	v_add_co_ci_u32_e32 v29, vcc_lo, -1, v15, vcc_lo
	v_add_co_u32 v33, vcc_lo, 0xfffffd40, v14
	v_add_co_ci_u32_e32 v34, vcc_lo, -1, v15, vcc_lo
	v_add_co_u32 v36, vcc_lo, 0xfffffd60, v14
	v_add_co_ci_u32_e32 v37, vcc_lo, -1, v15, vcc_lo
	flat_store_b8 v[22:23], v51 glc slc dlc
	flat_store_b8 v[25:26], v96 glc slc dlc
	flat_store_b8 v[28:29], v99 glc slc dlc
	flat_store_b8 v[33:34], v145 glc slc dlc
	flat_store_b8 v[36:37], v148 glc slc dlc
	v_add_co_u32 v22, vcc_lo, 0xfffffd80, v14
	;; [unrolled: 15-line block ×5, first 2 shown]
	v_add_co_ci_u32_e32 v23, vcc_lo, -1, v15, vcc_lo
	v_add_co_u32 v25, vcc_lo, 0xffffff80, v14
	v_add_co_ci_u32_e32 v26, vcc_lo, -1, v15, vcc_lo
	v_add_co_u32 v28, vcc_lo, 0xffffffa0, v14
	;; [unrolled: 2-line block ×5, first 2 shown]
	v_add_co_ci_u32_e32 v11, vcc_lo, v11, v130, vcc_lo
	v_add_co_u32 v12, vcc_lo, v12, v129
	v_add_co_ci_u32_e32 v13, vcc_lo, v13, v130, vcc_lo
	flat_store_b8 v[22:23], v38 glc slc dlc
	flat_store_b8 v[25:26], v35 glc slc dlc
	;; [unrolled: 1-line block ×6, first 2 shown]
	v_cmp_gt_i32_e32 vcc_lo, 1, v19
	v_add_co_u32 v14, s7, v14, v129
	s_delay_alu instid0(VALU_DEP_1) | instskip(SKIP_1) | instid1(SALU_CYCLE_1)
	v_add_co_ci_u32_e64 v15, s7, v15, v130, s7
	s_or_b32 s24, vcc_lo, s24
	s_and_not1_b32 exec_lo, exec_lo, s24
	s_cbranch_execz .LBB6_10486
.LBB6_9048:                             ;   Parent Loop BB6_5345 Depth=1
                                        ; =>  This Inner Loop Header: Depth=2
	s_clause 0x1f
	flat_load_u8 v59, v[10:11] slc dlc
	flat_load_u8 v58, v[10:11] offset:32 slc dlc
	flat_load_u8 v57, v[10:11] offset:64 slc dlc
	;; [unrolled: 1-line block ×31, first 2 shown]
	s_clause 0x1f
	flat_load_u8 v23, v[12:13] slc dlc
	flat_load_u8 v26, v[12:13] offset:32 slc dlc
	flat_load_u8 v29, v[12:13] offset:64 slc dlc
	;; [unrolled: 1-line block ×31, first 2 shown]
	s_and_b32 vcc_lo, exec_lo, s23
	s_waitcnt vmcnt(62) lgkmcnt(62)
	v_and_b32_e32 v60, 0xff, v59
	s_delay_alu instid0(VALU_DEP_1)
	v_cmp_lt_i16_e64 s7, 0x7f, v60
	s_cbranch_vccz .LBB6_9058
; %bb.9049:                             ;   in Loop: Header=BB6_9048 Depth=2
	s_mov_b32 s25, 0
                                        ; implicit-def: $sgpr26
	s_delay_alu instid0(VALU_DEP_1) | instskip(NEXT) | instid1(SALU_CYCLE_1)
	s_and_saveexec_b32 s27, s7
	s_xor_b32 s7, exec_lo, s27
	s_cbranch_execnz .LBB6_9974
; %bb.9050:                             ;   in Loop: Header=BB6_9048 Depth=2
	s_or_saveexec_b32 s7, s7
	v_mov_b32_e32 v61, s26
	s_xor_b32 exec_lo, exec_lo, s7
	s_cbranch_execnz .LBB6_9977
.LBB6_9051:                             ;   in Loop: Header=BB6_9048 Depth=2
	s_or_b32 exec_lo, exec_lo, s7
	s_and_saveexec_b32 s7, s25
	s_cbranch_execz .LBB6_9053
.LBB6_9052:                             ;   in Loop: Header=BB6_9048 Depth=2
	v_lshrrev_b16 v72, 3, v59
	v_lshlrev_b32_e32 v73, 24, v59
	s_delay_alu instid0(VALU_DEP_2) | instskip(NEXT) | instid1(VALU_DEP_1)
	v_and_b32_e32 v72, 15, v72
	v_cmp_eq_u32_e32 vcc_lo, 0, v72
	v_and_b32_e32 v61, 7, v59
	s_delay_alu instid0(VALU_DEP_1) | instskip(NEXT) | instid1(VALU_DEP_1)
	v_clz_i32_u32_e32 v62, v61
	v_min_u32_e32 v62, 32, v62
	s_delay_alu instid0(VALU_DEP_1) | instskip(SKIP_1) | instid1(VALU_DEP_1)
	v_subrev_nc_u32_e32 v63, 28, v62
	v_sub_nc_u32_e32 v62, 29, v62
	v_dual_cndmask_b32 v62, v72, v62 :: v_dual_lshlrev_b32 v63, v63, v59
	s_delay_alu instid0(VALU_DEP_1) | instskip(NEXT) | instid1(VALU_DEP_2)
	v_and_b32_e32 v63, 7, v63
	v_lshl_add_u32 v62, v62, 23, 0x3b800000
	s_delay_alu instid0(VALU_DEP_2) | instskip(SKIP_1) | instid1(VALU_DEP_2)
	v_cndmask_b32_e32 v61, v61, v63, vcc_lo
	v_and_b32_e32 v63, 0x80000000, v73
	v_lshlrev_b32_e32 v61, 20, v61
	s_delay_alu instid0(VALU_DEP_1)
	v_or3_b32 v61, v63, v62, v61
.LBB6_9053:                             ;   in Loop: Header=BB6_9048 Depth=2
	s_or_b32 exec_lo, exec_lo, s7
	s_waitcnt vmcnt(31) lgkmcnt(31)
	v_and_b32_e32 v63, 0xff, v23
	s_mov_b32 s7, 0
	s_mov_b32 s26, exec_lo
                                        ; implicit-def: $sgpr25
	s_delay_alu instid0(VALU_DEP_1)
	v_cmpx_lt_i16_e32 0x7f, v63
	s_xor_b32 s26, exec_lo, s26
	s_cbranch_execnz .LBB6_9978
; %bb.9054:                             ;   in Loop: Header=BB6_9048 Depth=2
	s_or_saveexec_b32 s26, s26
	v_mov_b32_e32 v62, s25
	s_xor_b32 exec_lo, exec_lo, s26
	s_cbranch_execnz .LBB6_9981
.LBB6_9055:                             ;   in Loop: Header=BB6_9048 Depth=2
	s_or_b32 exec_lo, exec_lo, s26
	s_and_saveexec_b32 s25, s7
	s_cbranch_execz .LBB6_9057
.LBB6_9056:                             ;   in Loop: Header=BB6_9048 Depth=2
	v_and_b32_e32 v62, 7, v23
	v_lshrrev_b16 v73, 3, v23
	v_lshlrev_b32_e32 v74, 24, v23
	s_delay_alu instid0(VALU_DEP_3) | instskip(NEXT) | instid1(VALU_DEP_1)
	v_clz_i32_u32_e32 v63, v62
	v_min_u32_e32 v63, 32, v63
	s_delay_alu instid0(VALU_DEP_1) | instskip(SKIP_1) | instid1(VALU_DEP_2)
	v_subrev_nc_u32_e32 v72, 28, v63
	v_sub_nc_u32_e32 v63, 29, v63
	v_lshlrev_b32_e32 v72, v72, v23
	s_delay_alu instid0(VALU_DEP_1) | instskip(SKIP_1) | instid1(VALU_DEP_1)
	v_and_b32_e32 v72, 7, v72
	v_and_b32_e32 v73, 15, v73
	v_cmp_eq_u32_e32 vcc_lo, 0, v73
	s_delay_alu instid0(VALU_DEP_3) | instskip(SKIP_1) | instid1(VALU_DEP_2)
	v_dual_cndmask_b32 v62, v62, v72 :: v_dual_cndmask_b32 v63, v73, v63
	v_and_b32_e32 v72, 0x80000000, v74
	v_lshlrev_b32_e32 v62, 20, v62
	s_delay_alu instid0(VALU_DEP_3) | instskip(NEXT) | instid1(VALU_DEP_1)
	v_lshl_add_u32 v63, v63, 23, 0x3b800000
	v_or3_b32 v62, v72, v63, v62
.LBB6_9057:                             ;   in Loop: Header=BB6_9048 Depth=2
	s_or_b32 exec_lo, exec_lo, s25
	s_delay_alu instid0(VALU_DEP_1) | instskip(SKIP_1) | instid1(VALU_DEP_1)
	v_dual_max_f32 v62, v62, v62 :: v_dual_max_f32 v61, v61, v61
	s_mov_b32 s7, 0
	v_max_f32_e32 v61, v61, v62
	s_branch .LBB6_9059
.LBB6_9058:                             ;   in Loop: Header=BB6_9048 Depth=2
	s_mov_b32 s7, -1
                                        ; implicit-def: $vgpr61
.LBB6_9059:                             ;   in Loop: Header=BB6_9048 Depth=2
	s_delay_alu instid0(SALU_CYCLE_1)
	s_and_b32 vcc_lo, exec_lo, s7
	s_cbranch_vccz .LBB6_9069
; %bb.9060:                             ;   in Loop: Header=BB6_9048 Depth=2
	s_mov_b32 s7, 0
	s_mov_b32 s26, exec_lo
                                        ; implicit-def: $sgpr25
	v_cmpx_lt_i16_e32 0x7f, v60
	s_xor_b32 s26, exec_lo, s26
	s_cbranch_execnz .LBB6_9982
; %bb.9061:                             ;   in Loop: Header=BB6_9048 Depth=2
	s_or_saveexec_b32 s26, s26
	v_mov_b32_e32 v61, s25
	s_xor_b32 exec_lo, exec_lo, s26
	s_cbranch_execnz .LBB6_9985
.LBB6_9062:                             ;   in Loop: Header=BB6_9048 Depth=2
	s_or_b32 exec_lo, exec_lo, s26
	s_and_saveexec_b32 s25, s7
	s_cbranch_execz .LBB6_9064
.LBB6_9063:                             ;   in Loop: Header=BB6_9048 Depth=2
	v_lshrrev_b16 v63, 3, v59
	s_delay_alu instid0(VALU_DEP_1) | instskip(NEXT) | instid1(VALU_DEP_1)
	v_and_b32_e32 v63, 15, v63
	v_cmp_eq_u32_e32 vcc_lo, 0, v63
	v_and_b32_e32 v60, 7, v59
	s_delay_alu instid0(VALU_DEP_1) | instskip(NEXT) | instid1(VALU_DEP_1)
	v_clz_i32_u32_e32 v61, v60
	v_min_u32_e32 v61, 32, v61
	s_delay_alu instid0(VALU_DEP_1) | instskip(SKIP_1) | instid1(VALU_DEP_1)
	v_subrev_nc_u32_e32 v62, 28, v61
	v_sub_nc_u32_e32 v61, 29, v61
	v_dual_cndmask_b32 v61, v63, v61 :: v_dual_lshlrev_b32 v62, v62, v59
	v_lshlrev_b32_e32 v59, 24, v59
	s_delay_alu instid0(VALU_DEP_2) | instskip(NEXT) | instid1(VALU_DEP_3)
	v_and_b32_e32 v62, 7, v62
	v_lshl_add_u32 v61, v61, 23, 0x3b800000
	s_delay_alu instid0(VALU_DEP_2) | instskip(NEXT) | instid1(VALU_DEP_1)
	v_dual_cndmask_b32 v60, v60, v62 :: v_dual_and_b32 v59, 0x80000000, v59
	v_lshlrev_b32_e32 v60, 20, v60
	s_delay_alu instid0(VALU_DEP_1)
	v_or3_b32 v61, v59, v61, v60
.LBB6_9064:                             ;   in Loop: Header=BB6_9048 Depth=2
	s_or_b32 exec_lo, exec_lo, s25
	s_waitcnt vmcnt(31) lgkmcnt(31)
	v_and_b32_e32 v60, 0xff, v23
	s_mov_b32 s7, 0
	s_mov_b32 s26, exec_lo
                                        ; implicit-def: $sgpr25
	s_delay_alu instid0(VALU_DEP_1)
	v_cmpx_lt_i16_e32 0x7f, v60
	s_xor_b32 s26, exec_lo, s26
	s_cbranch_execnz .LBB6_9986
; %bb.9065:                             ;   in Loop: Header=BB6_9048 Depth=2
	s_or_saveexec_b32 s26, s26
	v_mov_b32_e32 v59, s25
	s_xor_b32 exec_lo, exec_lo, s26
	s_cbranch_execnz .LBB6_9989
.LBB6_9066:                             ;   in Loop: Header=BB6_9048 Depth=2
	s_or_b32 exec_lo, exec_lo, s26
	s_and_saveexec_b32 s25, s7
	s_cbranch_execz .LBB6_9068
.LBB6_9067:                             ;   in Loop: Header=BB6_9048 Depth=2
	v_lshrrev_b16 v63, 3, v23
	s_delay_alu instid0(VALU_DEP_1) | instskip(NEXT) | instid1(VALU_DEP_1)
	v_and_b32_e32 v63, 15, v63
	v_cmp_eq_u32_e32 vcc_lo, 0, v63
	v_and_b32_e32 v59, 7, v23
	s_delay_alu instid0(VALU_DEP_1) | instskip(NEXT) | instid1(VALU_DEP_1)
	v_clz_i32_u32_e32 v60, v59
	v_min_u32_e32 v60, 32, v60
	s_delay_alu instid0(VALU_DEP_1) | instskip(SKIP_1) | instid1(VALU_DEP_2)
	v_subrev_nc_u32_e32 v62, 28, v60
	v_sub_nc_u32_e32 v60, 29, v60
	v_lshlrev_b32_e32 v62, v62, v23
	s_delay_alu instid0(VALU_DEP_2) | instskip(NEXT) | instid1(VALU_DEP_2)
	v_dual_cndmask_b32 v60, v63, v60 :: v_dual_lshlrev_b32 v23, 24, v23
	v_and_b32_e32 v62, 7, v62
	s_delay_alu instid0(VALU_DEP_2) | instskip(NEXT) | instid1(VALU_DEP_3)
	v_lshl_add_u32 v60, v60, 23, 0x3b800000
	v_and_b32_e32 v23, 0x80000000, v23
	s_delay_alu instid0(VALU_DEP_3) | instskip(NEXT) | instid1(VALU_DEP_1)
	v_cndmask_b32_e32 v59, v59, v62, vcc_lo
	v_lshlrev_b32_e32 v59, 20, v59
	s_delay_alu instid0(VALU_DEP_1)
	v_or3_b32 v59, v23, v60, v59
.LBB6_9068:                             ;   in Loop: Header=BB6_9048 Depth=2
	s_or_b32 exec_lo, exec_lo, s25
	s_delay_alu instid0(VALU_DEP_1) | instskip(SKIP_1) | instid1(VALU_DEP_1)
	v_max_f32_e32 v23, v59, v59
	v_max_f32_e32 v59, v61, v61
	v_min_f32_e32 v61, v59, v23
.LBB6_9069:                             ;   in Loop: Header=BB6_9048 Depth=2
	s_waitcnt vmcnt(31) lgkmcnt(31)
	s_delay_alu instid0(VALU_DEP_1) | instskip(NEXT) | instid1(VALU_DEP_1)
	v_and_b32_e32 v23, 0x7f800000, v61
	v_cmp_ne_u32_e32 vcc_lo, 0x7f800000, v23
	v_mov_b32_e32 v23, 0x80
	s_and_saveexec_b32 s25, vcc_lo
	s_cbranch_execz .LBB6_9077
; %bb.9070:                             ;   in Loop: Header=BB6_9048 Depth=2
	v_mov_b32_e32 v23, 0
	s_mov_b32 s26, exec_lo
	v_cmpx_ne_u32_e32 0, v61
	s_cbranch_execz .LBB6_9076
; %bb.9071:                             ;   in Loop: Header=BB6_9048 Depth=2
	v_bfe_u32 v23, v61, 23, 8
	s_delay_alu instid0(VALU_DEP_1) | instskip(SKIP_1) | instid1(VALU_DEP_2)
	v_sub_nc_u32_e32 v60, 0x78, v23
	v_cmp_gt_u32_e32 vcc_lo, 0x79, v23
	v_dual_cndmask_b32 v60, 0, v60 :: v_dual_and_b32 v59, 0x7fffff, v61
	s_delay_alu instid0(VALU_DEP_1) | instskip(SKIP_2) | instid1(VALU_DEP_4)
	v_or_b32_e32 v62, 0x800000, v59
	v_cmp_eq_u32_e32 vcc_lo, 0, v23
	v_add_nc_u32_e32 v23, 0xffffff89, v23
	v_cndmask_b32_e64 v60, v60, 0x77, vcc_lo
	s_delay_alu instid0(VALU_DEP_4) | instskip(NEXT) | instid1(VALU_DEP_3)
	v_cndmask_b32_e32 v59, v62, v59, vcc_lo
	v_cndmask_b32_e64 v23, v23, 0xffffff8a, vcc_lo
	s_delay_alu instid0(VALU_DEP_3) | instskip(NEXT) | instid1(VALU_DEP_3)
	v_lshl_add_u32 v62, 0x100000, v60, -1
	v_lshrrev_b32_e32 v63, v60, v59
	v_lshlrev_b32_e64 v73, v60, 0x80000
	s_delay_alu instid0(VALU_DEP_4) | instskip(NEXT) | instid1(VALU_DEP_4)
	v_add_nc_u32_e32 v60, v60, v23
	v_and_b32_e32 v59, v62, v59
	s_delay_alu instid0(VALU_DEP_4) | instskip(NEXT) | instid1(VALU_DEP_2)
	v_bfe_u32 v72, v63, 20, 1
	v_cmp_eq_u32_e64 s7, v59, v73
	s_delay_alu instid0(VALU_DEP_2) | instskip(NEXT) | instid1(VALU_DEP_1)
	v_add_nc_u32_e32 v62, -1, v72
	v_cndmask_b32_e64 v59, 0, v62, s7
	v_lshrrev_b32_e32 v62, 23, v63
	s_mov_b32 s7, exec_lo
	s_delay_alu instid0(VALU_DEP_2) | instskip(NEXT) | instid1(VALU_DEP_2)
	v_add_nc_u32_e32 v59, v59, v63
	v_xor_b32_e32 v62, 1, v62
	s_delay_alu instid0(VALU_DEP_2) | instskip(NEXT) | instid1(VALU_DEP_1)
	v_and_b32_e32 v23, 0xfffff, v59
	v_add_nc_u32_e32 v59, v23, v63
                                        ; implicit-def: $vgpr23
	s_delay_alu instid0(VALU_DEP_3)
	v_cmpx_ne_u32_e64 v60, v62
	s_xor_b32 s7, exec_lo, s7
; %bb.9072:                             ;   in Loop: Header=BB6_9048 Depth=2
	s_delay_alu instid0(VALU_DEP_2) | instskip(SKIP_2) | instid1(VALU_DEP_2)
	v_cmp_lt_u32_e32 vcc_lo, 0xffffff, v59
	v_sub_nc_u32_e32 v23, v60, v62
	v_cndmask_b32_e64 v60, 0, 1, vcc_lo
	v_add_co_ci_u32_e32 v23, vcc_lo, 0, v23, vcc_lo
	s_delay_alu instid0(VALU_DEP_2)
	v_lshrrev_b32_e32 v59, v60, v59
; %bb.9073:                             ;   in Loop: Header=BB6_9048 Depth=2
	s_and_not1_saveexec_b32 s7, s7
; %bb.9074:                             ;   in Loop: Header=BB6_9048 Depth=2
	s_delay_alu instid0(VALU_DEP_1)
	v_bfe_u32 v23, v59, 23, 1
; %bb.9075:                             ;   in Loop: Header=BB6_9048 Depth=2
	s_or_b32 exec_lo, exec_lo, s7
	v_lshrrev_b32_e32 v59, 20, v59
	s_delay_alu instid0(VALU_DEP_2) | instskip(SKIP_2) | instid1(VALU_DEP_2)
	v_cmp_gt_i32_e32 vcc_lo, 16, v23
	v_lshrrev_b32_e32 v60, 24, v61
	v_min_i32_e32 v61, 15, v23
	v_dual_cndmask_b32 v59, 7, v59 :: v_dual_and_b32 v60, 0x80, v60
	s_delay_alu instid0(VALU_DEP_2) | instskip(NEXT) | instid1(VALU_DEP_2)
	v_lshlrev_b32_e32 v61, 3, v61
	v_and_b32_e32 v62, 7, v59
	v_or_b32_e32 v23, v23, v59
	s_delay_alu instid0(VALU_DEP_2) | instskip(NEXT) | instid1(VALU_DEP_2)
	v_or3_b32 v59, v61, v60, v62
	v_cmp_ne_u32_e32 vcc_lo, 0, v23
	s_delay_alu instid0(VALU_DEP_2)
	v_cndmask_b32_e32 v23, 0, v59, vcc_lo
.LBB6_9076:                             ;   in Loop: Header=BB6_9048 Depth=2
	s_or_b32 exec_lo, exec_lo, s26
.LBB6_9077:                             ;   in Loop: Header=BB6_9048 Depth=2
	s_delay_alu instid0(SALU_CYCLE_1) | instskip(SKIP_2) | instid1(VALU_DEP_1)
	s_or_b32 exec_lo, exec_lo, s25
	v_and_b32_e32 v59, 0xff, v58
	s_and_not1_b32 vcc_lo, exec_lo, s23
	v_cmp_lt_i16_e64 s7, 0x7f, v59
	s_cbranch_vccnz .LBB6_9087
; %bb.9078:                             ;   in Loop: Header=BB6_9048 Depth=2
	s_mov_b32 s25, 0
                                        ; implicit-def: $sgpr26
	s_delay_alu instid0(VALU_DEP_1) | instskip(NEXT) | instid1(SALU_CYCLE_1)
	s_and_saveexec_b32 s27, s7
	s_xor_b32 s7, exec_lo, s27
	s_cbranch_execnz .LBB6_9990
; %bb.9079:                             ;   in Loop: Header=BB6_9048 Depth=2
	s_or_saveexec_b32 s7, s7
	v_mov_b32_e32 v60, s26
	s_xor_b32 exec_lo, exec_lo, s7
	s_cbranch_execnz .LBB6_9993
.LBB6_9080:                             ;   in Loop: Header=BB6_9048 Depth=2
	s_or_b32 exec_lo, exec_lo, s7
	s_and_saveexec_b32 s7, s25
	s_cbranch_execz .LBB6_9082
.LBB6_9081:                             ;   in Loop: Header=BB6_9048 Depth=2
	v_lshrrev_b16 v63, 3, v58
	v_lshlrev_b32_e32 v72, 24, v58
	s_delay_alu instid0(VALU_DEP_2) | instskip(NEXT) | instid1(VALU_DEP_1)
	v_and_b32_e32 v63, 15, v63
	v_cmp_eq_u32_e32 vcc_lo, 0, v63
	v_and_b32_e32 v60, 7, v58
	s_delay_alu instid0(VALU_DEP_1) | instskip(NEXT) | instid1(VALU_DEP_1)
	v_clz_i32_u32_e32 v61, v60
	v_min_u32_e32 v61, 32, v61
	s_delay_alu instid0(VALU_DEP_1) | instskip(SKIP_1) | instid1(VALU_DEP_1)
	v_subrev_nc_u32_e32 v62, 28, v61
	v_sub_nc_u32_e32 v61, 29, v61
	v_dual_cndmask_b32 v61, v63, v61 :: v_dual_lshlrev_b32 v62, v62, v58
	s_delay_alu instid0(VALU_DEP_1) | instskip(NEXT) | instid1(VALU_DEP_2)
	v_and_b32_e32 v62, 7, v62
	v_lshl_add_u32 v61, v61, 23, 0x3b800000
	s_delay_alu instid0(VALU_DEP_2) | instskip(SKIP_1) | instid1(VALU_DEP_2)
	v_cndmask_b32_e32 v60, v60, v62, vcc_lo
	v_and_b32_e32 v62, 0x80000000, v72
	v_lshlrev_b32_e32 v60, 20, v60
	s_delay_alu instid0(VALU_DEP_1)
	v_or3_b32 v60, v62, v61, v60
.LBB6_9082:                             ;   in Loop: Header=BB6_9048 Depth=2
	s_or_b32 exec_lo, exec_lo, s7
	s_waitcnt vmcnt(30) lgkmcnt(30)
	v_and_b32_e32 v62, 0xff, v26
	s_mov_b32 s7, 0
	s_mov_b32 s26, exec_lo
                                        ; implicit-def: $sgpr25
	s_delay_alu instid0(VALU_DEP_1)
	v_cmpx_lt_i16_e32 0x7f, v62
	s_xor_b32 s26, exec_lo, s26
	s_cbranch_execnz .LBB6_9994
; %bb.9083:                             ;   in Loop: Header=BB6_9048 Depth=2
	s_or_saveexec_b32 s26, s26
	v_mov_b32_e32 v61, s25
	s_xor_b32 exec_lo, exec_lo, s26
	s_cbranch_execnz .LBB6_9997
.LBB6_9084:                             ;   in Loop: Header=BB6_9048 Depth=2
	s_or_b32 exec_lo, exec_lo, s26
	s_and_saveexec_b32 s25, s7
	s_cbranch_execz .LBB6_9086
.LBB6_9085:                             ;   in Loop: Header=BB6_9048 Depth=2
	v_and_b32_e32 v61, 7, v26
	v_lshrrev_b16 v72, 3, v26
	v_lshlrev_b32_e32 v73, 24, v26
	s_delay_alu instid0(VALU_DEP_3) | instskip(NEXT) | instid1(VALU_DEP_1)
	v_clz_i32_u32_e32 v62, v61
	v_min_u32_e32 v62, 32, v62
	s_delay_alu instid0(VALU_DEP_1) | instskip(SKIP_1) | instid1(VALU_DEP_2)
	v_subrev_nc_u32_e32 v63, 28, v62
	v_sub_nc_u32_e32 v62, 29, v62
	v_lshlrev_b32_e32 v63, v63, v26
	s_delay_alu instid0(VALU_DEP_1) | instskip(SKIP_1) | instid1(VALU_DEP_1)
	v_and_b32_e32 v63, 7, v63
	v_and_b32_e32 v72, 15, v72
	v_cmp_eq_u32_e32 vcc_lo, 0, v72
	s_delay_alu instid0(VALU_DEP_3) | instskip(SKIP_1) | instid1(VALU_DEP_2)
	v_dual_cndmask_b32 v61, v61, v63 :: v_dual_cndmask_b32 v62, v72, v62
	v_and_b32_e32 v63, 0x80000000, v73
	v_lshlrev_b32_e32 v61, 20, v61
	s_delay_alu instid0(VALU_DEP_3) | instskip(NEXT) | instid1(VALU_DEP_1)
	v_lshl_add_u32 v62, v62, 23, 0x3b800000
	v_or3_b32 v61, v63, v62, v61
.LBB6_9086:                             ;   in Loop: Header=BB6_9048 Depth=2
	s_or_b32 exec_lo, exec_lo, s25
	s_delay_alu instid0(VALU_DEP_1) | instskip(SKIP_1) | instid1(VALU_DEP_1)
	v_dual_max_f32 v61, v61, v61 :: v_dual_max_f32 v60, v60, v60
	s_mov_b32 s7, 0
	v_max_f32_e32 v60, v60, v61
	s_branch .LBB6_9088
.LBB6_9087:                             ;   in Loop: Header=BB6_9048 Depth=2
	s_mov_b32 s7, -1
                                        ; implicit-def: $vgpr60
.LBB6_9088:                             ;   in Loop: Header=BB6_9048 Depth=2
	s_delay_alu instid0(SALU_CYCLE_1)
	s_and_b32 vcc_lo, exec_lo, s7
	s_cbranch_vccz .LBB6_9098
; %bb.9089:                             ;   in Loop: Header=BB6_9048 Depth=2
	s_mov_b32 s7, 0
	s_mov_b32 s26, exec_lo
                                        ; implicit-def: $sgpr25
	v_cmpx_lt_i16_e32 0x7f, v59
	s_xor_b32 s26, exec_lo, s26
	s_cbranch_execnz .LBB6_9998
; %bb.9090:                             ;   in Loop: Header=BB6_9048 Depth=2
	s_or_saveexec_b32 s26, s26
	v_mov_b32_e32 v60, s25
	s_xor_b32 exec_lo, exec_lo, s26
	s_cbranch_execnz .LBB6_10001
.LBB6_9091:                             ;   in Loop: Header=BB6_9048 Depth=2
	s_or_b32 exec_lo, exec_lo, s26
	s_and_saveexec_b32 s25, s7
	s_cbranch_execz .LBB6_9093
.LBB6_9092:                             ;   in Loop: Header=BB6_9048 Depth=2
	v_lshrrev_b16 v62, 3, v58
	s_delay_alu instid0(VALU_DEP_1) | instskip(NEXT) | instid1(VALU_DEP_1)
	v_and_b32_e32 v62, 15, v62
	v_cmp_eq_u32_e32 vcc_lo, 0, v62
	v_and_b32_e32 v59, 7, v58
	s_delay_alu instid0(VALU_DEP_1) | instskip(NEXT) | instid1(VALU_DEP_1)
	v_clz_i32_u32_e32 v60, v59
	v_min_u32_e32 v60, 32, v60
	s_delay_alu instid0(VALU_DEP_1) | instskip(SKIP_1) | instid1(VALU_DEP_1)
	v_subrev_nc_u32_e32 v61, 28, v60
	v_sub_nc_u32_e32 v60, 29, v60
	v_dual_cndmask_b32 v60, v62, v60 :: v_dual_lshlrev_b32 v61, v61, v58
	v_lshlrev_b32_e32 v58, 24, v58
	s_delay_alu instid0(VALU_DEP_2) | instskip(NEXT) | instid1(VALU_DEP_3)
	v_and_b32_e32 v61, 7, v61
	v_lshl_add_u32 v60, v60, 23, 0x3b800000
	s_delay_alu instid0(VALU_DEP_2) | instskip(NEXT) | instid1(VALU_DEP_1)
	v_dual_cndmask_b32 v59, v59, v61 :: v_dual_and_b32 v58, 0x80000000, v58
	v_lshlrev_b32_e32 v59, 20, v59
	s_delay_alu instid0(VALU_DEP_1)
	v_or3_b32 v60, v58, v60, v59
.LBB6_9093:                             ;   in Loop: Header=BB6_9048 Depth=2
	s_or_b32 exec_lo, exec_lo, s25
	s_waitcnt vmcnt(30) lgkmcnt(30)
	v_and_b32_e32 v59, 0xff, v26
	s_mov_b32 s7, 0
	s_mov_b32 s26, exec_lo
                                        ; implicit-def: $sgpr25
	s_delay_alu instid0(VALU_DEP_1)
	v_cmpx_lt_i16_e32 0x7f, v59
	s_xor_b32 s26, exec_lo, s26
	s_cbranch_execnz .LBB6_10002
; %bb.9094:                             ;   in Loop: Header=BB6_9048 Depth=2
	s_or_saveexec_b32 s26, s26
	v_mov_b32_e32 v58, s25
	s_xor_b32 exec_lo, exec_lo, s26
	s_cbranch_execnz .LBB6_10005
.LBB6_9095:                             ;   in Loop: Header=BB6_9048 Depth=2
	s_or_b32 exec_lo, exec_lo, s26
	s_and_saveexec_b32 s25, s7
	s_cbranch_execz .LBB6_9097
.LBB6_9096:                             ;   in Loop: Header=BB6_9048 Depth=2
	v_lshrrev_b16 v62, 3, v26
	s_delay_alu instid0(VALU_DEP_1) | instskip(NEXT) | instid1(VALU_DEP_1)
	v_and_b32_e32 v62, 15, v62
	v_cmp_eq_u32_e32 vcc_lo, 0, v62
	v_and_b32_e32 v58, 7, v26
	s_delay_alu instid0(VALU_DEP_1) | instskip(NEXT) | instid1(VALU_DEP_1)
	v_clz_i32_u32_e32 v59, v58
	v_min_u32_e32 v59, 32, v59
	s_delay_alu instid0(VALU_DEP_1) | instskip(SKIP_1) | instid1(VALU_DEP_2)
	v_subrev_nc_u32_e32 v61, 28, v59
	v_sub_nc_u32_e32 v59, 29, v59
	v_lshlrev_b32_e32 v61, v61, v26
	s_delay_alu instid0(VALU_DEP_2) | instskip(NEXT) | instid1(VALU_DEP_2)
	v_dual_cndmask_b32 v59, v62, v59 :: v_dual_lshlrev_b32 v26, 24, v26
	v_and_b32_e32 v61, 7, v61
	s_delay_alu instid0(VALU_DEP_2) | instskip(NEXT) | instid1(VALU_DEP_3)
	v_lshl_add_u32 v59, v59, 23, 0x3b800000
	v_and_b32_e32 v26, 0x80000000, v26
	s_delay_alu instid0(VALU_DEP_3) | instskip(NEXT) | instid1(VALU_DEP_1)
	v_cndmask_b32_e32 v58, v58, v61, vcc_lo
	v_lshlrev_b32_e32 v58, 20, v58
	s_delay_alu instid0(VALU_DEP_1)
	v_or3_b32 v58, v26, v59, v58
.LBB6_9097:                             ;   in Loop: Header=BB6_9048 Depth=2
	s_or_b32 exec_lo, exec_lo, s25
	s_delay_alu instid0(VALU_DEP_1) | instskip(SKIP_1) | instid1(VALU_DEP_1)
	v_max_f32_e32 v26, v58, v58
	v_max_f32_e32 v58, v60, v60
	v_min_f32_e32 v60, v58, v26
.LBB6_9098:                             ;   in Loop: Header=BB6_9048 Depth=2
	s_waitcnt vmcnt(30) lgkmcnt(30)
	s_delay_alu instid0(VALU_DEP_1) | instskip(NEXT) | instid1(VALU_DEP_1)
	v_and_b32_e32 v26, 0x7f800000, v60
	v_cmp_ne_u32_e32 vcc_lo, 0x7f800000, v26
	v_mov_b32_e32 v26, 0x80
	s_and_saveexec_b32 s25, vcc_lo
	s_cbranch_execz .LBB6_9106
; %bb.9099:                             ;   in Loop: Header=BB6_9048 Depth=2
	v_mov_b32_e32 v26, 0
	s_mov_b32 s26, exec_lo
	v_cmpx_ne_u32_e32 0, v60
	s_cbranch_execz .LBB6_9105
; %bb.9100:                             ;   in Loop: Header=BB6_9048 Depth=2
	v_bfe_u32 v26, v60, 23, 8
	s_delay_alu instid0(VALU_DEP_1) | instskip(SKIP_1) | instid1(VALU_DEP_2)
	v_sub_nc_u32_e32 v59, 0x78, v26
	v_cmp_gt_u32_e32 vcc_lo, 0x79, v26
	v_dual_cndmask_b32 v59, 0, v59 :: v_dual_and_b32 v58, 0x7fffff, v60
	s_delay_alu instid0(VALU_DEP_1) | instskip(SKIP_2) | instid1(VALU_DEP_4)
	v_or_b32_e32 v61, 0x800000, v58
	v_cmp_eq_u32_e32 vcc_lo, 0, v26
	v_add_nc_u32_e32 v26, 0xffffff89, v26
	v_cndmask_b32_e64 v59, v59, 0x77, vcc_lo
	s_delay_alu instid0(VALU_DEP_4) | instskip(NEXT) | instid1(VALU_DEP_3)
	v_cndmask_b32_e32 v58, v61, v58, vcc_lo
	v_cndmask_b32_e64 v26, v26, 0xffffff8a, vcc_lo
	s_delay_alu instid0(VALU_DEP_3) | instskip(NEXT) | instid1(VALU_DEP_3)
	v_lshl_add_u32 v61, 0x100000, v59, -1
	v_lshrrev_b32_e32 v62, v59, v58
	v_lshlrev_b32_e64 v72, v59, 0x80000
	s_delay_alu instid0(VALU_DEP_4) | instskip(NEXT) | instid1(VALU_DEP_4)
	v_add_nc_u32_e32 v59, v59, v26
	v_and_b32_e32 v58, v61, v58
	s_delay_alu instid0(VALU_DEP_4) | instskip(NEXT) | instid1(VALU_DEP_2)
	v_bfe_u32 v63, v62, 20, 1
	v_cmp_eq_u32_e64 s7, v58, v72
	s_delay_alu instid0(VALU_DEP_2) | instskip(NEXT) | instid1(VALU_DEP_1)
	v_add_nc_u32_e32 v61, -1, v63
	v_cndmask_b32_e64 v58, 0, v61, s7
	v_lshrrev_b32_e32 v61, 23, v62
	s_mov_b32 s7, exec_lo
	s_delay_alu instid0(VALU_DEP_2) | instskip(NEXT) | instid1(VALU_DEP_2)
	v_add_nc_u32_e32 v58, v58, v62
	v_xor_b32_e32 v61, 1, v61
	s_delay_alu instid0(VALU_DEP_2) | instskip(NEXT) | instid1(VALU_DEP_1)
	v_and_b32_e32 v26, 0xfffff, v58
	v_add_nc_u32_e32 v58, v26, v62
                                        ; implicit-def: $vgpr26
	s_delay_alu instid0(VALU_DEP_3)
	v_cmpx_ne_u32_e64 v59, v61
	s_xor_b32 s7, exec_lo, s7
; %bb.9101:                             ;   in Loop: Header=BB6_9048 Depth=2
	s_delay_alu instid0(VALU_DEP_2) | instskip(SKIP_2) | instid1(VALU_DEP_2)
	v_cmp_lt_u32_e32 vcc_lo, 0xffffff, v58
	v_sub_nc_u32_e32 v26, v59, v61
	v_cndmask_b32_e64 v59, 0, 1, vcc_lo
	v_add_co_ci_u32_e32 v26, vcc_lo, 0, v26, vcc_lo
	s_delay_alu instid0(VALU_DEP_2)
	v_lshrrev_b32_e32 v58, v59, v58
; %bb.9102:                             ;   in Loop: Header=BB6_9048 Depth=2
	s_and_not1_saveexec_b32 s7, s7
; %bb.9103:                             ;   in Loop: Header=BB6_9048 Depth=2
	s_delay_alu instid0(VALU_DEP_1)
	v_bfe_u32 v26, v58, 23, 1
; %bb.9104:                             ;   in Loop: Header=BB6_9048 Depth=2
	s_or_b32 exec_lo, exec_lo, s7
	v_lshrrev_b32_e32 v58, 20, v58
	s_delay_alu instid0(VALU_DEP_2) | instskip(SKIP_2) | instid1(VALU_DEP_2)
	v_cmp_gt_i32_e32 vcc_lo, 16, v26
	v_lshrrev_b32_e32 v59, 24, v60
	v_min_i32_e32 v60, 15, v26
	v_dual_cndmask_b32 v58, 7, v58 :: v_dual_and_b32 v59, 0x80, v59
	s_delay_alu instid0(VALU_DEP_2) | instskip(NEXT) | instid1(VALU_DEP_2)
	v_lshlrev_b32_e32 v60, 3, v60
	v_and_b32_e32 v61, 7, v58
	v_or_b32_e32 v26, v26, v58
	s_delay_alu instid0(VALU_DEP_2) | instskip(NEXT) | instid1(VALU_DEP_2)
	v_or3_b32 v58, v60, v59, v61
	v_cmp_ne_u32_e32 vcc_lo, 0, v26
	s_delay_alu instid0(VALU_DEP_2)
	v_cndmask_b32_e32 v26, 0, v58, vcc_lo
.LBB6_9105:                             ;   in Loop: Header=BB6_9048 Depth=2
	s_or_b32 exec_lo, exec_lo, s26
.LBB6_9106:                             ;   in Loop: Header=BB6_9048 Depth=2
	s_delay_alu instid0(SALU_CYCLE_1) | instskip(SKIP_2) | instid1(VALU_DEP_1)
	s_or_b32 exec_lo, exec_lo, s25
	v_and_b32_e32 v58, 0xff, v57
	s_and_not1_b32 vcc_lo, exec_lo, s23
	v_cmp_lt_i16_e64 s7, 0x7f, v58
	s_cbranch_vccnz .LBB6_9116
; %bb.9107:                             ;   in Loop: Header=BB6_9048 Depth=2
	s_mov_b32 s25, 0
                                        ; implicit-def: $sgpr26
	s_delay_alu instid0(VALU_DEP_1) | instskip(NEXT) | instid1(SALU_CYCLE_1)
	s_and_saveexec_b32 s27, s7
	s_xor_b32 s7, exec_lo, s27
	s_cbranch_execnz .LBB6_10006
; %bb.9108:                             ;   in Loop: Header=BB6_9048 Depth=2
	s_or_saveexec_b32 s7, s7
	v_mov_b32_e32 v59, s26
	s_xor_b32 exec_lo, exec_lo, s7
	s_cbranch_execnz .LBB6_10009
.LBB6_9109:                             ;   in Loop: Header=BB6_9048 Depth=2
	s_or_b32 exec_lo, exec_lo, s7
	s_and_saveexec_b32 s7, s25
	s_cbranch_execz .LBB6_9111
.LBB6_9110:                             ;   in Loop: Header=BB6_9048 Depth=2
	v_lshrrev_b16 v62, 3, v57
	v_lshlrev_b32_e32 v63, 24, v57
	s_delay_alu instid0(VALU_DEP_2) | instskip(NEXT) | instid1(VALU_DEP_1)
	v_and_b32_e32 v62, 15, v62
	v_cmp_eq_u32_e32 vcc_lo, 0, v62
	v_and_b32_e32 v59, 7, v57
	s_delay_alu instid0(VALU_DEP_1) | instskip(NEXT) | instid1(VALU_DEP_1)
	v_clz_i32_u32_e32 v60, v59
	v_min_u32_e32 v60, 32, v60
	s_delay_alu instid0(VALU_DEP_1) | instskip(SKIP_1) | instid1(VALU_DEP_1)
	v_subrev_nc_u32_e32 v61, 28, v60
	v_sub_nc_u32_e32 v60, 29, v60
	v_dual_cndmask_b32 v60, v62, v60 :: v_dual_lshlrev_b32 v61, v61, v57
	s_delay_alu instid0(VALU_DEP_1) | instskip(NEXT) | instid1(VALU_DEP_2)
	v_and_b32_e32 v61, 7, v61
	v_lshl_add_u32 v60, v60, 23, 0x3b800000
	s_delay_alu instid0(VALU_DEP_2) | instskip(SKIP_1) | instid1(VALU_DEP_2)
	v_cndmask_b32_e32 v59, v59, v61, vcc_lo
	v_and_b32_e32 v61, 0x80000000, v63
	v_lshlrev_b32_e32 v59, 20, v59
	s_delay_alu instid0(VALU_DEP_1)
	v_or3_b32 v59, v61, v60, v59
.LBB6_9111:                             ;   in Loop: Header=BB6_9048 Depth=2
	s_or_b32 exec_lo, exec_lo, s7
	s_waitcnt vmcnt(29) lgkmcnt(29)
	v_and_b32_e32 v61, 0xff, v29
	s_mov_b32 s7, 0
	s_mov_b32 s26, exec_lo
                                        ; implicit-def: $sgpr25
	s_delay_alu instid0(VALU_DEP_1)
	v_cmpx_lt_i16_e32 0x7f, v61
	s_xor_b32 s26, exec_lo, s26
	s_cbranch_execnz .LBB6_10010
; %bb.9112:                             ;   in Loop: Header=BB6_9048 Depth=2
	s_or_saveexec_b32 s26, s26
	v_mov_b32_e32 v60, s25
	s_xor_b32 exec_lo, exec_lo, s26
	s_cbranch_execnz .LBB6_10013
.LBB6_9113:                             ;   in Loop: Header=BB6_9048 Depth=2
	s_or_b32 exec_lo, exec_lo, s26
	s_and_saveexec_b32 s25, s7
	s_cbranch_execz .LBB6_9115
.LBB6_9114:                             ;   in Loop: Header=BB6_9048 Depth=2
	v_and_b32_e32 v60, 7, v29
	v_lshrrev_b16 v63, 3, v29
	v_lshlrev_b32_e32 v72, 24, v29
	s_delay_alu instid0(VALU_DEP_3) | instskip(NEXT) | instid1(VALU_DEP_1)
	v_clz_i32_u32_e32 v61, v60
	v_min_u32_e32 v61, 32, v61
	s_delay_alu instid0(VALU_DEP_1) | instskip(SKIP_1) | instid1(VALU_DEP_2)
	v_subrev_nc_u32_e32 v62, 28, v61
	v_sub_nc_u32_e32 v61, 29, v61
	v_lshlrev_b32_e32 v62, v62, v29
	s_delay_alu instid0(VALU_DEP_1) | instskip(SKIP_1) | instid1(VALU_DEP_1)
	v_and_b32_e32 v62, 7, v62
	v_and_b32_e32 v63, 15, v63
	v_cmp_eq_u32_e32 vcc_lo, 0, v63
	s_delay_alu instid0(VALU_DEP_3) | instskip(SKIP_1) | instid1(VALU_DEP_2)
	v_dual_cndmask_b32 v60, v60, v62 :: v_dual_cndmask_b32 v61, v63, v61
	v_and_b32_e32 v62, 0x80000000, v72
	v_lshlrev_b32_e32 v60, 20, v60
	s_delay_alu instid0(VALU_DEP_3) | instskip(NEXT) | instid1(VALU_DEP_1)
	v_lshl_add_u32 v61, v61, 23, 0x3b800000
	v_or3_b32 v60, v62, v61, v60
.LBB6_9115:                             ;   in Loop: Header=BB6_9048 Depth=2
	s_or_b32 exec_lo, exec_lo, s25
	s_delay_alu instid0(VALU_DEP_1) | instskip(SKIP_1) | instid1(VALU_DEP_1)
	v_dual_max_f32 v60, v60, v60 :: v_dual_max_f32 v59, v59, v59
	s_mov_b32 s7, 0
	v_max_f32_e32 v59, v59, v60
	s_branch .LBB6_9117
.LBB6_9116:                             ;   in Loop: Header=BB6_9048 Depth=2
	s_mov_b32 s7, -1
                                        ; implicit-def: $vgpr59
.LBB6_9117:                             ;   in Loop: Header=BB6_9048 Depth=2
	s_delay_alu instid0(SALU_CYCLE_1)
	s_and_b32 vcc_lo, exec_lo, s7
	s_cbranch_vccz .LBB6_9127
; %bb.9118:                             ;   in Loop: Header=BB6_9048 Depth=2
	s_mov_b32 s7, 0
	s_mov_b32 s26, exec_lo
                                        ; implicit-def: $sgpr25
	v_cmpx_lt_i16_e32 0x7f, v58
	s_xor_b32 s26, exec_lo, s26
	s_cbranch_execnz .LBB6_10014
; %bb.9119:                             ;   in Loop: Header=BB6_9048 Depth=2
	s_or_saveexec_b32 s26, s26
	v_mov_b32_e32 v59, s25
	s_xor_b32 exec_lo, exec_lo, s26
	s_cbranch_execnz .LBB6_10017
.LBB6_9120:                             ;   in Loop: Header=BB6_9048 Depth=2
	s_or_b32 exec_lo, exec_lo, s26
	s_and_saveexec_b32 s25, s7
	s_cbranch_execz .LBB6_9122
.LBB6_9121:                             ;   in Loop: Header=BB6_9048 Depth=2
	v_lshrrev_b16 v61, 3, v57
	s_delay_alu instid0(VALU_DEP_1) | instskip(NEXT) | instid1(VALU_DEP_1)
	v_and_b32_e32 v61, 15, v61
	v_cmp_eq_u32_e32 vcc_lo, 0, v61
	v_and_b32_e32 v58, 7, v57
	s_delay_alu instid0(VALU_DEP_1) | instskip(NEXT) | instid1(VALU_DEP_1)
	v_clz_i32_u32_e32 v59, v58
	v_min_u32_e32 v59, 32, v59
	s_delay_alu instid0(VALU_DEP_1) | instskip(SKIP_1) | instid1(VALU_DEP_1)
	v_subrev_nc_u32_e32 v60, 28, v59
	v_sub_nc_u32_e32 v59, 29, v59
	v_dual_cndmask_b32 v59, v61, v59 :: v_dual_lshlrev_b32 v60, v60, v57
	v_lshlrev_b32_e32 v57, 24, v57
	s_delay_alu instid0(VALU_DEP_2) | instskip(NEXT) | instid1(VALU_DEP_3)
	v_and_b32_e32 v60, 7, v60
	v_lshl_add_u32 v59, v59, 23, 0x3b800000
	s_delay_alu instid0(VALU_DEP_2) | instskip(NEXT) | instid1(VALU_DEP_1)
	v_dual_cndmask_b32 v58, v58, v60 :: v_dual_and_b32 v57, 0x80000000, v57
	v_lshlrev_b32_e32 v58, 20, v58
	s_delay_alu instid0(VALU_DEP_1)
	v_or3_b32 v59, v57, v59, v58
.LBB6_9122:                             ;   in Loop: Header=BB6_9048 Depth=2
	s_or_b32 exec_lo, exec_lo, s25
	s_waitcnt vmcnt(29) lgkmcnt(29)
	v_and_b32_e32 v58, 0xff, v29
	s_mov_b32 s7, 0
	s_mov_b32 s26, exec_lo
                                        ; implicit-def: $sgpr25
	s_delay_alu instid0(VALU_DEP_1)
	v_cmpx_lt_i16_e32 0x7f, v58
	s_xor_b32 s26, exec_lo, s26
	s_cbranch_execnz .LBB6_10018
; %bb.9123:                             ;   in Loop: Header=BB6_9048 Depth=2
	s_or_saveexec_b32 s26, s26
	v_mov_b32_e32 v57, s25
	s_xor_b32 exec_lo, exec_lo, s26
	s_cbranch_execnz .LBB6_10021
.LBB6_9124:                             ;   in Loop: Header=BB6_9048 Depth=2
	s_or_b32 exec_lo, exec_lo, s26
	s_and_saveexec_b32 s25, s7
	s_cbranch_execz .LBB6_9126
.LBB6_9125:                             ;   in Loop: Header=BB6_9048 Depth=2
	v_lshrrev_b16 v61, 3, v29
	s_delay_alu instid0(VALU_DEP_1) | instskip(NEXT) | instid1(VALU_DEP_1)
	v_and_b32_e32 v61, 15, v61
	v_cmp_eq_u32_e32 vcc_lo, 0, v61
	v_and_b32_e32 v57, 7, v29
	s_delay_alu instid0(VALU_DEP_1) | instskip(NEXT) | instid1(VALU_DEP_1)
	v_clz_i32_u32_e32 v58, v57
	v_min_u32_e32 v58, 32, v58
	s_delay_alu instid0(VALU_DEP_1) | instskip(SKIP_1) | instid1(VALU_DEP_2)
	v_subrev_nc_u32_e32 v60, 28, v58
	v_sub_nc_u32_e32 v58, 29, v58
	v_lshlrev_b32_e32 v60, v60, v29
	s_delay_alu instid0(VALU_DEP_2) | instskip(NEXT) | instid1(VALU_DEP_2)
	v_dual_cndmask_b32 v58, v61, v58 :: v_dual_lshlrev_b32 v29, 24, v29
	v_and_b32_e32 v60, 7, v60
	s_delay_alu instid0(VALU_DEP_2) | instskip(NEXT) | instid1(VALU_DEP_3)
	v_lshl_add_u32 v58, v58, 23, 0x3b800000
	v_and_b32_e32 v29, 0x80000000, v29
	s_delay_alu instid0(VALU_DEP_3) | instskip(NEXT) | instid1(VALU_DEP_1)
	v_cndmask_b32_e32 v57, v57, v60, vcc_lo
	v_lshlrev_b32_e32 v57, 20, v57
	s_delay_alu instid0(VALU_DEP_1)
	v_or3_b32 v57, v29, v58, v57
.LBB6_9126:                             ;   in Loop: Header=BB6_9048 Depth=2
	s_or_b32 exec_lo, exec_lo, s25
	s_delay_alu instid0(VALU_DEP_1) | instskip(SKIP_1) | instid1(VALU_DEP_1)
	v_max_f32_e32 v29, v57, v57
	v_max_f32_e32 v57, v59, v59
	v_min_f32_e32 v59, v57, v29
.LBB6_9127:                             ;   in Loop: Header=BB6_9048 Depth=2
	s_waitcnt vmcnt(29) lgkmcnt(29)
	s_delay_alu instid0(VALU_DEP_1) | instskip(NEXT) | instid1(VALU_DEP_1)
	v_and_b32_e32 v29, 0x7f800000, v59
	v_cmp_ne_u32_e32 vcc_lo, 0x7f800000, v29
	v_mov_b32_e32 v29, 0x80
	s_and_saveexec_b32 s25, vcc_lo
	s_cbranch_execz .LBB6_9135
; %bb.9128:                             ;   in Loop: Header=BB6_9048 Depth=2
	v_mov_b32_e32 v29, 0
	s_mov_b32 s26, exec_lo
	v_cmpx_ne_u32_e32 0, v59
	s_cbranch_execz .LBB6_9134
; %bb.9129:                             ;   in Loop: Header=BB6_9048 Depth=2
	v_bfe_u32 v29, v59, 23, 8
	s_delay_alu instid0(VALU_DEP_1) | instskip(SKIP_1) | instid1(VALU_DEP_2)
	v_sub_nc_u32_e32 v58, 0x78, v29
	v_cmp_gt_u32_e32 vcc_lo, 0x79, v29
	v_dual_cndmask_b32 v58, 0, v58 :: v_dual_and_b32 v57, 0x7fffff, v59
	s_delay_alu instid0(VALU_DEP_1) | instskip(SKIP_2) | instid1(VALU_DEP_4)
	v_or_b32_e32 v60, 0x800000, v57
	v_cmp_eq_u32_e32 vcc_lo, 0, v29
	v_add_nc_u32_e32 v29, 0xffffff89, v29
	v_cndmask_b32_e64 v58, v58, 0x77, vcc_lo
	s_delay_alu instid0(VALU_DEP_4) | instskip(NEXT) | instid1(VALU_DEP_3)
	v_cndmask_b32_e32 v57, v60, v57, vcc_lo
	v_cndmask_b32_e64 v29, v29, 0xffffff8a, vcc_lo
	s_delay_alu instid0(VALU_DEP_3) | instskip(NEXT) | instid1(VALU_DEP_3)
	v_lshl_add_u32 v60, 0x100000, v58, -1
	v_lshrrev_b32_e32 v61, v58, v57
	v_lshlrev_b32_e64 v63, v58, 0x80000
	s_delay_alu instid0(VALU_DEP_4) | instskip(NEXT) | instid1(VALU_DEP_4)
	v_add_nc_u32_e32 v58, v58, v29
	v_and_b32_e32 v57, v60, v57
	s_delay_alu instid0(VALU_DEP_4) | instskip(NEXT) | instid1(VALU_DEP_2)
	v_bfe_u32 v62, v61, 20, 1
	v_cmp_eq_u32_e64 s7, v57, v63
	s_delay_alu instid0(VALU_DEP_2) | instskip(NEXT) | instid1(VALU_DEP_1)
	v_add_nc_u32_e32 v60, -1, v62
	v_cndmask_b32_e64 v57, 0, v60, s7
	v_lshrrev_b32_e32 v60, 23, v61
	s_mov_b32 s7, exec_lo
	s_delay_alu instid0(VALU_DEP_2) | instskip(NEXT) | instid1(VALU_DEP_2)
	v_add_nc_u32_e32 v57, v57, v61
	v_xor_b32_e32 v60, 1, v60
	s_delay_alu instid0(VALU_DEP_2) | instskip(NEXT) | instid1(VALU_DEP_1)
	v_and_b32_e32 v29, 0xfffff, v57
	v_add_nc_u32_e32 v57, v29, v61
                                        ; implicit-def: $vgpr29
	s_delay_alu instid0(VALU_DEP_3)
	v_cmpx_ne_u32_e64 v58, v60
	s_xor_b32 s7, exec_lo, s7
; %bb.9130:                             ;   in Loop: Header=BB6_9048 Depth=2
	s_delay_alu instid0(VALU_DEP_2) | instskip(SKIP_2) | instid1(VALU_DEP_2)
	v_cmp_lt_u32_e32 vcc_lo, 0xffffff, v57
	v_sub_nc_u32_e32 v29, v58, v60
	v_cndmask_b32_e64 v58, 0, 1, vcc_lo
	v_add_co_ci_u32_e32 v29, vcc_lo, 0, v29, vcc_lo
	s_delay_alu instid0(VALU_DEP_2)
	v_lshrrev_b32_e32 v57, v58, v57
; %bb.9131:                             ;   in Loop: Header=BB6_9048 Depth=2
	s_and_not1_saveexec_b32 s7, s7
; %bb.9132:                             ;   in Loop: Header=BB6_9048 Depth=2
	s_delay_alu instid0(VALU_DEP_1)
	v_bfe_u32 v29, v57, 23, 1
; %bb.9133:                             ;   in Loop: Header=BB6_9048 Depth=2
	s_or_b32 exec_lo, exec_lo, s7
	v_lshrrev_b32_e32 v57, 20, v57
	s_delay_alu instid0(VALU_DEP_2) | instskip(SKIP_2) | instid1(VALU_DEP_2)
	v_cmp_gt_i32_e32 vcc_lo, 16, v29
	v_lshrrev_b32_e32 v58, 24, v59
	v_min_i32_e32 v59, 15, v29
	v_dual_cndmask_b32 v57, 7, v57 :: v_dual_and_b32 v58, 0x80, v58
	s_delay_alu instid0(VALU_DEP_2) | instskip(NEXT) | instid1(VALU_DEP_2)
	v_lshlrev_b32_e32 v59, 3, v59
	v_and_b32_e32 v60, 7, v57
	v_or_b32_e32 v29, v29, v57
	s_delay_alu instid0(VALU_DEP_2) | instskip(NEXT) | instid1(VALU_DEP_2)
	v_or3_b32 v57, v59, v58, v60
	v_cmp_ne_u32_e32 vcc_lo, 0, v29
	s_delay_alu instid0(VALU_DEP_2)
	v_cndmask_b32_e32 v29, 0, v57, vcc_lo
.LBB6_9134:                             ;   in Loop: Header=BB6_9048 Depth=2
	s_or_b32 exec_lo, exec_lo, s26
.LBB6_9135:                             ;   in Loop: Header=BB6_9048 Depth=2
	s_delay_alu instid0(SALU_CYCLE_1) | instskip(SKIP_2) | instid1(VALU_DEP_1)
	s_or_b32 exec_lo, exec_lo, s25
	v_and_b32_e32 v57, 0xff, v56
	s_and_not1_b32 vcc_lo, exec_lo, s23
	v_cmp_lt_i16_e64 s7, 0x7f, v57
	s_cbranch_vccnz .LBB6_9145
; %bb.9136:                             ;   in Loop: Header=BB6_9048 Depth=2
	s_mov_b32 s25, 0
                                        ; implicit-def: $sgpr26
	s_delay_alu instid0(VALU_DEP_1) | instskip(NEXT) | instid1(SALU_CYCLE_1)
	s_and_saveexec_b32 s27, s7
	s_xor_b32 s7, exec_lo, s27
	s_cbranch_execnz .LBB6_10022
; %bb.9137:                             ;   in Loop: Header=BB6_9048 Depth=2
	s_or_saveexec_b32 s7, s7
	v_mov_b32_e32 v58, s26
	s_xor_b32 exec_lo, exec_lo, s7
	s_cbranch_execnz .LBB6_10025
.LBB6_9138:                             ;   in Loop: Header=BB6_9048 Depth=2
	s_or_b32 exec_lo, exec_lo, s7
	s_and_saveexec_b32 s7, s25
	s_cbranch_execz .LBB6_9140
.LBB6_9139:                             ;   in Loop: Header=BB6_9048 Depth=2
	v_lshrrev_b16 v61, 3, v56
	v_lshlrev_b32_e32 v62, 24, v56
	s_delay_alu instid0(VALU_DEP_2) | instskip(NEXT) | instid1(VALU_DEP_1)
	v_and_b32_e32 v61, 15, v61
	v_cmp_eq_u32_e32 vcc_lo, 0, v61
	v_and_b32_e32 v58, 7, v56
	s_delay_alu instid0(VALU_DEP_1) | instskip(NEXT) | instid1(VALU_DEP_1)
	v_clz_i32_u32_e32 v59, v58
	v_min_u32_e32 v59, 32, v59
	s_delay_alu instid0(VALU_DEP_1) | instskip(SKIP_1) | instid1(VALU_DEP_1)
	v_subrev_nc_u32_e32 v60, 28, v59
	v_sub_nc_u32_e32 v59, 29, v59
	v_dual_cndmask_b32 v59, v61, v59 :: v_dual_lshlrev_b32 v60, v60, v56
	s_delay_alu instid0(VALU_DEP_1) | instskip(NEXT) | instid1(VALU_DEP_2)
	v_and_b32_e32 v60, 7, v60
	v_lshl_add_u32 v59, v59, 23, 0x3b800000
	s_delay_alu instid0(VALU_DEP_2) | instskip(SKIP_1) | instid1(VALU_DEP_2)
	v_cndmask_b32_e32 v58, v58, v60, vcc_lo
	v_and_b32_e32 v60, 0x80000000, v62
	v_lshlrev_b32_e32 v58, 20, v58
	s_delay_alu instid0(VALU_DEP_1)
	v_or3_b32 v58, v60, v59, v58
.LBB6_9140:                             ;   in Loop: Header=BB6_9048 Depth=2
	s_or_b32 exec_lo, exec_lo, s7
	s_waitcnt vmcnt(28) lgkmcnt(28)
	v_and_b32_e32 v60, 0xff, v34
	s_mov_b32 s7, 0
	s_mov_b32 s26, exec_lo
                                        ; implicit-def: $sgpr25
	s_delay_alu instid0(VALU_DEP_1)
	v_cmpx_lt_i16_e32 0x7f, v60
	s_xor_b32 s26, exec_lo, s26
	s_cbranch_execnz .LBB6_10026
; %bb.9141:                             ;   in Loop: Header=BB6_9048 Depth=2
	s_or_saveexec_b32 s26, s26
	v_mov_b32_e32 v59, s25
	s_xor_b32 exec_lo, exec_lo, s26
	s_cbranch_execnz .LBB6_10029
.LBB6_9142:                             ;   in Loop: Header=BB6_9048 Depth=2
	s_or_b32 exec_lo, exec_lo, s26
	s_and_saveexec_b32 s25, s7
	s_cbranch_execz .LBB6_9144
.LBB6_9143:                             ;   in Loop: Header=BB6_9048 Depth=2
	v_lshrrev_b16 v62, 3, v34
	v_lshlrev_b32_e32 v63, 24, v34
	s_delay_alu instid0(VALU_DEP_2) | instskip(NEXT) | instid1(VALU_DEP_1)
	v_and_b32_e32 v62, 15, v62
	v_cmp_eq_u32_e32 vcc_lo, 0, v62
	v_and_b32_e32 v59, 7, v34
	s_delay_alu instid0(VALU_DEP_1) | instskip(NEXT) | instid1(VALU_DEP_1)
	v_clz_i32_u32_e32 v60, v59
	v_min_u32_e32 v60, 32, v60
	s_delay_alu instid0(VALU_DEP_1) | instskip(SKIP_1) | instid1(VALU_DEP_1)
	v_subrev_nc_u32_e32 v61, 28, v60
	v_sub_nc_u32_e32 v60, 29, v60
	v_dual_cndmask_b32 v60, v62, v60 :: v_dual_lshlrev_b32 v61, v61, v34
	s_delay_alu instid0(VALU_DEP_1) | instskip(NEXT) | instid1(VALU_DEP_2)
	v_and_b32_e32 v61, 7, v61
	v_lshl_add_u32 v60, v60, 23, 0x3b800000
	s_delay_alu instid0(VALU_DEP_2) | instskip(SKIP_1) | instid1(VALU_DEP_2)
	v_cndmask_b32_e32 v59, v59, v61, vcc_lo
	v_and_b32_e32 v61, 0x80000000, v63
	v_lshlrev_b32_e32 v59, 20, v59
	s_delay_alu instid0(VALU_DEP_1)
	v_or3_b32 v59, v61, v60, v59
.LBB6_9144:                             ;   in Loop: Header=BB6_9048 Depth=2
	s_or_b32 exec_lo, exec_lo, s25
	s_delay_alu instid0(VALU_DEP_1) | instskip(SKIP_1) | instid1(VALU_DEP_1)
	v_dual_max_f32 v59, v59, v59 :: v_dual_max_f32 v58, v58, v58
	s_mov_b32 s7, 0
	v_max_f32_e32 v58, v58, v59
	s_branch .LBB6_9146
.LBB6_9145:                             ;   in Loop: Header=BB6_9048 Depth=2
	s_mov_b32 s7, -1
                                        ; implicit-def: $vgpr58
.LBB6_9146:                             ;   in Loop: Header=BB6_9048 Depth=2
	s_delay_alu instid0(SALU_CYCLE_1)
	s_and_b32 vcc_lo, exec_lo, s7
	s_cbranch_vccz .LBB6_9156
; %bb.9147:                             ;   in Loop: Header=BB6_9048 Depth=2
	s_mov_b32 s7, 0
	s_mov_b32 s26, exec_lo
                                        ; implicit-def: $sgpr25
	v_cmpx_lt_i16_e32 0x7f, v57
	s_xor_b32 s26, exec_lo, s26
	s_cbranch_execnz .LBB6_10030
; %bb.9148:                             ;   in Loop: Header=BB6_9048 Depth=2
	s_or_saveexec_b32 s26, s26
	v_mov_b32_e32 v58, s25
	s_xor_b32 exec_lo, exec_lo, s26
	s_cbranch_execnz .LBB6_10033
.LBB6_9149:                             ;   in Loop: Header=BB6_9048 Depth=2
	s_or_b32 exec_lo, exec_lo, s26
	s_and_saveexec_b32 s25, s7
	s_cbranch_execz .LBB6_9151
.LBB6_9150:                             ;   in Loop: Header=BB6_9048 Depth=2
	v_lshrrev_b16 v60, 3, v56
	s_delay_alu instid0(VALU_DEP_1) | instskip(NEXT) | instid1(VALU_DEP_1)
	v_and_b32_e32 v60, 15, v60
	v_cmp_eq_u32_e32 vcc_lo, 0, v60
	v_and_b32_e32 v57, 7, v56
	s_delay_alu instid0(VALU_DEP_1) | instskip(NEXT) | instid1(VALU_DEP_1)
	v_clz_i32_u32_e32 v58, v57
	v_min_u32_e32 v58, 32, v58
	s_delay_alu instid0(VALU_DEP_1) | instskip(SKIP_1) | instid1(VALU_DEP_1)
	v_subrev_nc_u32_e32 v59, 28, v58
	v_sub_nc_u32_e32 v58, 29, v58
	v_dual_cndmask_b32 v58, v60, v58 :: v_dual_lshlrev_b32 v59, v59, v56
	v_lshlrev_b32_e32 v56, 24, v56
	s_delay_alu instid0(VALU_DEP_2) | instskip(NEXT) | instid1(VALU_DEP_3)
	v_and_b32_e32 v59, 7, v59
	v_lshl_add_u32 v58, v58, 23, 0x3b800000
	s_delay_alu instid0(VALU_DEP_2) | instskip(NEXT) | instid1(VALU_DEP_1)
	v_dual_cndmask_b32 v57, v57, v59 :: v_dual_and_b32 v56, 0x80000000, v56
	v_lshlrev_b32_e32 v57, 20, v57
	s_delay_alu instid0(VALU_DEP_1)
	v_or3_b32 v58, v56, v58, v57
.LBB6_9151:                             ;   in Loop: Header=BB6_9048 Depth=2
	s_or_b32 exec_lo, exec_lo, s25
	s_waitcnt vmcnt(28) lgkmcnt(28)
	v_and_b32_e32 v57, 0xff, v34
	s_mov_b32 s7, 0
	s_mov_b32 s26, exec_lo
                                        ; implicit-def: $sgpr25
	s_delay_alu instid0(VALU_DEP_1)
	v_cmpx_lt_i16_e32 0x7f, v57
	s_xor_b32 s26, exec_lo, s26
	s_cbranch_execnz .LBB6_10034
; %bb.9152:                             ;   in Loop: Header=BB6_9048 Depth=2
	s_or_saveexec_b32 s26, s26
	v_mov_b32_e32 v56, s25
	s_xor_b32 exec_lo, exec_lo, s26
	s_cbranch_execnz .LBB6_10037
.LBB6_9153:                             ;   in Loop: Header=BB6_9048 Depth=2
	s_or_b32 exec_lo, exec_lo, s26
	s_and_saveexec_b32 s25, s7
	s_cbranch_execz .LBB6_9155
.LBB6_9154:                             ;   in Loop: Header=BB6_9048 Depth=2
	v_lshrrev_b16 v60, 3, v34
	s_delay_alu instid0(VALU_DEP_1) | instskip(NEXT) | instid1(VALU_DEP_1)
	v_and_b32_e32 v60, 15, v60
	v_cmp_eq_u32_e32 vcc_lo, 0, v60
	v_and_b32_e32 v56, 7, v34
	s_delay_alu instid0(VALU_DEP_1) | instskip(NEXT) | instid1(VALU_DEP_1)
	v_clz_i32_u32_e32 v57, v56
	v_min_u32_e32 v57, 32, v57
	s_delay_alu instid0(VALU_DEP_1) | instskip(SKIP_1) | instid1(VALU_DEP_2)
	v_subrev_nc_u32_e32 v59, 28, v57
	v_sub_nc_u32_e32 v57, 29, v57
	v_lshlrev_b32_e32 v59, v59, v34
	s_delay_alu instid0(VALU_DEP_2) | instskip(NEXT) | instid1(VALU_DEP_2)
	v_dual_cndmask_b32 v57, v60, v57 :: v_dual_lshlrev_b32 v34, 24, v34
	v_and_b32_e32 v59, 7, v59
	s_delay_alu instid0(VALU_DEP_2) | instskip(NEXT) | instid1(VALU_DEP_3)
	v_lshl_add_u32 v57, v57, 23, 0x3b800000
	v_and_b32_e32 v34, 0x80000000, v34
	s_delay_alu instid0(VALU_DEP_3) | instskip(NEXT) | instid1(VALU_DEP_1)
	v_cndmask_b32_e32 v56, v56, v59, vcc_lo
	v_lshlrev_b32_e32 v56, 20, v56
	s_delay_alu instid0(VALU_DEP_1)
	v_or3_b32 v56, v34, v57, v56
.LBB6_9155:                             ;   in Loop: Header=BB6_9048 Depth=2
	s_or_b32 exec_lo, exec_lo, s25
	s_delay_alu instid0(VALU_DEP_1) | instskip(SKIP_1) | instid1(VALU_DEP_1)
	v_max_f32_e32 v34, v56, v56
	v_max_f32_e32 v56, v58, v58
	v_min_f32_e32 v58, v56, v34
.LBB6_9156:                             ;   in Loop: Header=BB6_9048 Depth=2
	s_waitcnt vmcnt(28) lgkmcnt(28)
	s_delay_alu instid0(VALU_DEP_1) | instskip(NEXT) | instid1(VALU_DEP_1)
	v_and_b32_e32 v34, 0x7f800000, v58
	v_cmp_ne_u32_e32 vcc_lo, 0x7f800000, v34
	v_mov_b32_e32 v34, 0x80
	s_and_saveexec_b32 s25, vcc_lo
	s_cbranch_execz .LBB6_9164
; %bb.9157:                             ;   in Loop: Header=BB6_9048 Depth=2
	v_mov_b32_e32 v34, 0
	s_mov_b32 s26, exec_lo
	v_cmpx_ne_u32_e32 0, v58
	s_cbranch_execz .LBB6_9163
; %bb.9158:                             ;   in Loop: Header=BB6_9048 Depth=2
	v_bfe_u32 v34, v58, 23, 8
	s_delay_alu instid0(VALU_DEP_1) | instskip(SKIP_1) | instid1(VALU_DEP_2)
	v_sub_nc_u32_e32 v57, 0x78, v34
	v_cmp_gt_u32_e32 vcc_lo, 0x79, v34
	v_dual_cndmask_b32 v57, 0, v57 :: v_dual_and_b32 v56, 0x7fffff, v58
	s_delay_alu instid0(VALU_DEP_1) | instskip(SKIP_2) | instid1(VALU_DEP_4)
	v_or_b32_e32 v59, 0x800000, v56
	v_cmp_eq_u32_e32 vcc_lo, 0, v34
	v_add_nc_u32_e32 v34, 0xffffff89, v34
	v_cndmask_b32_e64 v57, v57, 0x77, vcc_lo
	s_delay_alu instid0(VALU_DEP_4) | instskip(NEXT) | instid1(VALU_DEP_3)
	v_cndmask_b32_e32 v56, v59, v56, vcc_lo
	v_cndmask_b32_e64 v34, v34, 0xffffff8a, vcc_lo
	s_delay_alu instid0(VALU_DEP_3) | instskip(NEXT) | instid1(VALU_DEP_3)
	v_lshl_add_u32 v59, 0x100000, v57, -1
	v_lshrrev_b32_e32 v60, v57, v56
	v_lshlrev_b32_e64 v62, v57, 0x80000
	s_delay_alu instid0(VALU_DEP_4) | instskip(NEXT) | instid1(VALU_DEP_4)
	v_add_nc_u32_e32 v57, v57, v34
	v_and_b32_e32 v56, v59, v56
	s_delay_alu instid0(VALU_DEP_4) | instskip(NEXT) | instid1(VALU_DEP_2)
	v_bfe_u32 v61, v60, 20, 1
	v_cmp_eq_u32_e64 s7, v56, v62
	s_delay_alu instid0(VALU_DEP_2) | instskip(NEXT) | instid1(VALU_DEP_1)
	v_add_nc_u32_e32 v59, -1, v61
	v_cndmask_b32_e64 v56, 0, v59, s7
	v_lshrrev_b32_e32 v59, 23, v60
	s_mov_b32 s7, exec_lo
	s_delay_alu instid0(VALU_DEP_2) | instskip(NEXT) | instid1(VALU_DEP_2)
	v_add_nc_u32_e32 v56, v56, v60
	v_xor_b32_e32 v59, 1, v59
	s_delay_alu instid0(VALU_DEP_2) | instskip(NEXT) | instid1(VALU_DEP_1)
	v_and_b32_e32 v34, 0xfffff, v56
	v_add_nc_u32_e32 v56, v34, v60
                                        ; implicit-def: $vgpr34
	s_delay_alu instid0(VALU_DEP_3)
	v_cmpx_ne_u32_e64 v57, v59
	s_xor_b32 s7, exec_lo, s7
; %bb.9159:                             ;   in Loop: Header=BB6_9048 Depth=2
	s_delay_alu instid0(VALU_DEP_2) | instskip(SKIP_2) | instid1(VALU_DEP_2)
	v_cmp_lt_u32_e32 vcc_lo, 0xffffff, v56
	v_sub_nc_u32_e32 v34, v57, v59
	v_cndmask_b32_e64 v57, 0, 1, vcc_lo
	v_add_co_ci_u32_e32 v34, vcc_lo, 0, v34, vcc_lo
	s_delay_alu instid0(VALU_DEP_2)
	v_lshrrev_b32_e32 v56, v57, v56
; %bb.9160:                             ;   in Loop: Header=BB6_9048 Depth=2
	s_and_not1_saveexec_b32 s7, s7
; %bb.9161:                             ;   in Loop: Header=BB6_9048 Depth=2
	s_delay_alu instid0(VALU_DEP_1)
	v_bfe_u32 v34, v56, 23, 1
; %bb.9162:                             ;   in Loop: Header=BB6_9048 Depth=2
	s_or_b32 exec_lo, exec_lo, s7
	v_lshrrev_b32_e32 v56, 20, v56
	s_delay_alu instid0(VALU_DEP_2) | instskip(SKIP_2) | instid1(VALU_DEP_2)
	v_cmp_gt_i32_e32 vcc_lo, 16, v34
	v_lshrrev_b32_e32 v57, 24, v58
	v_min_i32_e32 v58, 15, v34
	v_dual_cndmask_b32 v56, 7, v56 :: v_dual_and_b32 v57, 0x80, v57
	s_delay_alu instid0(VALU_DEP_2) | instskip(NEXT) | instid1(VALU_DEP_2)
	v_lshlrev_b32_e32 v58, 3, v58
	v_and_b32_e32 v59, 7, v56
	v_or_b32_e32 v34, v34, v56
	s_delay_alu instid0(VALU_DEP_2) | instskip(NEXT) | instid1(VALU_DEP_2)
	v_or3_b32 v56, v58, v57, v59
	v_cmp_ne_u32_e32 vcc_lo, 0, v34
	s_delay_alu instid0(VALU_DEP_2)
	v_cndmask_b32_e32 v34, 0, v56, vcc_lo
.LBB6_9163:                             ;   in Loop: Header=BB6_9048 Depth=2
	s_or_b32 exec_lo, exec_lo, s26
.LBB6_9164:                             ;   in Loop: Header=BB6_9048 Depth=2
	s_delay_alu instid0(SALU_CYCLE_1) | instskip(SKIP_2) | instid1(VALU_DEP_1)
	s_or_b32 exec_lo, exec_lo, s25
	v_and_b32_e32 v56, 0xff, v47
	s_and_not1_b32 vcc_lo, exec_lo, s23
	v_cmp_lt_i16_e64 s7, 0x7f, v56
	s_cbranch_vccnz .LBB6_9174
; %bb.9165:                             ;   in Loop: Header=BB6_9048 Depth=2
	s_mov_b32 s25, 0
                                        ; implicit-def: $sgpr26
	s_delay_alu instid0(VALU_DEP_1) | instskip(NEXT) | instid1(SALU_CYCLE_1)
	s_and_saveexec_b32 s27, s7
	s_xor_b32 s7, exec_lo, s27
	s_cbranch_execnz .LBB6_10038
; %bb.9166:                             ;   in Loop: Header=BB6_9048 Depth=2
	s_or_saveexec_b32 s7, s7
	v_mov_b32_e32 v57, s26
	s_xor_b32 exec_lo, exec_lo, s7
	s_cbranch_execnz .LBB6_10041
.LBB6_9167:                             ;   in Loop: Header=BB6_9048 Depth=2
	s_or_b32 exec_lo, exec_lo, s7
	s_and_saveexec_b32 s7, s25
	s_cbranch_execz .LBB6_9169
.LBB6_9168:                             ;   in Loop: Header=BB6_9048 Depth=2
	v_lshrrev_b16 v60, 3, v47
	v_lshlrev_b32_e32 v61, 24, v47
	s_delay_alu instid0(VALU_DEP_2) | instskip(NEXT) | instid1(VALU_DEP_1)
	v_and_b32_e32 v60, 15, v60
	v_cmp_eq_u32_e32 vcc_lo, 0, v60
	v_and_b32_e32 v57, 7, v47
	s_delay_alu instid0(VALU_DEP_1) | instskip(NEXT) | instid1(VALU_DEP_1)
	v_clz_i32_u32_e32 v58, v57
	v_min_u32_e32 v58, 32, v58
	s_delay_alu instid0(VALU_DEP_1) | instskip(SKIP_1) | instid1(VALU_DEP_1)
	v_subrev_nc_u32_e32 v59, 28, v58
	v_sub_nc_u32_e32 v58, 29, v58
	v_dual_cndmask_b32 v58, v60, v58 :: v_dual_lshlrev_b32 v59, v59, v47
	s_delay_alu instid0(VALU_DEP_1) | instskip(NEXT) | instid1(VALU_DEP_2)
	v_and_b32_e32 v59, 7, v59
	v_lshl_add_u32 v58, v58, 23, 0x3b800000
	s_delay_alu instid0(VALU_DEP_2) | instskip(SKIP_1) | instid1(VALU_DEP_2)
	v_cndmask_b32_e32 v57, v57, v59, vcc_lo
	v_and_b32_e32 v59, 0x80000000, v61
	v_lshlrev_b32_e32 v57, 20, v57
	s_delay_alu instid0(VALU_DEP_1)
	v_or3_b32 v57, v59, v58, v57
.LBB6_9169:                             ;   in Loop: Header=BB6_9048 Depth=2
	s_or_b32 exec_lo, exec_lo, s7
	s_waitcnt vmcnt(27) lgkmcnt(27)
	v_and_b32_e32 v59, 0xff, v37
	s_mov_b32 s7, 0
	s_mov_b32 s26, exec_lo
                                        ; implicit-def: $sgpr25
	s_delay_alu instid0(VALU_DEP_1)
	v_cmpx_lt_i16_e32 0x7f, v59
	s_xor_b32 s26, exec_lo, s26
	s_cbranch_execnz .LBB6_10042
; %bb.9170:                             ;   in Loop: Header=BB6_9048 Depth=2
	s_or_saveexec_b32 s26, s26
	v_mov_b32_e32 v58, s25
	s_xor_b32 exec_lo, exec_lo, s26
	s_cbranch_execnz .LBB6_10045
.LBB6_9171:                             ;   in Loop: Header=BB6_9048 Depth=2
	s_or_b32 exec_lo, exec_lo, s26
	s_and_saveexec_b32 s25, s7
	s_cbranch_execz .LBB6_9173
.LBB6_9172:                             ;   in Loop: Header=BB6_9048 Depth=2
	v_lshrrev_b16 v61, 3, v37
	v_lshlrev_b32_e32 v62, 24, v37
	s_delay_alu instid0(VALU_DEP_2) | instskip(NEXT) | instid1(VALU_DEP_1)
	v_and_b32_e32 v61, 15, v61
	v_cmp_eq_u32_e32 vcc_lo, 0, v61
	v_and_b32_e32 v58, 7, v37
	s_delay_alu instid0(VALU_DEP_1) | instskip(NEXT) | instid1(VALU_DEP_1)
	v_clz_i32_u32_e32 v59, v58
	v_min_u32_e32 v59, 32, v59
	s_delay_alu instid0(VALU_DEP_1) | instskip(SKIP_1) | instid1(VALU_DEP_1)
	v_subrev_nc_u32_e32 v60, 28, v59
	v_sub_nc_u32_e32 v59, 29, v59
	v_dual_cndmask_b32 v59, v61, v59 :: v_dual_lshlrev_b32 v60, v60, v37
	s_delay_alu instid0(VALU_DEP_1) | instskip(NEXT) | instid1(VALU_DEP_2)
	v_and_b32_e32 v60, 7, v60
	v_lshl_add_u32 v59, v59, 23, 0x3b800000
	s_delay_alu instid0(VALU_DEP_2) | instskip(SKIP_1) | instid1(VALU_DEP_2)
	v_cndmask_b32_e32 v58, v58, v60, vcc_lo
	v_and_b32_e32 v60, 0x80000000, v62
	v_lshlrev_b32_e32 v58, 20, v58
	s_delay_alu instid0(VALU_DEP_1)
	v_or3_b32 v58, v60, v59, v58
.LBB6_9173:                             ;   in Loop: Header=BB6_9048 Depth=2
	s_or_b32 exec_lo, exec_lo, s25
	s_delay_alu instid0(VALU_DEP_1) | instskip(SKIP_1) | instid1(VALU_DEP_1)
	v_dual_max_f32 v58, v58, v58 :: v_dual_max_f32 v57, v57, v57
	s_mov_b32 s7, 0
	v_max_f32_e32 v57, v57, v58
	s_branch .LBB6_9175
.LBB6_9174:                             ;   in Loop: Header=BB6_9048 Depth=2
	s_mov_b32 s7, -1
                                        ; implicit-def: $vgpr57
.LBB6_9175:                             ;   in Loop: Header=BB6_9048 Depth=2
	s_delay_alu instid0(SALU_CYCLE_1)
	s_and_b32 vcc_lo, exec_lo, s7
	s_cbranch_vccz .LBB6_9185
; %bb.9176:                             ;   in Loop: Header=BB6_9048 Depth=2
	s_mov_b32 s7, 0
	s_mov_b32 s26, exec_lo
                                        ; implicit-def: $sgpr25
	v_cmpx_lt_i16_e32 0x7f, v56
	s_xor_b32 s26, exec_lo, s26
	s_cbranch_execnz .LBB6_10046
; %bb.9177:                             ;   in Loop: Header=BB6_9048 Depth=2
	s_or_saveexec_b32 s26, s26
	v_mov_b32_e32 v57, s25
	s_xor_b32 exec_lo, exec_lo, s26
	s_cbranch_execnz .LBB6_10049
.LBB6_9178:                             ;   in Loop: Header=BB6_9048 Depth=2
	s_or_b32 exec_lo, exec_lo, s26
	s_and_saveexec_b32 s25, s7
	s_cbranch_execz .LBB6_9180
.LBB6_9179:                             ;   in Loop: Header=BB6_9048 Depth=2
	v_lshrrev_b16 v59, 3, v47
	s_delay_alu instid0(VALU_DEP_1) | instskip(NEXT) | instid1(VALU_DEP_1)
	v_and_b32_e32 v59, 15, v59
	v_cmp_eq_u32_e32 vcc_lo, 0, v59
	v_and_b32_e32 v56, 7, v47
	s_delay_alu instid0(VALU_DEP_1) | instskip(NEXT) | instid1(VALU_DEP_1)
	v_clz_i32_u32_e32 v57, v56
	v_min_u32_e32 v57, 32, v57
	s_delay_alu instid0(VALU_DEP_1) | instskip(SKIP_1) | instid1(VALU_DEP_1)
	v_subrev_nc_u32_e32 v58, 28, v57
	v_sub_nc_u32_e32 v57, 29, v57
	v_dual_cndmask_b32 v57, v59, v57 :: v_dual_lshlrev_b32 v58, v58, v47
	v_lshlrev_b32_e32 v47, 24, v47
	s_delay_alu instid0(VALU_DEP_2) | instskip(NEXT) | instid1(VALU_DEP_3)
	v_and_b32_e32 v58, 7, v58
	v_lshl_add_u32 v57, v57, 23, 0x3b800000
	s_delay_alu instid0(VALU_DEP_2) | instskip(NEXT) | instid1(VALU_DEP_1)
	v_dual_cndmask_b32 v56, v56, v58 :: v_dual_and_b32 v47, 0x80000000, v47
	v_lshlrev_b32_e32 v56, 20, v56
	s_delay_alu instid0(VALU_DEP_1)
	v_or3_b32 v57, v47, v57, v56
.LBB6_9180:                             ;   in Loop: Header=BB6_9048 Depth=2
	s_or_b32 exec_lo, exec_lo, s25
	s_waitcnt vmcnt(27) lgkmcnt(27)
	v_and_b32_e32 v56, 0xff, v37
	s_mov_b32 s7, 0
	s_mov_b32 s26, exec_lo
                                        ; implicit-def: $sgpr25
	s_delay_alu instid0(VALU_DEP_1)
	v_cmpx_lt_i16_e32 0x7f, v56
	s_xor_b32 s26, exec_lo, s26
	s_cbranch_execnz .LBB6_10050
; %bb.9181:                             ;   in Loop: Header=BB6_9048 Depth=2
	s_or_saveexec_b32 s26, s26
	v_mov_b32_e32 v47, s25
	s_xor_b32 exec_lo, exec_lo, s26
	s_cbranch_execnz .LBB6_10053
.LBB6_9182:                             ;   in Loop: Header=BB6_9048 Depth=2
	s_or_b32 exec_lo, exec_lo, s26
	s_and_saveexec_b32 s25, s7
	s_cbranch_execz .LBB6_9184
.LBB6_9183:                             ;   in Loop: Header=BB6_9048 Depth=2
	v_lshrrev_b16 v59, 3, v37
	s_delay_alu instid0(VALU_DEP_1) | instskip(NEXT) | instid1(VALU_DEP_1)
	v_and_b32_e32 v59, 15, v59
	v_cmp_eq_u32_e32 vcc_lo, 0, v59
	v_and_b32_e32 v47, 7, v37
	s_delay_alu instid0(VALU_DEP_1) | instskip(NEXT) | instid1(VALU_DEP_1)
	v_clz_i32_u32_e32 v56, v47
	v_min_u32_e32 v56, 32, v56
	s_delay_alu instid0(VALU_DEP_1) | instskip(SKIP_1) | instid1(VALU_DEP_2)
	v_subrev_nc_u32_e32 v58, 28, v56
	v_sub_nc_u32_e32 v56, 29, v56
	v_lshlrev_b32_e32 v58, v58, v37
	s_delay_alu instid0(VALU_DEP_2) | instskip(NEXT) | instid1(VALU_DEP_2)
	v_dual_cndmask_b32 v56, v59, v56 :: v_dual_lshlrev_b32 v37, 24, v37
	v_and_b32_e32 v58, 7, v58
	s_delay_alu instid0(VALU_DEP_2) | instskip(NEXT) | instid1(VALU_DEP_3)
	v_lshl_add_u32 v56, v56, 23, 0x3b800000
	v_and_b32_e32 v37, 0x80000000, v37
	s_delay_alu instid0(VALU_DEP_3) | instskip(NEXT) | instid1(VALU_DEP_1)
	v_cndmask_b32_e32 v47, v47, v58, vcc_lo
	v_lshlrev_b32_e32 v47, 20, v47
	s_delay_alu instid0(VALU_DEP_1)
	v_or3_b32 v47, v37, v56, v47
.LBB6_9184:                             ;   in Loop: Header=BB6_9048 Depth=2
	s_or_b32 exec_lo, exec_lo, s25
	s_delay_alu instid0(VALU_DEP_1) | instskip(SKIP_1) | instid1(VALU_DEP_1)
	v_max_f32_e32 v37, v47, v47
	v_max_f32_e32 v47, v57, v57
	v_min_f32_e32 v57, v47, v37
.LBB6_9185:                             ;   in Loop: Header=BB6_9048 Depth=2
	s_waitcnt vmcnt(27) lgkmcnt(27)
	s_delay_alu instid0(VALU_DEP_1) | instskip(NEXT) | instid1(VALU_DEP_1)
	v_and_b32_e32 v37, 0x7f800000, v57
	v_cmp_ne_u32_e32 vcc_lo, 0x7f800000, v37
	v_mov_b32_e32 v37, 0x80
	s_and_saveexec_b32 s25, vcc_lo
	s_cbranch_execz .LBB6_9193
; %bb.9186:                             ;   in Loop: Header=BB6_9048 Depth=2
	v_mov_b32_e32 v37, 0
	s_mov_b32 s26, exec_lo
	v_cmpx_ne_u32_e32 0, v57
	s_cbranch_execz .LBB6_9192
; %bb.9187:                             ;   in Loop: Header=BB6_9048 Depth=2
	v_bfe_u32 v37, v57, 23, 8
	s_delay_alu instid0(VALU_DEP_1) | instskip(SKIP_1) | instid1(VALU_DEP_2)
	v_sub_nc_u32_e32 v56, 0x78, v37
	v_cmp_gt_u32_e32 vcc_lo, 0x79, v37
	v_dual_cndmask_b32 v56, 0, v56 :: v_dual_and_b32 v47, 0x7fffff, v57
	s_delay_alu instid0(VALU_DEP_1) | instskip(SKIP_2) | instid1(VALU_DEP_4)
	v_or_b32_e32 v58, 0x800000, v47
	v_cmp_eq_u32_e32 vcc_lo, 0, v37
	v_add_nc_u32_e32 v37, 0xffffff89, v37
	v_cndmask_b32_e64 v56, v56, 0x77, vcc_lo
	s_delay_alu instid0(VALU_DEP_4) | instskip(NEXT) | instid1(VALU_DEP_3)
	v_cndmask_b32_e32 v47, v58, v47, vcc_lo
	v_cndmask_b32_e64 v37, v37, 0xffffff8a, vcc_lo
	s_delay_alu instid0(VALU_DEP_3) | instskip(NEXT) | instid1(VALU_DEP_3)
	v_lshl_add_u32 v58, 0x100000, v56, -1
	v_lshrrev_b32_e32 v59, v56, v47
	v_lshlrev_b32_e64 v61, v56, 0x80000
	s_delay_alu instid0(VALU_DEP_4) | instskip(NEXT) | instid1(VALU_DEP_4)
	v_add_nc_u32_e32 v56, v56, v37
	v_and_b32_e32 v47, v58, v47
	s_delay_alu instid0(VALU_DEP_4) | instskip(NEXT) | instid1(VALU_DEP_2)
	v_bfe_u32 v60, v59, 20, 1
	v_cmp_eq_u32_e64 s7, v47, v61
	s_delay_alu instid0(VALU_DEP_2) | instskip(NEXT) | instid1(VALU_DEP_1)
	v_add_nc_u32_e32 v58, -1, v60
	v_cndmask_b32_e64 v47, 0, v58, s7
	v_lshrrev_b32_e32 v58, 23, v59
	s_mov_b32 s7, exec_lo
	s_delay_alu instid0(VALU_DEP_2) | instskip(NEXT) | instid1(VALU_DEP_2)
	v_add_nc_u32_e32 v47, v47, v59
	v_xor_b32_e32 v58, 1, v58
	s_delay_alu instid0(VALU_DEP_2) | instskip(NEXT) | instid1(VALU_DEP_1)
	v_and_b32_e32 v37, 0xfffff, v47
	v_add_nc_u32_e32 v47, v37, v59
                                        ; implicit-def: $vgpr37
	s_delay_alu instid0(VALU_DEP_3)
	v_cmpx_ne_u32_e64 v56, v58
	s_xor_b32 s7, exec_lo, s7
; %bb.9188:                             ;   in Loop: Header=BB6_9048 Depth=2
	s_delay_alu instid0(VALU_DEP_2) | instskip(SKIP_2) | instid1(VALU_DEP_2)
	v_cmp_lt_u32_e32 vcc_lo, 0xffffff, v47
	v_sub_nc_u32_e32 v37, v56, v58
	v_cndmask_b32_e64 v56, 0, 1, vcc_lo
	v_add_co_ci_u32_e32 v37, vcc_lo, 0, v37, vcc_lo
	s_delay_alu instid0(VALU_DEP_2)
	v_lshrrev_b32_e32 v47, v56, v47
; %bb.9189:                             ;   in Loop: Header=BB6_9048 Depth=2
	s_and_not1_saveexec_b32 s7, s7
; %bb.9190:                             ;   in Loop: Header=BB6_9048 Depth=2
	s_delay_alu instid0(VALU_DEP_1)
	v_bfe_u32 v37, v47, 23, 1
; %bb.9191:                             ;   in Loop: Header=BB6_9048 Depth=2
	s_or_b32 exec_lo, exec_lo, s7
	v_lshrrev_b32_e32 v47, 20, v47
	s_delay_alu instid0(VALU_DEP_2) | instskip(SKIP_2) | instid1(VALU_DEP_2)
	v_cmp_gt_i32_e32 vcc_lo, 16, v37
	v_lshrrev_b32_e32 v56, 24, v57
	v_min_i32_e32 v57, 15, v37
	v_dual_cndmask_b32 v47, 7, v47 :: v_dual_and_b32 v56, 0x80, v56
	s_delay_alu instid0(VALU_DEP_2) | instskip(NEXT) | instid1(VALU_DEP_2)
	v_lshlrev_b32_e32 v57, 3, v57
	v_and_b32_e32 v58, 7, v47
	v_or_b32_e32 v37, v37, v47
	s_delay_alu instid0(VALU_DEP_2) | instskip(NEXT) | instid1(VALU_DEP_2)
	v_or3_b32 v47, v57, v56, v58
	v_cmp_ne_u32_e32 vcc_lo, 0, v37
	s_delay_alu instid0(VALU_DEP_2)
	v_cndmask_b32_e32 v37, 0, v47, vcc_lo
.LBB6_9192:                             ;   in Loop: Header=BB6_9048 Depth=2
	s_or_b32 exec_lo, exec_lo, s26
.LBB6_9193:                             ;   in Loop: Header=BB6_9048 Depth=2
	s_delay_alu instid0(SALU_CYCLE_1) | instskip(SKIP_2) | instid1(VALU_DEP_1)
	s_or_b32 exec_lo, exec_lo, s25
	v_and_b32_e32 v47, 0xff, v46
	s_and_not1_b32 vcc_lo, exec_lo, s23
	v_cmp_lt_i16_e64 s7, 0x7f, v47
	s_cbranch_vccnz .LBB6_9203
; %bb.9194:                             ;   in Loop: Header=BB6_9048 Depth=2
	s_mov_b32 s25, 0
                                        ; implicit-def: $sgpr26
	s_delay_alu instid0(VALU_DEP_1) | instskip(NEXT) | instid1(SALU_CYCLE_1)
	s_and_saveexec_b32 s27, s7
	s_xor_b32 s7, exec_lo, s27
	s_cbranch_execnz .LBB6_10054
; %bb.9195:                             ;   in Loop: Header=BB6_9048 Depth=2
	s_or_saveexec_b32 s7, s7
	v_mov_b32_e32 v56, s26
	s_xor_b32 exec_lo, exec_lo, s7
	s_cbranch_execnz .LBB6_10057
.LBB6_9196:                             ;   in Loop: Header=BB6_9048 Depth=2
	s_or_b32 exec_lo, exec_lo, s7
	s_and_saveexec_b32 s7, s25
	s_cbranch_execz .LBB6_9198
.LBB6_9197:                             ;   in Loop: Header=BB6_9048 Depth=2
	v_lshrrev_b16 v59, 3, v46
	v_lshlrev_b32_e32 v60, 24, v46
	s_delay_alu instid0(VALU_DEP_2) | instskip(NEXT) | instid1(VALU_DEP_1)
	v_and_b32_e32 v59, 15, v59
	v_cmp_eq_u32_e32 vcc_lo, 0, v59
	v_and_b32_e32 v56, 7, v46
	s_delay_alu instid0(VALU_DEP_1) | instskip(NEXT) | instid1(VALU_DEP_1)
	v_clz_i32_u32_e32 v57, v56
	v_min_u32_e32 v57, 32, v57
	s_delay_alu instid0(VALU_DEP_1) | instskip(SKIP_1) | instid1(VALU_DEP_1)
	v_subrev_nc_u32_e32 v58, 28, v57
	v_sub_nc_u32_e32 v57, 29, v57
	v_dual_cndmask_b32 v57, v59, v57 :: v_dual_lshlrev_b32 v58, v58, v46
	s_delay_alu instid0(VALU_DEP_1) | instskip(NEXT) | instid1(VALU_DEP_2)
	v_and_b32_e32 v58, 7, v58
	v_lshl_add_u32 v57, v57, 23, 0x3b800000
	s_delay_alu instid0(VALU_DEP_2) | instskip(SKIP_1) | instid1(VALU_DEP_2)
	v_cndmask_b32_e32 v56, v56, v58, vcc_lo
	v_and_b32_e32 v58, 0x80000000, v60
	v_lshlrev_b32_e32 v56, 20, v56
	s_delay_alu instid0(VALU_DEP_1)
	v_or3_b32 v56, v58, v57, v56
.LBB6_9198:                             ;   in Loop: Header=BB6_9048 Depth=2
	s_or_b32 exec_lo, exec_lo, s7
	s_waitcnt vmcnt(26) lgkmcnt(26)
	v_and_b32_e32 v58, 0xff, v48
	s_mov_b32 s7, 0
	s_mov_b32 s26, exec_lo
                                        ; implicit-def: $sgpr25
	s_delay_alu instid0(VALU_DEP_1)
	v_cmpx_lt_i16_e32 0x7f, v58
	s_xor_b32 s26, exec_lo, s26
	s_cbranch_execnz .LBB6_10058
; %bb.9199:                             ;   in Loop: Header=BB6_9048 Depth=2
	s_or_saveexec_b32 s26, s26
	v_mov_b32_e32 v57, s25
	s_xor_b32 exec_lo, exec_lo, s26
	s_cbranch_execnz .LBB6_10061
.LBB6_9200:                             ;   in Loop: Header=BB6_9048 Depth=2
	s_or_b32 exec_lo, exec_lo, s26
	s_and_saveexec_b32 s25, s7
	s_cbranch_execz .LBB6_9202
.LBB6_9201:                             ;   in Loop: Header=BB6_9048 Depth=2
	v_lshrrev_b16 v60, 3, v48
	v_lshlrev_b32_e32 v61, 24, v48
	s_delay_alu instid0(VALU_DEP_2) | instskip(NEXT) | instid1(VALU_DEP_1)
	v_and_b32_e32 v60, 15, v60
	v_cmp_eq_u32_e32 vcc_lo, 0, v60
	v_and_b32_e32 v57, 7, v48
	s_delay_alu instid0(VALU_DEP_1) | instskip(NEXT) | instid1(VALU_DEP_1)
	v_clz_i32_u32_e32 v58, v57
	v_min_u32_e32 v58, 32, v58
	s_delay_alu instid0(VALU_DEP_1) | instskip(SKIP_1) | instid1(VALU_DEP_1)
	v_subrev_nc_u32_e32 v59, 28, v58
	v_sub_nc_u32_e32 v58, 29, v58
	v_dual_cndmask_b32 v58, v60, v58 :: v_dual_lshlrev_b32 v59, v59, v48
	s_delay_alu instid0(VALU_DEP_1) | instskip(NEXT) | instid1(VALU_DEP_2)
	v_and_b32_e32 v59, 7, v59
	v_lshl_add_u32 v58, v58, 23, 0x3b800000
	s_delay_alu instid0(VALU_DEP_2) | instskip(SKIP_1) | instid1(VALU_DEP_2)
	v_cndmask_b32_e32 v57, v57, v59, vcc_lo
	v_and_b32_e32 v59, 0x80000000, v61
	v_lshlrev_b32_e32 v57, 20, v57
	s_delay_alu instid0(VALU_DEP_1)
	v_or3_b32 v57, v59, v58, v57
.LBB6_9202:                             ;   in Loop: Header=BB6_9048 Depth=2
	s_or_b32 exec_lo, exec_lo, s25
	s_delay_alu instid0(VALU_DEP_1) | instskip(SKIP_1) | instid1(VALU_DEP_1)
	v_dual_max_f32 v57, v57, v57 :: v_dual_max_f32 v56, v56, v56
	s_mov_b32 s7, 0
	v_max_f32_e32 v56, v56, v57
	s_branch .LBB6_9204
.LBB6_9203:                             ;   in Loop: Header=BB6_9048 Depth=2
	s_mov_b32 s7, -1
                                        ; implicit-def: $vgpr56
.LBB6_9204:                             ;   in Loop: Header=BB6_9048 Depth=2
	s_delay_alu instid0(SALU_CYCLE_1)
	s_and_b32 vcc_lo, exec_lo, s7
	s_cbranch_vccz .LBB6_9214
; %bb.9205:                             ;   in Loop: Header=BB6_9048 Depth=2
	s_mov_b32 s7, 0
	s_mov_b32 s26, exec_lo
                                        ; implicit-def: $sgpr25
	v_cmpx_lt_i16_e32 0x7f, v47
	s_xor_b32 s26, exec_lo, s26
	s_cbranch_execnz .LBB6_10062
; %bb.9206:                             ;   in Loop: Header=BB6_9048 Depth=2
	s_or_saveexec_b32 s26, s26
	v_mov_b32_e32 v56, s25
	s_xor_b32 exec_lo, exec_lo, s26
	s_cbranch_execnz .LBB6_10065
.LBB6_9207:                             ;   in Loop: Header=BB6_9048 Depth=2
	s_or_b32 exec_lo, exec_lo, s26
	s_and_saveexec_b32 s25, s7
	s_cbranch_execz .LBB6_9209
.LBB6_9208:                             ;   in Loop: Header=BB6_9048 Depth=2
	v_lshrrev_b16 v58, 3, v46
	s_delay_alu instid0(VALU_DEP_1) | instskip(NEXT) | instid1(VALU_DEP_1)
	v_and_b32_e32 v58, 15, v58
	v_cmp_eq_u32_e32 vcc_lo, 0, v58
	v_and_b32_e32 v47, 7, v46
	s_delay_alu instid0(VALU_DEP_1) | instskip(NEXT) | instid1(VALU_DEP_1)
	v_clz_i32_u32_e32 v56, v47
	v_min_u32_e32 v56, 32, v56
	s_delay_alu instid0(VALU_DEP_1) | instskip(SKIP_1) | instid1(VALU_DEP_1)
	v_subrev_nc_u32_e32 v57, 28, v56
	v_sub_nc_u32_e32 v56, 29, v56
	v_dual_cndmask_b32 v56, v58, v56 :: v_dual_lshlrev_b32 v57, v57, v46
	v_lshlrev_b32_e32 v46, 24, v46
	s_delay_alu instid0(VALU_DEP_2) | instskip(NEXT) | instid1(VALU_DEP_3)
	v_and_b32_e32 v57, 7, v57
	v_lshl_add_u32 v56, v56, 23, 0x3b800000
	s_delay_alu instid0(VALU_DEP_2) | instskip(NEXT) | instid1(VALU_DEP_1)
	v_dual_cndmask_b32 v47, v47, v57 :: v_dual_and_b32 v46, 0x80000000, v46
	v_lshlrev_b32_e32 v47, 20, v47
	s_delay_alu instid0(VALU_DEP_1)
	v_or3_b32 v56, v46, v56, v47
.LBB6_9209:                             ;   in Loop: Header=BB6_9048 Depth=2
	s_or_b32 exec_lo, exec_lo, s25
	s_waitcnt vmcnt(26) lgkmcnt(26)
	v_and_b32_e32 v47, 0xff, v48
	s_mov_b32 s7, 0
	s_mov_b32 s26, exec_lo
                                        ; implicit-def: $sgpr25
	s_delay_alu instid0(VALU_DEP_1)
	v_cmpx_lt_i16_e32 0x7f, v47
	s_xor_b32 s26, exec_lo, s26
	s_cbranch_execnz .LBB6_10066
; %bb.9210:                             ;   in Loop: Header=BB6_9048 Depth=2
	s_or_saveexec_b32 s26, s26
	v_mov_b32_e32 v46, s25
	s_xor_b32 exec_lo, exec_lo, s26
	s_cbranch_execnz .LBB6_10069
.LBB6_9211:                             ;   in Loop: Header=BB6_9048 Depth=2
	s_or_b32 exec_lo, exec_lo, s26
	s_and_saveexec_b32 s25, s7
	s_cbranch_execz .LBB6_9213
.LBB6_9212:                             ;   in Loop: Header=BB6_9048 Depth=2
	v_lshrrev_b16 v58, 3, v48
	s_delay_alu instid0(VALU_DEP_1) | instskip(NEXT) | instid1(VALU_DEP_1)
	v_and_b32_e32 v58, 15, v58
	v_cmp_eq_u32_e32 vcc_lo, 0, v58
	v_and_b32_e32 v46, 7, v48
	s_delay_alu instid0(VALU_DEP_1) | instskip(NEXT) | instid1(VALU_DEP_1)
	v_clz_i32_u32_e32 v47, v46
	v_min_u32_e32 v47, 32, v47
	s_delay_alu instid0(VALU_DEP_1) | instskip(SKIP_1) | instid1(VALU_DEP_2)
	v_subrev_nc_u32_e32 v57, 28, v47
	v_sub_nc_u32_e32 v47, 29, v47
	v_lshlrev_b32_e32 v57, v57, v48
	s_delay_alu instid0(VALU_DEP_2) | instskip(NEXT) | instid1(VALU_DEP_2)
	v_dual_cndmask_b32 v47, v58, v47 :: v_dual_lshlrev_b32 v48, 24, v48
	v_and_b32_e32 v57, 7, v57
	s_delay_alu instid0(VALU_DEP_2) | instskip(NEXT) | instid1(VALU_DEP_3)
	v_lshl_add_u32 v47, v47, 23, 0x3b800000
	v_and_b32_e32 v48, 0x80000000, v48
	s_delay_alu instid0(VALU_DEP_3) | instskip(NEXT) | instid1(VALU_DEP_1)
	v_cndmask_b32_e32 v46, v46, v57, vcc_lo
	v_lshlrev_b32_e32 v46, 20, v46
	s_delay_alu instid0(VALU_DEP_1)
	v_or3_b32 v46, v48, v47, v46
.LBB6_9213:                             ;   in Loop: Header=BB6_9048 Depth=2
	s_or_b32 exec_lo, exec_lo, s25
	s_delay_alu instid0(VALU_DEP_1) | instskip(SKIP_1) | instid1(VALU_DEP_1)
	v_max_f32_e32 v48, v46, v46
	v_max_f32_e32 v46, v56, v56
	v_min_f32_e32 v56, v46, v48
.LBB6_9214:                             ;   in Loop: Header=BB6_9048 Depth=2
	s_waitcnt vmcnt(26) lgkmcnt(26)
	s_delay_alu instid0(VALU_DEP_1) | instskip(NEXT) | instid1(VALU_DEP_1)
	v_and_b32_e32 v48, 0x7f800000, v56
	v_cmp_ne_u32_e32 vcc_lo, 0x7f800000, v48
	v_mov_b32_e32 v48, 0x80
	s_and_saveexec_b32 s25, vcc_lo
	s_cbranch_execz .LBB6_9222
; %bb.9215:                             ;   in Loop: Header=BB6_9048 Depth=2
	v_mov_b32_e32 v48, 0
	s_mov_b32 s26, exec_lo
	v_cmpx_ne_u32_e32 0, v56
	s_cbranch_execz .LBB6_9221
; %bb.9216:                             ;   in Loop: Header=BB6_9048 Depth=2
	v_bfe_u32 v48, v56, 23, 8
	s_delay_alu instid0(VALU_DEP_1) | instskip(SKIP_1) | instid1(VALU_DEP_2)
	v_sub_nc_u32_e32 v47, 0x78, v48
	v_cmp_gt_u32_e32 vcc_lo, 0x79, v48
	v_dual_cndmask_b32 v47, 0, v47 :: v_dual_and_b32 v46, 0x7fffff, v56
	s_delay_alu instid0(VALU_DEP_1) | instskip(SKIP_2) | instid1(VALU_DEP_4)
	v_or_b32_e32 v57, 0x800000, v46
	v_cmp_eq_u32_e32 vcc_lo, 0, v48
	v_add_nc_u32_e32 v48, 0xffffff89, v48
	v_cndmask_b32_e64 v47, v47, 0x77, vcc_lo
	s_delay_alu instid0(VALU_DEP_4) | instskip(NEXT) | instid1(VALU_DEP_3)
	v_cndmask_b32_e32 v46, v57, v46, vcc_lo
	v_cndmask_b32_e64 v48, v48, 0xffffff8a, vcc_lo
	s_delay_alu instid0(VALU_DEP_3) | instskip(NEXT) | instid1(VALU_DEP_3)
	v_lshl_add_u32 v57, 0x100000, v47, -1
	v_lshrrev_b32_e32 v58, v47, v46
	v_lshlrev_b32_e64 v60, v47, 0x80000
	s_delay_alu instid0(VALU_DEP_4) | instskip(NEXT) | instid1(VALU_DEP_4)
	v_add_nc_u32_e32 v47, v47, v48
	v_and_b32_e32 v46, v57, v46
	s_delay_alu instid0(VALU_DEP_4) | instskip(NEXT) | instid1(VALU_DEP_2)
	v_bfe_u32 v59, v58, 20, 1
	v_cmp_eq_u32_e64 s7, v46, v60
	s_delay_alu instid0(VALU_DEP_2) | instskip(NEXT) | instid1(VALU_DEP_1)
	v_add_nc_u32_e32 v57, -1, v59
	v_cndmask_b32_e64 v46, 0, v57, s7
	v_lshrrev_b32_e32 v57, 23, v58
	s_mov_b32 s7, exec_lo
	s_delay_alu instid0(VALU_DEP_2) | instskip(NEXT) | instid1(VALU_DEP_2)
	v_add_nc_u32_e32 v46, v46, v58
	v_xor_b32_e32 v57, 1, v57
	s_delay_alu instid0(VALU_DEP_2) | instskip(NEXT) | instid1(VALU_DEP_1)
	v_and_b32_e32 v48, 0xfffff, v46
	v_add_nc_u32_e32 v46, v48, v58
                                        ; implicit-def: $vgpr48
	s_delay_alu instid0(VALU_DEP_3)
	v_cmpx_ne_u32_e64 v47, v57
	s_xor_b32 s7, exec_lo, s7
; %bb.9217:                             ;   in Loop: Header=BB6_9048 Depth=2
	s_delay_alu instid0(VALU_DEP_2) | instskip(SKIP_2) | instid1(VALU_DEP_2)
	v_cmp_lt_u32_e32 vcc_lo, 0xffffff, v46
	v_sub_nc_u32_e32 v48, v47, v57
	v_cndmask_b32_e64 v47, 0, 1, vcc_lo
	v_add_co_ci_u32_e32 v48, vcc_lo, 0, v48, vcc_lo
	s_delay_alu instid0(VALU_DEP_2)
	v_lshrrev_b32_e32 v46, v47, v46
; %bb.9218:                             ;   in Loop: Header=BB6_9048 Depth=2
	s_and_not1_saveexec_b32 s7, s7
; %bb.9219:                             ;   in Loop: Header=BB6_9048 Depth=2
	s_delay_alu instid0(VALU_DEP_1)
	v_bfe_u32 v48, v46, 23, 1
; %bb.9220:                             ;   in Loop: Header=BB6_9048 Depth=2
	s_or_b32 exec_lo, exec_lo, s7
	v_lshrrev_b32_e32 v46, 20, v46
	s_delay_alu instid0(VALU_DEP_2) | instskip(SKIP_2) | instid1(VALU_DEP_2)
	v_cmp_gt_i32_e32 vcc_lo, 16, v48
	v_lshrrev_b32_e32 v47, 24, v56
	v_min_i32_e32 v56, 15, v48
	v_dual_cndmask_b32 v46, 7, v46 :: v_dual_and_b32 v47, 0x80, v47
	s_delay_alu instid0(VALU_DEP_2) | instskip(NEXT) | instid1(VALU_DEP_2)
	v_lshlrev_b32_e32 v56, 3, v56
	v_and_b32_e32 v57, 7, v46
	v_or_b32_e32 v48, v48, v46
	s_delay_alu instid0(VALU_DEP_2) | instskip(NEXT) | instid1(VALU_DEP_2)
	v_or3_b32 v46, v56, v47, v57
	v_cmp_ne_u32_e32 vcc_lo, 0, v48
	s_delay_alu instid0(VALU_DEP_2)
	v_cndmask_b32_e32 v48, 0, v46, vcc_lo
.LBB6_9221:                             ;   in Loop: Header=BB6_9048 Depth=2
	s_or_b32 exec_lo, exec_lo, s26
.LBB6_9222:                             ;   in Loop: Header=BB6_9048 Depth=2
	s_delay_alu instid0(SALU_CYCLE_1) | instskip(SKIP_2) | instid1(VALU_DEP_1)
	s_or_b32 exec_lo, exec_lo, s25
	v_and_b32_e32 v46, 0xff, v45
	s_and_not1_b32 vcc_lo, exec_lo, s23
	v_cmp_lt_i16_e64 s7, 0x7f, v46
	s_cbranch_vccnz .LBB6_9232
; %bb.9223:                             ;   in Loop: Header=BB6_9048 Depth=2
	s_mov_b32 s25, 0
                                        ; implicit-def: $sgpr26
	s_delay_alu instid0(VALU_DEP_1) | instskip(NEXT) | instid1(SALU_CYCLE_1)
	s_and_saveexec_b32 s27, s7
	s_xor_b32 s7, exec_lo, s27
	s_cbranch_execnz .LBB6_10070
; %bb.9224:                             ;   in Loop: Header=BB6_9048 Depth=2
	s_or_saveexec_b32 s7, s7
	v_mov_b32_e32 v47, s26
	s_xor_b32 exec_lo, exec_lo, s7
	s_cbranch_execnz .LBB6_10073
.LBB6_9225:                             ;   in Loop: Header=BB6_9048 Depth=2
	s_or_b32 exec_lo, exec_lo, s7
	s_and_saveexec_b32 s7, s25
	s_cbranch_execz .LBB6_9227
.LBB6_9226:                             ;   in Loop: Header=BB6_9048 Depth=2
	v_lshrrev_b16 v58, 3, v45
	v_lshlrev_b32_e32 v59, 24, v45
	s_delay_alu instid0(VALU_DEP_2) | instskip(NEXT) | instid1(VALU_DEP_1)
	v_and_b32_e32 v58, 15, v58
	v_cmp_eq_u32_e32 vcc_lo, 0, v58
	v_and_b32_e32 v47, 7, v45
	s_delay_alu instid0(VALU_DEP_1) | instskip(NEXT) | instid1(VALU_DEP_1)
	v_clz_i32_u32_e32 v56, v47
	v_min_u32_e32 v56, 32, v56
	s_delay_alu instid0(VALU_DEP_1) | instskip(SKIP_1) | instid1(VALU_DEP_1)
	v_subrev_nc_u32_e32 v57, 28, v56
	v_sub_nc_u32_e32 v56, 29, v56
	v_dual_cndmask_b32 v56, v58, v56 :: v_dual_lshlrev_b32 v57, v57, v45
	s_delay_alu instid0(VALU_DEP_1) | instskip(NEXT) | instid1(VALU_DEP_2)
	v_and_b32_e32 v57, 7, v57
	v_lshl_add_u32 v56, v56, 23, 0x3b800000
	s_delay_alu instid0(VALU_DEP_2) | instskip(SKIP_1) | instid1(VALU_DEP_2)
	v_cndmask_b32_e32 v47, v47, v57, vcc_lo
	v_and_b32_e32 v57, 0x80000000, v59
	v_lshlrev_b32_e32 v47, 20, v47
	s_delay_alu instid0(VALU_DEP_1)
	v_or3_b32 v47, v57, v56, v47
.LBB6_9227:                             ;   in Loop: Header=BB6_9048 Depth=2
	s_or_b32 exec_lo, exec_lo, s7
	s_waitcnt vmcnt(25) lgkmcnt(25)
	v_and_b32_e32 v57, 0xff, v51
	s_mov_b32 s7, 0
	s_mov_b32 s26, exec_lo
                                        ; implicit-def: $sgpr25
	s_delay_alu instid0(VALU_DEP_1)
	v_cmpx_lt_i16_e32 0x7f, v57
	s_xor_b32 s26, exec_lo, s26
	s_cbranch_execnz .LBB6_10074
; %bb.9228:                             ;   in Loop: Header=BB6_9048 Depth=2
	s_or_saveexec_b32 s26, s26
	v_mov_b32_e32 v56, s25
	s_xor_b32 exec_lo, exec_lo, s26
	s_cbranch_execnz .LBB6_10077
.LBB6_9229:                             ;   in Loop: Header=BB6_9048 Depth=2
	s_or_b32 exec_lo, exec_lo, s26
	s_and_saveexec_b32 s25, s7
	s_cbranch_execz .LBB6_9231
.LBB6_9230:                             ;   in Loop: Header=BB6_9048 Depth=2
	v_lshrrev_b16 v59, 3, v51
	v_lshlrev_b32_e32 v60, 24, v51
	s_delay_alu instid0(VALU_DEP_2) | instskip(NEXT) | instid1(VALU_DEP_1)
	v_and_b32_e32 v59, 15, v59
	v_cmp_eq_u32_e32 vcc_lo, 0, v59
	v_and_b32_e32 v56, 7, v51
	s_delay_alu instid0(VALU_DEP_1) | instskip(NEXT) | instid1(VALU_DEP_1)
	v_clz_i32_u32_e32 v57, v56
	v_min_u32_e32 v57, 32, v57
	s_delay_alu instid0(VALU_DEP_1) | instskip(SKIP_1) | instid1(VALU_DEP_1)
	v_subrev_nc_u32_e32 v58, 28, v57
	v_sub_nc_u32_e32 v57, 29, v57
	v_dual_cndmask_b32 v57, v59, v57 :: v_dual_lshlrev_b32 v58, v58, v51
	s_delay_alu instid0(VALU_DEP_1) | instskip(NEXT) | instid1(VALU_DEP_2)
	v_and_b32_e32 v58, 7, v58
	v_lshl_add_u32 v57, v57, 23, 0x3b800000
	s_delay_alu instid0(VALU_DEP_2) | instskip(SKIP_1) | instid1(VALU_DEP_2)
	v_cndmask_b32_e32 v56, v56, v58, vcc_lo
	v_and_b32_e32 v58, 0x80000000, v60
	v_lshlrev_b32_e32 v56, 20, v56
	s_delay_alu instid0(VALU_DEP_1)
	v_or3_b32 v56, v58, v57, v56
.LBB6_9231:                             ;   in Loop: Header=BB6_9048 Depth=2
	s_or_b32 exec_lo, exec_lo, s25
	s_delay_alu instid0(VALU_DEP_1) | instskip(SKIP_1) | instid1(VALU_DEP_1)
	v_dual_max_f32 v56, v56, v56 :: v_dual_max_f32 v47, v47, v47
	s_mov_b32 s7, 0
	v_max_f32_e32 v47, v47, v56
	s_branch .LBB6_9233
.LBB6_9232:                             ;   in Loop: Header=BB6_9048 Depth=2
	s_mov_b32 s7, -1
                                        ; implicit-def: $vgpr47
.LBB6_9233:                             ;   in Loop: Header=BB6_9048 Depth=2
	s_delay_alu instid0(SALU_CYCLE_1)
	s_and_b32 vcc_lo, exec_lo, s7
	s_cbranch_vccz .LBB6_9243
; %bb.9234:                             ;   in Loop: Header=BB6_9048 Depth=2
	s_mov_b32 s7, 0
	s_mov_b32 s26, exec_lo
                                        ; implicit-def: $sgpr25
	v_cmpx_lt_i16_e32 0x7f, v46
	s_xor_b32 s26, exec_lo, s26
	s_cbranch_execnz .LBB6_10078
; %bb.9235:                             ;   in Loop: Header=BB6_9048 Depth=2
	s_or_saveexec_b32 s26, s26
	v_mov_b32_e32 v47, s25
	s_xor_b32 exec_lo, exec_lo, s26
	s_cbranch_execnz .LBB6_10081
.LBB6_9236:                             ;   in Loop: Header=BB6_9048 Depth=2
	s_or_b32 exec_lo, exec_lo, s26
	s_and_saveexec_b32 s25, s7
	s_cbranch_execz .LBB6_9238
.LBB6_9237:                             ;   in Loop: Header=BB6_9048 Depth=2
	v_lshrrev_b16 v57, 3, v45
	s_delay_alu instid0(VALU_DEP_1) | instskip(NEXT) | instid1(VALU_DEP_1)
	v_and_b32_e32 v57, 15, v57
	v_cmp_eq_u32_e32 vcc_lo, 0, v57
	v_and_b32_e32 v46, 7, v45
	s_delay_alu instid0(VALU_DEP_1) | instskip(NEXT) | instid1(VALU_DEP_1)
	v_clz_i32_u32_e32 v47, v46
	v_min_u32_e32 v47, 32, v47
	s_delay_alu instid0(VALU_DEP_1) | instskip(SKIP_1) | instid1(VALU_DEP_1)
	v_subrev_nc_u32_e32 v56, 28, v47
	v_sub_nc_u32_e32 v47, 29, v47
	v_dual_cndmask_b32 v47, v57, v47 :: v_dual_lshlrev_b32 v56, v56, v45
	v_lshlrev_b32_e32 v45, 24, v45
	s_delay_alu instid0(VALU_DEP_2) | instskip(NEXT) | instid1(VALU_DEP_3)
	v_and_b32_e32 v56, 7, v56
	v_lshl_add_u32 v47, v47, 23, 0x3b800000
	s_delay_alu instid0(VALU_DEP_2) | instskip(NEXT) | instid1(VALU_DEP_1)
	v_dual_cndmask_b32 v46, v46, v56 :: v_dual_and_b32 v45, 0x80000000, v45
	v_lshlrev_b32_e32 v46, 20, v46
	s_delay_alu instid0(VALU_DEP_1)
	v_or3_b32 v47, v45, v47, v46
.LBB6_9238:                             ;   in Loop: Header=BB6_9048 Depth=2
	s_or_b32 exec_lo, exec_lo, s25
	s_waitcnt vmcnt(25) lgkmcnt(25)
	v_and_b32_e32 v46, 0xff, v51
	s_mov_b32 s7, 0
	s_mov_b32 s26, exec_lo
                                        ; implicit-def: $sgpr25
	s_delay_alu instid0(VALU_DEP_1)
	v_cmpx_lt_i16_e32 0x7f, v46
	s_xor_b32 s26, exec_lo, s26
	s_cbranch_execnz .LBB6_10082
; %bb.9239:                             ;   in Loop: Header=BB6_9048 Depth=2
	s_or_saveexec_b32 s26, s26
	v_mov_b32_e32 v45, s25
	s_xor_b32 exec_lo, exec_lo, s26
	s_cbranch_execnz .LBB6_10085
.LBB6_9240:                             ;   in Loop: Header=BB6_9048 Depth=2
	s_or_b32 exec_lo, exec_lo, s26
	s_and_saveexec_b32 s25, s7
	s_cbranch_execz .LBB6_9242
.LBB6_9241:                             ;   in Loop: Header=BB6_9048 Depth=2
	v_lshrrev_b16 v57, 3, v51
	s_delay_alu instid0(VALU_DEP_1) | instskip(NEXT) | instid1(VALU_DEP_1)
	v_and_b32_e32 v57, 15, v57
	v_cmp_eq_u32_e32 vcc_lo, 0, v57
	v_and_b32_e32 v45, 7, v51
	s_delay_alu instid0(VALU_DEP_1) | instskip(NEXT) | instid1(VALU_DEP_1)
	v_clz_i32_u32_e32 v46, v45
	v_min_u32_e32 v46, 32, v46
	s_delay_alu instid0(VALU_DEP_1) | instskip(SKIP_1) | instid1(VALU_DEP_2)
	v_subrev_nc_u32_e32 v56, 28, v46
	v_sub_nc_u32_e32 v46, 29, v46
	v_lshlrev_b32_e32 v56, v56, v51
	s_delay_alu instid0(VALU_DEP_2) | instskip(NEXT) | instid1(VALU_DEP_2)
	v_dual_cndmask_b32 v46, v57, v46 :: v_dual_lshlrev_b32 v51, 24, v51
	v_and_b32_e32 v56, 7, v56
	s_delay_alu instid0(VALU_DEP_2) | instskip(NEXT) | instid1(VALU_DEP_3)
	v_lshl_add_u32 v46, v46, 23, 0x3b800000
	v_and_b32_e32 v51, 0x80000000, v51
	s_delay_alu instid0(VALU_DEP_3) | instskip(NEXT) | instid1(VALU_DEP_1)
	v_cndmask_b32_e32 v45, v45, v56, vcc_lo
	v_lshlrev_b32_e32 v45, 20, v45
	s_delay_alu instid0(VALU_DEP_1)
	v_or3_b32 v45, v51, v46, v45
.LBB6_9242:                             ;   in Loop: Header=BB6_9048 Depth=2
	s_or_b32 exec_lo, exec_lo, s25
	s_delay_alu instid0(VALU_DEP_1) | instskip(SKIP_1) | instid1(VALU_DEP_1)
	v_max_f32_e32 v51, v45, v45
	v_max_f32_e32 v45, v47, v47
	v_min_f32_e32 v47, v45, v51
.LBB6_9243:                             ;   in Loop: Header=BB6_9048 Depth=2
	s_waitcnt vmcnt(25) lgkmcnt(25)
	s_delay_alu instid0(VALU_DEP_1) | instskip(NEXT) | instid1(VALU_DEP_1)
	v_and_b32_e32 v51, 0x7f800000, v47
	v_cmp_ne_u32_e32 vcc_lo, 0x7f800000, v51
	v_mov_b32_e32 v51, 0x80
	s_and_saveexec_b32 s25, vcc_lo
	s_cbranch_execz .LBB6_9251
; %bb.9244:                             ;   in Loop: Header=BB6_9048 Depth=2
	v_mov_b32_e32 v51, 0
	s_mov_b32 s26, exec_lo
	v_cmpx_ne_u32_e32 0, v47
	s_cbranch_execz .LBB6_9250
; %bb.9245:                             ;   in Loop: Header=BB6_9048 Depth=2
	v_bfe_u32 v51, v47, 23, 8
	s_delay_alu instid0(VALU_DEP_1) | instskip(SKIP_1) | instid1(VALU_DEP_2)
	v_sub_nc_u32_e32 v46, 0x78, v51
	v_cmp_gt_u32_e32 vcc_lo, 0x79, v51
	v_dual_cndmask_b32 v46, 0, v46 :: v_dual_and_b32 v45, 0x7fffff, v47
	s_delay_alu instid0(VALU_DEP_1) | instskip(SKIP_2) | instid1(VALU_DEP_4)
	v_or_b32_e32 v56, 0x800000, v45
	v_cmp_eq_u32_e32 vcc_lo, 0, v51
	v_add_nc_u32_e32 v51, 0xffffff89, v51
	v_cndmask_b32_e64 v46, v46, 0x77, vcc_lo
	s_delay_alu instid0(VALU_DEP_4) | instskip(NEXT) | instid1(VALU_DEP_3)
	v_cndmask_b32_e32 v45, v56, v45, vcc_lo
	v_cndmask_b32_e64 v51, v51, 0xffffff8a, vcc_lo
	s_delay_alu instid0(VALU_DEP_3) | instskip(NEXT) | instid1(VALU_DEP_3)
	v_lshl_add_u32 v56, 0x100000, v46, -1
	v_lshrrev_b32_e32 v57, v46, v45
	v_lshlrev_b32_e64 v59, v46, 0x80000
	s_delay_alu instid0(VALU_DEP_4) | instskip(NEXT) | instid1(VALU_DEP_4)
	v_add_nc_u32_e32 v46, v46, v51
	v_and_b32_e32 v45, v56, v45
	s_delay_alu instid0(VALU_DEP_4) | instskip(NEXT) | instid1(VALU_DEP_2)
	v_bfe_u32 v58, v57, 20, 1
	v_cmp_eq_u32_e64 s7, v45, v59
	s_delay_alu instid0(VALU_DEP_2) | instskip(NEXT) | instid1(VALU_DEP_1)
	v_add_nc_u32_e32 v56, -1, v58
	v_cndmask_b32_e64 v45, 0, v56, s7
	v_lshrrev_b32_e32 v56, 23, v57
	s_mov_b32 s7, exec_lo
	s_delay_alu instid0(VALU_DEP_2) | instskip(NEXT) | instid1(VALU_DEP_2)
	v_add_nc_u32_e32 v45, v45, v57
	v_xor_b32_e32 v56, 1, v56
	s_delay_alu instid0(VALU_DEP_2) | instskip(NEXT) | instid1(VALU_DEP_1)
	v_and_b32_e32 v51, 0xfffff, v45
	v_add_nc_u32_e32 v45, v51, v57
                                        ; implicit-def: $vgpr51
	s_delay_alu instid0(VALU_DEP_3)
	v_cmpx_ne_u32_e64 v46, v56
	s_xor_b32 s7, exec_lo, s7
; %bb.9246:                             ;   in Loop: Header=BB6_9048 Depth=2
	s_delay_alu instid0(VALU_DEP_2) | instskip(SKIP_2) | instid1(VALU_DEP_2)
	v_cmp_lt_u32_e32 vcc_lo, 0xffffff, v45
	v_sub_nc_u32_e32 v51, v46, v56
	v_cndmask_b32_e64 v46, 0, 1, vcc_lo
	v_add_co_ci_u32_e32 v51, vcc_lo, 0, v51, vcc_lo
	s_delay_alu instid0(VALU_DEP_2)
	v_lshrrev_b32_e32 v45, v46, v45
; %bb.9247:                             ;   in Loop: Header=BB6_9048 Depth=2
	s_and_not1_saveexec_b32 s7, s7
; %bb.9248:                             ;   in Loop: Header=BB6_9048 Depth=2
	s_delay_alu instid0(VALU_DEP_1)
	v_bfe_u32 v51, v45, 23, 1
; %bb.9249:                             ;   in Loop: Header=BB6_9048 Depth=2
	s_or_b32 exec_lo, exec_lo, s7
	v_lshrrev_b32_e32 v45, 20, v45
	s_delay_alu instid0(VALU_DEP_2) | instskip(SKIP_2) | instid1(VALU_DEP_2)
	v_cmp_gt_i32_e32 vcc_lo, 16, v51
	v_lshrrev_b32_e32 v46, 24, v47
	v_min_i32_e32 v47, 15, v51
	v_dual_cndmask_b32 v45, 7, v45 :: v_dual_and_b32 v46, 0x80, v46
	s_delay_alu instid0(VALU_DEP_2) | instskip(NEXT) | instid1(VALU_DEP_2)
	v_lshlrev_b32_e32 v47, 3, v47
	v_and_b32_e32 v56, 7, v45
	v_or_b32_e32 v51, v51, v45
	s_delay_alu instid0(VALU_DEP_2) | instskip(NEXT) | instid1(VALU_DEP_2)
	v_or3_b32 v45, v47, v46, v56
	v_cmp_ne_u32_e32 vcc_lo, 0, v51
	s_delay_alu instid0(VALU_DEP_2)
	v_cndmask_b32_e32 v51, 0, v45, vcc_lo
.LBB6_9250:                             ;   in Loop: Header=BB6_9048 Depth=2
	s_or_b32 exec_lo, exec_lo, s26
.LBB6_9251:                             ;   in Loop: Header=BB6_9048 Depth=2
	s_delay_alu instid0(SALU_CYCLE_1) | instskip(SKIP_2) | instid1(VALU_DEP_1)
	s_or_b32 exec_lo, exec_lo, s25
	v_and_b32_e32 v45, 0xff, v44
	s_and_not1_b32 vcc_lo, exec_lo, s23
	v_cmp_lt_i16_e64 s7, 0x7f, v45
	s_cbranch_vccnz .LBB6_9261
; %bb.9252:                             ;   in Loop: Header=BB6_9048 Depth=2
	s_mov_b32 s25, 0
                                        ; implicit-def: $sgpr26
	s_delay_alu instid0(VALU_DEP_1) | instskip(NEXT) | instid1(SALU_CYCLE_1)
	s_and_saveexec_b32 s27, s7
	s_xor_b32 s7, exec_lo, s27
	s_cbranch_execnz .LBB6_10086
; %bb.9253:                             ;   in Loop: Header=BB6_9048 Depth=2
	s_or_saveexec_b32 s7, s7
	v_mov_b32_e32 v46, s26
	s_xor_b32 exec_lo, exec_lo, s7
	s_cbranch_execnz .LBB6_10089
.LBB6_9254:                             ;   in Loop: Header=BB6_9048 Depth=2
	s_or_b32 exec_lo, exec_lo, s7
	s_and_saveexec_b32 s7, s25
	s_cbranch_execz .LBB6_9256
.LBB6_9255:                             ;   in Loop: Header=BB6_9048 Depth=2
	v_lshrrev_b16 v57, 3, v44
	v_lshlrev_b32_e32 v58, 24, v44
	s_delay_alu instid0(VALU_DEP_2) | instskip(NEXT) | instid1(VALU_DEP_1)
	v_and_b32_e32 v57, 15, v57
	v_cmp_eq_u32_e32 vcc_lo, 0, v57
	v_and_b32_e32 v46, 7, v44
	s_delay_alu instid0(VALU_DEP_1) | instskip(NEXT) | instid1(VALU_DEP_1)
	v_clz_i32_u32_e32 v47, v46
	v_min_u32_e32 v47, 32, v47
	s_delay_alu instid0(VALU_DEP_1) | instskip(SKIP_1) | instid1(VALU_DEP_1)
	v_subrev_nc_u32_e32 v56, 28, v47
	v_sub_nc_u32_e32 v47, 29, v47
	v_dual_cndmask_b32 v47, v57, v47 :: v_dual_lshlrev_b32 v56, v56, v44
	s_delay_alu instid0(VALU_DEP_1) | instskip(NEXT) | instid1(VALU_DEP_2)
	v_and_b32_e32 v56, 7, v56
	v_lshl_add_u32 v47, v47, 23, 0x3b800000
	s_delay_alu instid0(VALU_DEP_2) | instskip(SKIP_1) | instid1(VALU_DEP_2)
	v_cndmask_b32_e32 v46, v46, v56, vcc_lo
	v_and_b32_e32 v56, 0x80000000, v58
	v_lshlrev_b32_e32 v46, 20, v46
	s_delay_alu instid0(VALU_DEP_1)
	v_or3_b32 v46, v56, v47, v46
.LBB6_9256:                             ;   in Loop: Header=BB6_9048 Depth=2
	s_or_b32 exec_lo, exec_lo, s7
	s_waitcnt vmcnt(24) lgkmcnt(24)
	v_and_b32_e32 v56, 0xff, v96
	s_mov_b32 s7, 0
	s_mov_b32 s26, exec_lo
                                        ; implicit-def: $sgpr25
	s_delay_alu instid0(VALU_DEP_1)
	v_cmpx_lt_i16_e32 0x7f, v56
	s_xor_b32 s26, exec_lo, s26
	s_cbranch_execnz .LBB6_10090
; %bb.9257:                             ;   in Loop: Header=BB6_9048 Depth=2
	s_or_saveexec_b32 s26, s26
	v_mov_b32_e32 v47, s25
	s_xor_b32 exec_lo, exec_lo, s26
	s_cbranch_execnz .LBB6_10093
.LBB6_9258:                             ;   in Loop: Header=BB6_9048 Depth=2
	s_or_b32 exec_lo, exec_lo, s26
	s_and_saveexec_b32 s25, s7
	s_cbranch_execz .LBB6_9260
.LBB6_9259:                             ;   in Loop: Header=BB6_9048 Depth=2
	v_and_b32_e32 v47, 7, v96
	v_lshrrev_b16 v58, 3, v96
	v_lshlrev_b32_e32 v59, 24, v96
	s_delay_alu instid0(VALU_DEP_3) | instskip(NEXT) | instid1(VALU_DEP_1)
	v_clz_i32_u32_e32 v56, v47
	v_min_u32_e32 v56, 32, v56
	s_delay_alu instid0(VALU_DEP_1) | instskip(SKIP_1) | instid1(VALU_DEP_2)
	v_subrev_nc_u32_e32 v57, 28, v56
	v_sub_nc_u32_e32 v56, 29, v56
	v_lshlrev_b32_e32 v57, v57, v96
	s_delay_alu instid0(VALU_DEP_1) | instskip(SKIP_1) | instid1(VALU_DEP_1)
	v_and_b32_e32 v57, 7, v57
	v_and_b32_e32 v58, 15, v58
	v_cmp_eq_u32_e32 vcc_lo, 0, v58
	s_delay_alu instid0(VALU_DEP_3) | instskip(SKIP_1) | instid1(VALU_DEP_2)
	v_dual_cndmask_b32 v47, v47, v57 :: v_dual_cndmask_b32 v56, v58, v56
	v_and_b32_e32 v57, 0x80000000, v59
	v_lshlrev_b32_e32 v47, 20, v47
	s_delay_alu instid0(VALU_DEP_3) | instskip(NEXT) | instid1(VALU_DEP_1)
	v_lshl_add_u32 v56, v56, 23, 0x3b800000
	v_or3_b32 v47, v57, v56, v47
.LBB6_9260:                             ;   in Loop: Header=BB6_9048 Depth=2
	s_or_b32 exec_lo, exec_lo, s25
	s_delay_alu instid0(VALU_DEP_1) | instskip(SKIP_1) | instid1(VALU_DEP_1)
	v_dual_max_f32 v47, v47, v47 :: v_dual_max_f32 v46, v46, v46
	s_mov_b32 s7, 0
	v_max_f32_e32 v46, v46, v47
	s_branch .LBB6_9262
.LBB6_9261:                             ;   in Loop: Header=BB6_9048 Depth=2
	s_mov_b32 s7, -1
                                        ; implicit-def: $vgpr46
.LBB6_9262:                             ;   in Loop: Header=BB6_9048 Depth=2
	s_delay_alu instid0(SALU_CYCLE_1)
	s_and_b32 vcc_lo, exec_lo, s7
	s_cbranch_vccz .LBB6_9272
; %bb.9263:                             ;   in Loop: Header=BB6_9048 Depth=2
	s_mov_b32 s7, 0
	s_mov_b32 s26, exec_lo
                                        ; implicit-def: $sgpr25
	v_cmpx_lt_i16_e32 0x7f, v45
	s_xor_b32 s26, exec_lo, s26
	s_cbranch_execnz .LBB6_10094
; %bb.9264:                             ;   in Loop: Header=BB6_9048 Depth=2
	s_or_saveexec_b32 s26, s26
	v_mov_b32_e32 v46, s25
	s_xor_b32 exec_lo, exec_lo, s26
	s_cbranch_execnz .LBB6_10097
.LBB6_9265:                             ;   in Loop: Header=BB6_9048 Depth=2
	s_or_b32 exec_lo, exec_lo, s26
	s_and_saveexec_b32 s25, s7
	s_cbranch_execz .LBB6_9267
.LBB6_9266:                             ;   in Loop: Header=BB6_9048 Depth=2
	v_lshrrev_b16 v56, 3, v44
	s_delay_alu instid0(VALU_DEP_1) | instskip(NEXT) | instid1(VALU_DEP_1)
	v_and_b32_e32 v56, 15, v56
	v_cmp_eq_u32_e32 vcc_lo, 0, v56
	v_and_b32_e32 v45, 7, v44
	s_delay_alu instid0(VALU_DEP_1) | instskip(NEXT) | instid1(VALU_DEP_1)
	v_clz_i32_u32_e32 v46, v45
	v_min_u32_e32 v46, 32, v46
	s_delay_alu instid0(VALU_DEP_1) | instskip(SKIP_1) | instid1(VALU_DEP_1)
	v_subrev_nc_u32_e32 v47, 28, v46
	v_sub_nc_u32_e32 v46, 29, v46
	v_dual_cndmask_b32 v46, v56, v46 :: v_dual_lshlrev_b32 v47, v47, v44
	v_lshlrev_b32_e32 v44, 24, v44
	s_delay_alu instid0(VALU_DEP_2) | instskip(NEXT) | instid1(VALU_DEP_3)
	v_and_b32_e32 v47, 7, v47
	v_lshl_add_u32 v46, v46, 23, 0x3b800000
	s_delay_alu instid0(VALU_DEP_2) | instskip(NEXT) | instid1(VALU_DEP_1)
	v_dual_cndmask_b32 v45, v45, v47 :: v_dual_and_b32 v44, 0x80000000, v44
	v_lshlrev_b32_e32 v45, 20, v45
	s_delay_alu instid0(VALU_DEP_1)
	v_or3_b32 v46, v44, v46, v45
.LBB6_9267:                             ;   in Loop: Header=BB6_9048 Depth=2
	s_or_b32 exec_lo, exec_lo, s25
	s_waitcnt vmcnt(24) lgkmcnt(24)
	v_and_b32_e32 v45, 0xff, v96
	s_mov_b32 s7, 0
	s_mov_b32 s26, exec_lo
                                        ; implicit-def: $sgpr25
	s_delay_alu instid0(VALU_DEP_1)
	v_cmpx_lt_i16_e32 0x7f, v45
	s_xor_b32 s26, exec_lo, s26
	s_cbranch_execnz .LBB6_10098
; %bb.9268:                             ;   in Loop: Header=BB6_9048 Depth=2
	s_or_saveexec_b32 s26, s26
	v_mov_b32_e32 v44, s25
	s_xor_b32 exec_lo, exec_lo, s26
	s_cbranch_execnz .LBB6_10101
.LBB6_9269:                             ;   in Loop: Header=BB6_9048 Depth=2
	s_or_b32 exec_lo, exec_lo, s26
	s_and_saveexec_b32 s25, s7
	s_cbranch_execz .LBB6_9271
.LBB6_9270:                             ;   in Loop: Header=BB6_9048 Depth=2
	v_lshrrev_b16 v56, 3, v96
	s_delay_alu instid0(VALU_DEP_1) | instskip(NEXT) | instid1(VALU_DEP_1)
	v_and_b32_e32 v56, 15, v56
	v_cmp_eq_u32_e32 vcc_lo, 0, v56
	v_and_b32_e32 v44, 7, v96
	s_delay_alu instid0(VALU_DEP_1) | instskip(NEXT) | instid1(VALU_DEP_1)
	v_clz_i32_u32_e32 v45, v44
	v_min_u32_e32 v45, 32, v45
	s_delay_alu instid0(VALU_DEP_1) | instskip(SKIP_1) | instid1(VALU_DEP_2)
	v_subrev_nc_u32_e32 v47, 28, v45
	v_sub_nc_u32_e32 v45, 29, v45
	v_lshlrev_b32_e32 v47, v47, v96
	s_delay_alu instid0(VALU_DEP_2) | instskip(NEXT) | instid1(VALU_DEP_2)
	v_dual_cndmask_b32 v45, v56, v45 :: v_dual_lshlrev_b32 v96, 24, v96
	v_and_b32_e32 v47, 7, v47
	s_delay_alu instid0(VALU_DEP_2) | instskip(NEXT) | instid1(VALU_DEP_3)
	v_lshl_add_u32 v45, v45, 23, 0x3b800000
	v_and_b32_e32 v96, 0x80000000, v96
	s_delay_alu instid0(VALU_DEP_3) | instskip(NEXT) | instid1(VALU_DEP_1)
	v_cndmask_b32_e32 v44, v44, v47, vcc_lo
	v_lshlrev_b32_e32 v44, 20, v44
	s_delay_alu instid0(VALU_DEP_1)
	v_or3_b32 v44, v96, v45, v44
.LBB6_9271:                             ;   in Loop: Header=BB6_9048 Depth=2
	s_or_b32 exec_lo, exec_lo, s25
	s_delay_alu instid0(VALU_DEP_1) | instskip(SKIP_1) | instid1(VALU_DEP_1)
	v_max_f32_e32 v96, v44, v44
	v_max_f32_e32 v44, v46, v46
	v_min_f32_e32 v46, v44, v96
.LBB6_9272:                             ;   in Loop: Header=BB6_9048 Depth=2
	s_waitcnt vmcnt(24) lgkmcnt(24)
	s_delay_alu instid0(VALU_DEP_1) | instskip(NEXT) | instid1(VALU_DEP_1)
	v_and_b32_e32 v96, 0x7f800000, v46
	v_cmp_ne_u32_e32 vcc_lo, 0x7f800000, v96
	v_mov_b32_e32 v96, 0x80
	s_and_saveexec_b32 s25, vcc_lo
	s_cbranch_execz .LBB6_9280
; %bb.9273:                             ;   in Loop: Header=BB6_9048 Depth=2
	v_mov_b32_e32 v96, 0
	s_mov_b32 s26, exec_lo
	v_cmpx_ne_u32_e32 0, v46
	s_cbranch_execz .LBB6_9279
; %bb.9274:                             ;   in Loop: Header=BB6_9048 Depth=2
	v_bfe_u32 v96, v46, 23, 8
	s_delay_alu instid0(VALU_DEP_1) | instskip(SKIP_1) | instid1(VALU_DEP_2)
	v_sub_nc_u32_e32 v45, 0x78, v96
	v_cmp_gt_u32_e32 vcc_lo, 0x79, v96
	v_dual_cndmask_b32 v45, 0, v45 :: v_dual_and_b32 v44, 0x7fffff, v46
	s_delay_alu instid0(VALU_DEP_1) | instskip(SKIP_2) | instid1(VALU_DEP_4)
	v_or_b32_e32 v47, 0x800000, v44
	v_cmp_eq_u32_e32 vcc_lo, 0, v96
	v_add_nc_u32_e32 v96, 0xffffff89, v96
	v_cndmask_b32_e64 v45, v45, 0x77, vcc_lo
	s_delay_alu instid0(VALU_DEP_4) | instskip(NEXT) | instid1(VALU_DEP_3)
	v_cndmask_b32_e32 v44, v47, v44, vcc_lo
	v_cndmask_b32_e64 v96, v96, 0xffffff8a, vcc_lo
	s_delay_alu instid0(VALU_DEP_3) | instskip(NEXT) | instid1(VALU_DEP_3)
	v_lshl_add_u32 v47, 0x100000, v45, -1
	v_lshrrev_b32_e32 v56, v45, v44
	v_lshlrev_b32_e64 v58, v45, 0x80000
	s_delay_alu instid0(VALU_DEP_4) | instskip(NEXT) | instid1(VALU_DEP_4)
	v_add_nc_u32_e32 v45, v45, v96
	v_and_b32_e32 v44, v47, v44
	s_delay_alu instid0(VALU_DEP_4) | instskip(NEXT) | instid1(VALU_DEP_2)
	v_bfe_u32 v57, v56, 20, 1
	v_cmp_eq_u32_e64 s7, v44, v58
	s_delay_alu instid0(VALU_DEP_2) | instskip(NEXT) | instid1(VALU_DEP_1)
	v_add_nc_u32_e32 v47, -1, v57
	v_cndmask_b32_e64 v44, 0, v47, s7
	v_lshrrev_b32_e32 v47, 23, v56
	s_mov_b32 s7, exec_lo
	s_delay_alu instid0(VALU_DEP_2) | instskip(NEXT) | instid1(VALU_DEP_2)
	v_add_nc_u32_e32 v44, v44, v56
	v_xor_b32_e32 v47, 1, v47
	s_delay_alu instid0(VALU_DEP_2) | instskip(NEXT) | instid1(VALU_DEP_1)
	v_and_b32_e32 v96, 0xfffff, v44
	v_add_nc_u32_e32 v44, v96, v56
                                        ; implicit-def: $vgpr96
	s_delay_alu instid0(VALU_DEP_3)
	v_cmpx_ne_u32_e64 v45, v47
	s_xor_b32 s7, exec_lo, s7
; %bb.9275:                             ;   in Loop: Header=BB6_9048 Depth=2
	s_delay_alu instid0(VALU_DEP_2) | instskip(SKIP_2) | instid1(VALU_DEP_2)
	v_cmp_lt_u32_e32 vcc_lo, 0xffffff, v44
	v_sub_nc_u32_e32 v96, v45, v47
	v_cndmask_b32_e64 v45, 0, 1, vcc_lo
	v_add_co_ci_u32_e32 v96, vcc_lo, 0, v96, vcc_lo
	s_delay_alu instid0(VALU_DEP_2)
	v_lshrrev_b32_e32 v44, v45, v44
; %bb.9276:                             ;   in Loop: Header=BB6_9048 Depth=2
	s_and_not1_saveexec_b32 s7, s7
; %bb.9277:                             ;   in Loop: Header=BB6_9048 Depth=2
	s_delay_alu instid0(VALU_DEP_1)
	v_bfe_u32 v96, v44, 23, 1
; %bb.9278:                             ;   in Loop: Header=BB6_9048 Depth=2
	s_or_b32 exec_lo, exec_lo, s7
	v_lshrrev_b32_e32 v44, 20, v44
	s_delay_alu instid0(VALU_DEP_2) | instskip(SKIP_2) | instid1(VALU_DEP_2)
	v_cmp_gt_i32_e32 vcc_lo, 16, v96
	v_lshrrev_b32_e32 v45, 24, v46
	v_min_i32_e32 v46, 15, v96
	v_dual_cndmask_b32 v44, 7, v44 :: v_dual_and_b32 v45, 0x80, v45
	s_delay_alu instid0(VALU_DEP_2) | instskip(NEXT) | instid1(VALU_DEP_2)
	v_lshlrev_b32_e32 v46, 3, v46
	v_and_b32_e32 v47, 7, v44
	v_or_b32_e32 v96, v96, v44
	s_delay_alu instid0(VALU_DEP_2) | instskip(NEXT) | instid1(VALU_DEP_2)
	v_or3_b32 v44, v46, v45, v47
	v_cmp_ne_u32_e32 vcc_lo, 0, v96
	s_delay_alu instid0(VALU_DEP_2)
	v_cndmask_b32_e32 v96, 0, v44, vcc_lo
.LBB6_9279:                             ;   in Loop: Header=BB6_9048 Depth=2
	s_or_b32 exec_lo, exec_lo, s26
.LBB6_9280:                             ;   in Loop: Header=BB6_9048 Depth=2
	s_delay_alu instid0(SALU_CYCLE_1) | instskip(SKIP_2) | instid1(VALU_DEP_1)
	s_or_b32 exec_lo, exec_lo, s25
	v_and_b32_e32 v44, 0xff, v43
	s_and_not1_b32 vcc_lo, exec_lo, s23
	v_cmp_lt_i16_e64 s7, 0x7f, v44
	s_cbranch_vccnz .LBB6_9290
; %bb.9281:                             ;   in Loop: Header=BB6_9048 Depth=2
	s_mov_b32 s25, 0
                                        ; implicit-def: $sgpr26
	s_delay_alu instid0(VALU_DEP_1) | instskip(NEXT) | instid1(SALU_CYCLE_1)
	s_and_saveexec_b32 s27, s7
	s_xor_b32 s7, exec_lo, s27
	s_cbranch_execnz .LBB6_10102
; %bb.9282:                             ;   in Loop: Header=BB6_9048 Depth=2
	s_or_saveexec_b32 s7, s7
	v_mov_b32_e32 v45, s26
	s_xor_b32 exec_lo, exec_lo, s7
	s_cbranch_execnz .LBB6_10105
.LBB6_9283:                             ;   in Loop: Header=BB6_9048 Depth=2
	s_or_b32 exec_lo, exec_lo, s7
	s_and_saveexec_b32 s7, s25
	s_cbranch_execz .LBB6_9285
.LBB6_9284:                             ;   in Loop: Header=BB6_9048 Depth=2
	v_lshrrev_b16 v56, 3, v43
	v_lshlrev_b32_e32 v57, 24, v43
	s_delay_alu instid0(VALU_DEP_2) | instskip(NEXT) | instid1(VALU_DEP_1)
	v_and_b32_e32 v56, 15, v56
	v_cmp_eq_u32_e32 vcc_lo, 0, v56
	v_and_b32_e32 v45, 7, v43
	s_delay_alu instid0(VALU_DEP_1) | instskip(NEXT) | instid1(VALU_DEP_1)
	v_clz_i32_u32_e32 v46, v45
	v_min_u32_e32 v46, 32, v46
	s_delay_alu instid0(VALU_DEP_1) | instskip(SKIP_1) | instid1(VALU_DEP_1)
	v_subrev_nc_u32_e32 v47, 28, v46
	v_sub_nc_u32_e32 v46, 29, v46
	v_dual_cndmask_b32 v46, v56, v46 :: v_dual_lshlrev_b32 v47, v47, v43
	s_delay_alu instid0(VALU_DEP_1) | instskip(NEXT) | instid1(VALU_DEP_2)
	v_and_b32_e32 v47, 7, v47
	v_lshl_add_u32 v46, v46, 23, 0x3b800000
	s_delay_alu instid0(VALU_DEP_2) | instskip(SKIP_1) | instid1(VALU_DEP_2)
	v_cndmask_b32_e32 v45, v45, v47, vcc_lo
	v_and_b32_e32 v47, 0x80000000, v57
	v_lshlrev_b32_e32 v45, 20, v45
	s_delay_alu instid0(VALU_DEP_1)
	v_or3_b32 v45, v47, v46, v45
.LBB6_9285:                             ;   in Loop: Header=BB6_9048 Depth=2
	s_or_b32 exec_lo, exec_lo, s7
	s_waitcnt vmcnt(23) lgkmcnt(23)
	v_and_b32_e32 v47, 0xff, v99
	s_mov_b32 s7, 0
	s_mov_b32 s26, exec_lo
                                        ; implicit-def: $sgpr25
	s_delay_alu instid0(VALU_DEP_1)
	v_cmpx_lt_i16_e32 0x7f, v47
	s_xor_b32 s26, exec_lo, s26
	s_cbranch_execnz .LBB6_10106
; %bb.9286:                             ;   in Loop: Header=BB6_9048 Depth=2
	s_or_saveexec_b32 s26, s26
	v_mov_b32_e32 v46, s25
	s_xor_b32 exec_lo, exec_lo, s26
	s_cbranch_execnz .LBB6_10109
.LBB6_9287:                             ;   in Loop: Header=BB6_9048 Depth=2
	s_or_b32 exec_lo, exec_lo, s26
	s_and_saveexec_b32 s25, s7
	s_cbranch_execz .LBB6_9289
.LBB6_9288:                             ;   in Loop: Header=BB6_9048 Depth=2
	v_and_b32_e32 v46, 7, v99
	v_lshrrev_b16 v57, 3, v99
	v_lshlrev_b32_e32 v58, 24, v99
	s_delay_alu instid0(VALU_DEP_3) | instskip(NEXT) | instid1(VALU_DEP_1)
	v_clz_i32_u32_e32 v47, v46
	v_min_u32_e32 v47, 32, v47
	s_delay_alu instid0(VALU_DEP_1) | instskip(SKIP_1) | instid1(VALU_DEP_2)
	v_subrev_nc_u32_e32 v56, 28, v47
	v_sub_nc_u32_e32 v47, 29, v47
	v_lshlrev_b32_e32 v56, v56, v99
	s_delay_alu instid0(VALU_DEP_1) | instskip(SKIP_1) | instid1(VALU_DEP_1)
	v_and_b32_e32 v56, 7, v56
	v_and_b32_e32 v57, 15, v57
	v_cmp_eq_u32_e32 vcc_lo, 0, v57
	s_delay_alu instid0(VALU_DEP_3) | instskip(SKIP_1) | instid1(VALU_DEP_2)
	v_dual_cndmask_b32 v46, v46, v56 :: v_dual_cndmask_b32 v47, v57, v47
	v_and_b32_e32 v56, 0x80000000, v58
	v_lshlrev_b32_e32 v46, 20, v46
	s_delay_alu instid0(VALU_DEP_3) | instskip(NEXT) | instid1(VALU_DEP_1)
	v_lshl_add_u32 v47, v47, 23, 0x3b800000
	v_or3_b32 v46, v56, v47, v46
.LBB6_9289:                             ;   in Loop: Header=BB6_9048 Depth=2
	s_or_b32 exec_lo, exec_lo, s25
	s_delay_alu instid0(VALU_DEP_1) | instskip(SKIP_1) | instid1(VALU_DEP_1)
	v_dual_max_f32 v46, v46, v46 :: v_dual_max_f32 v45, v45, v45
	s_mov_b32 s7, 0
	v_max_f32_e32 v45, v45, v46
	s_branch .LBB6_9291
.LBB6_9290:                             ;   in Loop: Header=BB6_9048 Depth=2
	s_mov_b32 s7, -1
                                        ; implicit-def: $vgpr45
.LBB6_9291:                             ;   in Loop: Header=BB6_9048 Depth=2
	s_delay_alu instid0(SALU_CYCLE_1)
	s_and_b32 vcc_lo, exec_lo, s7
	s_cbranch_vccz .LBB6_9301
; %bb.9292:                             ;   in Loop: Header=BB6_9048 Depth=2
	s_mov_b32 s7, 0
	s_mov_b32 s26, exec_lo
                                        ; implicit-def: $sgpr25
	v_cmpx_lt_i16_e32 0x7f, v44
	s_xor_b32 s26, exec_lo, s26
	s_cbranch_execnz .LBB6_10110
; %bb.9293:                             ;   in Loop: Header=BB6_9048 Depth=2
	s_or_saveexec_b32 s26, s26
	v_mov_b32_e32 v45, s25
	s_xor_b32 exec_lo, exec_lo, s26
	s_cbranch_execnz .LBB6_10113
.LBB6_9294:                             ;   in Loop: Header=BB6_9048 Depth=2
	s_or_b32 exec_lo, exec_lo, s26
	s_and_saveexec_b32 s25, s7
	s_cbranch_execz .LBB6_9296
.LBB6_9295:                             ;   in Loop: Header=BB6_9048 Depth=2
	v_lshrrev_b16 v47, 3, v43
	s_delay_alu instid0(VALU_DEP_1) | instskip(NEXT) | instid1(VALU_DEP_1)
	v_and_b32_e32 v47, 15, v47
	v_cmp_eq_u32_e32 vcc_lo, 0, v47
	v_and_b32_e32 v44, 7, v43
	s_delay_alu instid0(VALU_DEP_1) | instskip(NEXT) | instid1(VALU_DEP_1)
	v_clz_i32_u32_e32 v45, v44
	v_min_u32_e32 v45, 32, v45
	s_delay_alu instid0(VALU_DEP_1) | instskip(SKIP_1) | instid1(VALU_DEP_1)
	v_subrev_nc_u32_e32 v46, 28, v45
	v_sub_nc_u32_e32 v45, 29, v45
	v_dual_cndmask_b32 v45, v47, v45 :: v_dual_lshlrev_b32 v46, v46, v43
	v_lshlrev_b32_e32 v43, 24, v43
	s_delay_alu instid0(VALU_DEP_2) | instskip(NEXT) | instid1(VALU_DEP_3)
	v_and_b32_e32 v46, 7, v46
	v_lshl_add_u32 v45, v45, 23, 0x3b800000
	s_delay_alu instid0(VALU_DEP_2) | instskip(NEXT) | instid1(VALU_DEP_1)
	v_dual_cndmask_b32 v44, v44, v46 :: v_dual_and_b32 v43, 0x80000000, v43
	v_lshlrev_b32_e32 v44, 20, v44
	s_delay_alu instid0(VALU_DEP_1)
	v_or3_b32 v45, v43, v45, v44
.LBB6_9296:                             ;   in Loop: Header=BB6_9048 Depth=2
	s_or_b32 exec_lo, exec_lo, s25
	s_waitcnt vmcnt(23) lgkmcnt(23)
	v_and_b32_e32 v44, 0xff, v99
	s_mov_b32 s7, 0
	s_mov_b32 s26, exec_lo
                                        ; implicit-def: $sgpr25
	s_delay_alu instid0(VALU_DEP_1)
	v_cmpx_lt_i16_e32 0x7f, v44
	s_xor_b32 s26, exec_lo, s26
	s_cbranch_execnz .LBB6_10114
; %bb.9297:                             ;   in Loop: Header=BB6_9048 Depth=2
	s_or_saveexec_b32 s26, s26
	v_mov_b32_e32 v43, s25
	s_xor_b32 exec_lo, exec_lo, s26
	s_cbranch_execnz .LBB6_10117
.LBB6_9298:                             ;   in Loop: Header=BB6_9048 Depth=2
	s_or_b32 exec_lo, exec_lo, s26
	s_and_saveexec_b32 s25, s7
	s_cbranch_execz .LBB6_9300
.LBB6_9299:                             ;   in Loop: Header=BB6_9048 Depth=2
	v_lshrrev_b16 v47, 3, v99
	s_delay_alu instid0(VALU_DEP_1) | instskip(NEXT) | instid1(VALU_DEP_1)
	v_and_b32_e32 v47, 15, v47
	v_cmp_eq_u32_e32 vcc_lo, 0, v47
	v_and_b32_e32 v43, 7, v99
	s_delay_alu instid0(VALU_DEP_1) | instskip(NEXT) | instid1(VALU_DEP_1)
	v_clz_i32_u32_e32 v44, v43
	v_min_u32_e32 v44, 32, v44
	s_delay_alu instid0(VALU_DEP_1) | instskip(SKIP_1) | instid1(VALU_DEP_2)
	v_subrev_nc_u32_e32 v46, 28, v44
	v_sub_nc_u32_e32 v44, 29, v44
	v_lshlrev_b32_e32 v46, v46, v99
	s_delay_alu instid0(VALU_DEP_2) | instskip(NEXT) | instid1(VALU_DEP_2)
	v_dual_cndmask_b32 v44, v47, v44 :: v_dual_lshlrev_b32 v99, 24, v99
	v_and_b32_e32 v46, 7, v46
	s_delay_alu instid0(VALU_DEP_2) | instskip(NEXT) | instid1(VALU_DEP_3)
	v_lshl_add_u32 v44, v44, 23, 0x3b800000
	v_and_b32_e32 v99, 0x80000000, v99
	s_delay_alu instid0(VALU_DEP_3) | instskip(NEXT) | instid1(VALU_DEP_1)
	v_cndmask_b32_e32 v43, v43, v46, vcc_lo
	v_lshlrev_b32_e32 v43, 20, v43
	s_delay_alu instid0(VALU_DEP_1)
	v_or3_b32 v43, v99, v44, v43
.LBB6_9300:                             ;   in Loop: Header=BB6_9048 Depth=2
	s_or_b32 exec_lo, exec_lo, s25
	s_delay_alu instid0(VALU_DEP_1) | instskip(SKIP_1) | instid1(VALU_DEP_1)
	v_max_f32_e32 v99, v43, v43
	v_max_f32_e32 v43, v45, v45
	v_min_f32_e32 v45, v43, v99
.LBB6_9301:                             ;   in Loop: Header=BB6_9048 Depth=2
	s_waitcnt vmcnt(23) lgkmcnt(23)
	s_delay_alu instid0(VALU_DEP_1) | instskip(NEXT) | instid1(VALU_DEP_1)
	v_and_b32_e32 v99, 0x7f800000, v45
	v_cmp_ne_u32_e32 vcc_lo, 0x7f800000, v99
	v_mov_b32_e32 v99, 0x80
	s_and_saveexec_b32 s25, vcc_lo
	s_cbranch_execz .LBB6_9309
; %bb.9302:                             ;   in Loop: Header=BB6_9048 Depth=2
	v_mov_b32_e32 v99, 0
	s_mov_b32 s26, exec_lo
	v_cmpx_ne_u32_e32 0, v45
	s_cbranch_execz .LBB6_9308
; %bb.9303:                             ;   in Loop: Header=BB6_9048 Depth=2
	v_bfe_u32 v99, v45, 23, 8
	s_delay_alu instid0(VALU_DEP_1) | instskip(SKIP_1) | instid1(VALU_DEP_2)
	v_sub_nc_u32_e32 v44, 0x78, v99
	v_cmp_gt_u32_e32 vcc_lo, 0x79, v99
	v_dual_cndmask_b32 v44, 0, v44 :: v_dual_and_b32 v43, 0x7fffff, v45
	s_delay_alu instid0(VALU_DEP_1) | instskip(SKIP_2) | instid1(VALU_DEP_4)
	v_or_b32_e32 v46, 0x800000, v43
	v_cmp_eq_u32_e32 vcc_lo, 0, v99
	v_add_nc_u32_e32 v99, 0xffffff89, v99
	v_cndmask_b32_e64 v44, v44, 0x77, vcc_lo
	s_delay_alu instid0(VALU_DEP_4) | instskip(NEXT) | instid1(VALU_DEP_3)
	v_cndmask_b32_e32 v43, v46, v43, vcc_lo
	v_cndmask_b32_e64 v99, v99, 0xffffff8a, vcc_lo
	s_delay_alu instid0(VALU_DEP_3) | instskip(NEXT) | instid1(VALU_DEP_3)
	v_lshl_add_u32 v46, 0x100000, v44, -1
	v_lshrrev_b32_e32 v47, v44, v43
	v_lshlrev_b32_e64 v57, v44, 0x80000
	s_delay_alu instid0(VALU_DEP_4) | instskip(NEXT) | instid1(VALU_DEP_4)
	v_add_nc_u32_e32 v44, v44, v99
	v_and_b32_e32 v43, v46, v43
	s_delay_alu instid0(VALU_DEP_4) | instskip(NEXT) | instid1(VALU_DEP_2)
	v_bfe_u32 v56, v47, 20, 1
	v_cmp_eq_u32_e64 s7, v43, v57
	s_delay_alu instid0(VALU_DEP_2) | instskip(NEXT) | instid1(VALU_DEP_1)
	v_add_nc_u32_e32 v46, -1, v56
	v_cndmask_b32_e64 v43, 0, v46, s7
	v_lshrrev_b32_e32 v46, 23, v47
	s_mov_b32 s7, exec_lo
	s_delay_alu instid0(VALU_DEP_2) | instskip(NEXT) | instid1(VALU_DEP_2)
	v_add_nc_u32_e32 v43, v43, v47
	v_xor_b32_e32 v46, 1, v46
	s_delay_alu instid0(VALU_DEP_2) | instskip(NEXT) | instid1(VALU_DEP_1)
	v_and_b32_e32 v99, 0xfffff, v43
	v_add_nc_u32_e32 v43, v99, v47
                                        ; implicit-def: $vgpr99
	s_delay_alu instid0(VALU_DEP_3)
	v_cmpx_ne_u32_e64 v44, v46
	s_xor_b32 s7, exec_lo, s7
; %bb.9304:                             ;   in Loop: Header=BB6_9048 Depth=2
	s_delay_alu instid0(VALU_DEP_2) | instskip(SKIP_2) | instid1(VALU_DEP_2)
	v_cmp_lt_u32_e32 vcc_lo, 0xffffff, v43
	v_sub_nc_u32_e32 v99, v44, v46
	v_cndmask_b32_e64 v44, 0, 1, vcc_lo
	v_add_co_ci_u32_e32 v99, vcc_lo, 0, v99, vcc_lo
	s_delay_alu instid0(VALU_DEP_2)
	v_lshrrev_b32_e32 v43, v44, v43
; %bb.9305:                             ;   in Loop: Header=BB6_9048 Depth=2
	s_and_not1_saveexec_b32 s7, s7
; %bb.9306:                             ;   in Loop: Header=BB6_9048 Depth=2
	s_delay_alu instid0(VALU_DEP_1)
	v_bfe_u32 v99, v43, 23, 1
; %bb.9307:                             ;   in Loop: Header=BB6_9048 Depth=2
	s_or_b32 exec_lo, exec_lo, s7
	v_lshrrev_b32_e32 v43, 20, v43
	s_delay_alu instid0(VALU_DEP_2) | instskip(SKIP_2) | instid1(VALU_DEP_2)
	v_cmp_gt_i32_e32 vcc_lo, 16, v99
	v_lshrrev_b32_e32 v44, 24, v45
	v_min_i32_e32 v45, 15, v99
	v_dual_cndmask_b32 v43, 7, v43 :: v_dual_and_b32 v44, 0x80, v44
	s_delay_alu instid0(VALU_DEP_2) | instskip(NEXT) | instid1(VALU_DEP_2)
	v_lshlrev_b32_e32 v45, 3, v45
	v_and_b32_e32 v46, 7, v43
	v_or_b32_e32 v99, v99, v43
	s_delay_alu instid0(VALU_DEP_2) | instskip(NEXT) | instid1(VALU_DEP_2)
	v_or3_b32 v43, v45, v44, v46
	v_cmp_ne_u32_e32 vcc_lo, 0, v99
	s_delay_alu instid0(VALU_DEP_2)
	v_cndmask_b32_e32 v99, 0, v43, vcc_lo
.LBB6_9308:                             ;   in Loop: Header=BB6_9048 Depth=2
	s_or_b32 exec_lo, exec_lo, s26
.LBB6_9309:                             ;   in Loop: Header=BB6_9048 Depth=2
	s_delay_alu instid0(SALU_CYCLE_1) | instskip(SKIP_2) | instid1(VALU_DEP_1)
	s_or_b32 exec_lo, exec_lo, s25
	v_and_b32_e32 v43, 0xff, v42
	s_and_not1_b32 vcc_lo, exec_lo, s23
	v_cmp_lt_i16_e64 s7, 0x7f, v43
	s_cbranch_vccnz .LBB6_9319
; %bb.9310:                             ;   in Loop: Header=BB6_9048 Depth=2
	s_mov_b32 s25, 0
                                        ; implicit-def: $sgpr26
	s_delay_alu instid0(VALU_DEP_1) | instskip(NEXT) | instid1(SALU_CYCLE_1)
	s_and_saveexec_b32 s27, s7
	s_xor_b32 s7, exec_lo, s27
	s_cbranch_execnz .LBB6_10118
; %bb.9311:                             ;   in Loop: Header=BB6_9048 Depth=2
	s_or_saveexec_b32 s7, s7
	v_mov_b32_e32 v44, s26
	s_xor_b32 exec_lo, exec_lo, s7
	s_cbranch_execnz .LBB6_10121
.LBB6_9312:                             ;   in Loop: Header=BB6_9048 Depth=2
	s_or_b32 exec_lo, exec_lo, s7
	s_and_saveexec_b32 s7, s25
	s_cbranch_execz .LBB6_9314
.LBB6_9313:                             ;   in Loop: Header=BB6_9048 Depth=2
	v_lshrrev_b16 v47, 3, v42
	v_lshlrev_b32_e32 v56, 24, v42
	s_delay_alu instid0(VALU_DEP_2) | instskip(NEXT) | instid1(VALU_DEP_1)
	v_and_b32_e32 v47, 15, v47
	v_cmp_eq_u32_e32 vcc_lo, 0, v47
	v_and_b32_e32 v44, 7, v42
	s_delay_alu instid0(VALU_DEP_1) | instskip(NEXT) | instid1(VALU_DEP_1)
	v_clz_i32_u32_e32 v45, v44
	v_min_u32_e32 v45, 32, v45
	s_delay_alu instid0(VALU_DEP_1) | instskip(SKIP_1) | instid1(VALU_DEP_1)
	v_subrev_nc_u32_e32 v46, 28, v45
	v_sub_nc_u32_e32 v45, 29, v45
	v_dual_cndmask_b32 v45, v47, v45 :: v_dual_lshlrev_b32 v46, v46, v42
	s_delay_alu instid0(VALU_DEP_1) | instskip(NEXT) | instid1(VALU_DEP_2)
	v_and_b32_e32 v46, 7, v46
	v_lshl_add_u32 v45, v45, 23, 0x3b800000
	s_delay_alu instid0(VALU_DEP_2) | instskip(SKIP_1) | instid1(VALU_DEP_2)
	v_cndmask_b32_e32 v44, v44, v46, vcc_lo
	v_and_b32_e32 v46, 0x80000000, v56
	v_lshlrev_b32_e32 v44, 20, v44
	s_delay_alu instid0(VALU_DEP_1)
	v_or3_b32 v44, v46, v45, v44
.LBB6_9314:                             ;   in Loop: Header=BB6_9048 Depth=2
	s_or_b32 exec_lo, exec_lo, s7
	s_waitcnt vmcnt(22) lgkmcnt(22)
	v_and_b32_e32 v46, 0xff, v145
	s_mov_b32 s7, 0
	s_mov_b32 s26, exec_lo
                                        ; implicit-def: $sgpr25
	s_delay_alu instid0(VALU_DEP_1)
	v_cmpx_lt_i16_e32 0x7f, v46
	s_xor_b32 s26, exec_lo, s26
	s_cbranch_execnz .LBB6_10122
; %bb.9315:                             ;   in Loop: Header=BB6_9048 Depth=2
	s_or_saveexec_b32 s26, s26
	v_mov_b32_e32 v45, s25
	s_xor_b32 exec_lo, exec_lo, s26
	s_cbranch_execnz .LBB6_10125
.LBB6_9316:                             ;   in Loop: Header=BB6_9048 Depth=2
	s_or_b32 exec_lo, exec_lo, s26
	s_and_saveexec_b32 s25, s7
	s_cbranch_execz .LBB6_9318
.LBB6_9317:                             ;   in Loop: Header=BB6_9048 Depth=2
	v_lshrrev_b16 v56, 3, v145
	v_lshlrev_b32_e32 v57, 24, v145
	s_delay_alu instid0(VALU_DEP_2) | instskip(NEXT) | instid1(VALU_DEP_1)
	v_and_b32_e32 v56, 15, v56
	v_cmp_eq_u32_e32 vcc_lo, 0, v56
	v_and_b32_e32 v45, 7, v145
	s_delay_alu instid0(VALU_DEP_1) | instskip(NEXT) | instid1(VALU_DEP_1)
	v_clz_i32_u32_e32 v46, v45
	v_min_u32_e32 v46, 32, v46
	s_delay_alu instid0(VALU_DEP_1) | instskip(SKIP_1) | instid1(VALU_DEP_1)
	v_subrev_nc_u32_e32 v47, 28, v46
	v_sub_nc_u32_e32 v46, 29, v46
	v_dual_cndmask_b32 v46, v56, v46 :: v_dual_lshlrev_b32 v47, v47, v145
	s_delay_alu instid0(VALU_DEP_1) | instskip(NEXT) | instid1(VALU_DEP_2)
	v_and_b32_e32 v47, 7, v47
	v_lshl_add_u32 v46, v46, 23, 0x3b800000
	s_delay_alu instid0(VALU_DEP_2) | instskip(SKIP_1) | instid1(VALU_DEP_2)
	v_cndmask_b32_e32 v45, v45, v47, vcc_lo
	v_and_b32_e32 v47, 0x80000000, v57
	v_lshlrev_b32_e32 v45, 20, v45
	s_delay_alu instid0(VALU_DEP_1)
	v_or3_b32 v45, v47, v46, v45
.LBB6_9318:                             ;   in Loop: Header=BB6_9048 Depth=2
	s_or_b32 exec_lo, exec_lo, s25
	s_delay_alu instid0(VALU_DEP_1) | instskip(SKIP_1) | instid1(VALU_DEP_1)
	v_dual_max_f32 v45, v45, v45 :: v_dual_max_f32 v44, v44, v44
	s_mov_b32 s7, 0
	v_max_f32_e32 v44, v44, v45
	s_branch .LBB6_9320
.LBB6_9319:                             ;   in Loop: Header=BB6_9048 Depth=2
	s_mov_b32 s7, -1
                                        ; implicit-def: $vgpr44
.LBB6_9320:                             ;   in Loop: Header=BB6_9048 Depth=2
	s_delay_alu instid0(SALU_CYCLE_1)
	s_and_b32 vcc_lo, exec_lo, s7
	s_cbranch_vccz .LBB6_9330
; %bb.9321:                             ;   in Loop: Header=BB6_9048 Depth=2
	s_mov_b32 s7, 0
	s_mov_b32 s26, exec_lo
                                        ; implicit-def: $sgpr25
	v_cmpx_lt_i16_e32 0x7f, v43
	s_xor_b32 s26, exec_lo, s26
	s_cbranch_execnz .LBB6_10126
; %bb.9322:                             ;   in Loop: Header=BB6_9048 Depth=2
	s_or_saveexec_b32 s26, s26
	v_mov_b32_e32 v44, s25
	s_xor_b32 exec_lo, exec_lo, s26
	s_cbranch_execnz .LBB6_10129
.LBB6_9323:                             ;   in Loop: Header=BB6_9048 Depth=2
	s_or_b32 exec_lo, exec_lo, s26
	s_and_saveexec_b32 s25, s7
	s_cbranch_execz .LBB6_9325
.LBB6_9324:                             ;   in Loop: Header=BB6_9048 Depth=2
	v_lshrrev_b16 v46, 3, v42
	s_delay_alu instid0(VALU_DEP_1) | instskip(NEXT) | instid1(VALU_DEP_1)
	v_and_b32_e32 v46, 15, v46
	v_cmp_eq_u32_e32 vcc_lo, 0, v46
	v_and_b32_e32 v43, 7, v42
	s_delay_alu instid0(VALU_DEP_1) | instskip(NEXT) | instid1(VALU_DEP_1)
	v_clz_i32_u32_e32 v44, v43
	v_min_u32_e32 v44, 32, v44
	s_delay_alu instid0(VALU_DEP_1) | instskip(SKIP_1) | instid1(VALU_DEP_1)
	v_subrev_nc_u32_e32 v45, 28, v44
	v_sub_nc_u32_e32 v44, 29, v44
	v_dual_cndmask_b32 v44, v46, v44 :: v_dual_lshlrev_b32 v45, v45, v42
	v_lshlrev_b32_e32 v42, 24, v42
	s_delay_alu instid0(VALU_DEP_2) | instskip(NEXT) | instid1(VALU_DEP_3)
	v_and_b32_e32 v45, 7, v45
	v_lshl_add_u32 v44, v44, 23, 0x3b800000
	s_delay_alu instid0(VALU_DEP_2) | instskip(NEXT) | instid1(VALU_DEP_1)
	v_dual_cndmask_b32 v43, v43, v45 :: v_dual_and_b32 v42, 0x80000000, v42
	v_lshlrev_b32_e32 v43, 20, v43
	s_delay_alu instid0(VALU_DEP_1)
	v_or3_b32 v44, v42, v44, v43
.LBB6_9325:                             ;   in Loop: Header=BB6_9048 Depth=2
	s_or_b32 exec_lo, exec_lo, s25
	s_waitcnt vmcnt(22) lgkmcnt(22)
	v_and_b32_e32 v43, 0xff, v145
	s_mov_b32 s7, 0
	s_mov_b32 s26, exec_lo
                                        ; implicit-def: $sgpr25
	s_delay_alu instid0(VALU_DEP_1)
	v_cmpx_lt_i16_e32 0x7f, v43
	s_xor_b32 s26, exec_lo, s26
	s_cbranch_execnz .LBB6_10130
; %bb.9326:                             ;   in Loop: Header=BB6_9048 Depth=2
	s_or_saveexec_b32 s26, s26
	v_mov_b32_e32 v42, s25
	s_xor_b32 exec_lo, exec_lo, s26
	s_cbranch_execnz .LBB6_10133
.LBB6_9327:                             ;   in Loop: Header=BB6_9048 Depth=2
	s_or_b32 exec_lo, exec_lo, s26
	s_and_saveexec_b32 s25, s7
	s_cbranch_execz .LBB6_9329
.LBB6_9328:                             ;   in Loop: Header=BB6_9048 Depth=2
	v_lshrrev_b16 v46, 3, v145
	s_delay_alu instid0(VALU_DEP_1) | instskip(NEXT) | instid1(VALU_DEP_1)
	v_and_b32_e32 v46, 15, v46
	v_cmp_eq_u32_e32 vcc_lo, 0, v46
	v_and_b32_e32 v42, 7, v145
	s_delay_alu instid0(VALU_DEP_1) | instskip(NEXT) | instid1(VALU_DEP_1)
	v_clz_i32_u32_e32 v43, v42
	v_min_u32_e32 v43, 32, v43
	s_delay_alu instid0(VALU_DEP_1) | instskip(SKIP_1) | instid1(VALU_DEP_2)
	v_subrev_nc_u32_e32 v45, 28, v43
	v_sub_nc_u32_e32 v43, 29, v43
	v_lshlrev_b32_e32 v45, v45, v145
	s_delay_alu instid0(VALU_DEP_2) | instskip(SKIP_1) | instid1(VALU_DEP_3)
	v_cndmask_b32_e32 v43, v46, v43, vcc_lo
	v_lshlrev_b32_e32 v145, 24, v145
	v_and_b32_e32 v45, 7, v45
	s_delay_alu instid0(VALU_DEP_3) | instskip(NEXT) | instid1(VALU_DEP_3)
	v_lshl_add_u32 v43, v43, 23, 0x3b800000
	v_and_b32_e32 v145, 0x80000000, v145
	s_delay_alu instid0(VALU_DEP_3) | instskip(NEXT) | instid1(VALU_DEP_1)
	v_cndmask_b32_e32 v42, v42, v45, vcc_lo
	v_lshlrev_b32_e32 v42, 20, v42
	s_delay_alu instid0(VALU_DEP_1)
	v_or3_b32 v42, v145, v43, v42
.LBB6_9329:                             ;   in Loop: Header=BB6_9048 Depth=2
	s_or_b32 exec_lo, exec_lo, s25
	s_delay_alu instid0(VALU_DEP_1) | instskip(NEXT) | instid1(VALU_DEP_1)
	v_dual_max_f32 v145, v42, v42 :: v_dual_max_f32 v42, v44, v44
	v_min_f32_e32 v44, v42, v145
.LBB6_9330:                             ;   in Loop: Header=BB6_9048 Depth=2
	s_waitcnt vmcnt(22) lgkmcnt(22)
	s_delay_alu instid0(VALU_DEP_1) | instskip(NEXT) | instid1(VALU_DEP_1)
	v_and_b32_e32 v145, 0x7f800000, v44
	v_cmp_ne_u32_e32 vcc_lo, 0x7f800000, v145
	v_mov_b32_e32 v145, 0x80
	s_and_saveexec_b32 s25, vcc_lo
	s_cbranch_execz .LBB6_9338
; %bb.9331:                             ;   in Loop: Header=BB6_9048 Depth=2
	v_mov_b32_e32 v145, 0
	s_mov_b32 s26, exec_lo
	v_cmpx_ne_u32_e32 0, v44
	s_cbranch_execz .LBB6_9337
; %bb.9332:                             ;   in Loop: Header=BB6_9048 Depth=2
	v_bfe_u32 v145, v44, 23, 8
	s_delay_alu instid0(VALU_DEP_1) | instskip(SKIP_1) | instid1(VALU_DEP_2)
	v_sub_nc_u32_e32 v43, 0x78, v145
	v_cmp_gt_u32_e32 vcc_lo, 0x79, v145
	v_dual_cndmask_b32 v43, 0, v43 :: v_dual_and_b32 v42, 0x7fffff, v44
	s_delay_alu instid0(VALU_DEP_1) | instskip(SKIP_2) | instid1(VALU_DEP_4)
	v_or_b32_e32 v45, 0x800000, v42
	v_cmp_eq_u32_e32 vcc_lo, 0, v145
	v_add_nc_u32_e32 v145, 0xffffff89, v145
	v_cndmask_b32_e64 v43, v43, 0x77, vcc_lo
	s_delay_alu instid0(VALU_DEP_4) | instskip(NEXT) | instid1(VALU_DEP_3)
	v_cndmask_b32_e32 v42, v45, v42, vcc_lo
	v_cndmask_b32_e64 v145, v145, 0xffffff8a, vcc_lo
	s_delay_alu instid0(VALU_DEP_3) | instskip(NEXT) | instid1(VALU_DEP_3)
	v_lshl_add_u32 v45, 0x100000, v43, -1
	v_lshrrev_b32_e32 v46, v43, v42
	v_lshlrev_b32_e64 v56, v43, 0x80000
	s_delay_alu instid0(VALU_DEP_4) | instskip(NEXT) | instid1(VALU_DEP_4)
	v_add_nc_u32_e32 v43, v43, v145
	v_and_b32_e32 v42, v45, v42
	s_delay_alu instid0(VALU_DEP_4) | instskip(NEXT) | instid1(VALU_DEP_2)
	v_bfe_u32 v47, v46, 20, 1
	v_cmp_eq_u32_e64 s7, v42, v56
	s_delay_alu instid0(VALU_DEP_2) | instskip(NEXT) | instid1(VALU_DEP_1)
	v_add_nc_u32_e32 v45, -1, v47
	v_cndmask_b32_e64 v42, 0, v45, s7
	v_lshrrev_b32_e32 v45, 23, v46
	s_mov_b32 s7, exec_lo
	s_delay_alu instid0(VALU_DEP_2) | instskip(NEXT) | instid1(VALU_DEP_2)
	v_add_nc_u32_e32 v42, v42, v46
	v_xor_b32_e32 v45, 1, v45
	s_delay_alu instid0(VALU_DEP_2) | instskip(NEXT) | instid1(VALU_DEP_1)
	v_and_b32_e32 v145, 0xfffff, v42
	v_add_nc_u32_e32 v42, v145, v46
                                        ; implicit-def: $vgpr145
	s_delay_alu instid0(VALU_DEP_3)
	v_cmpx_ne_u32_e64 v43, v45
	s_xor_b32 s7, exec_lo, s7
; %bb.9333:                             ;   in Loop: Header=BB6_9048 Depth=2
	s_delay_alu instid0(VALU_DEP_2) | instskip(SKIP_2) | instid1(VALU_DEP_2)
	v_cmp_lt_u32_e32 vcc_lo, 0xffffff, v42
	v_sub_nc_u32_e32 v145, v43, v45
	v_cndmask_b32_e64 v43, 0, 1, vcc_lo
	v_add_co_ci_u32_e32 v145, vcc_lo, 0, v145, vcc_lo
	s_delay_alu instid0(VALU_DEP_2)
	v_lshrrev_b32_e32 v42, v43, v42
; %bb.9334:                             ;   in Loop: Header=BB6_9048 Depth=2
	s_and_not1_saveexec_b32 s7, s7
; %bb.9335:                             ;   in Loop: Header=BB6_9048 Depth=2
	s_delay_alu instid0(VALU_DEP_1)
	v_bfe_u32 v145, v42, 23, 1
; %bb.9336:                             ;   in Loop: Header=BB6_9048 Depth=2
	s_or_b32 exec_lo, exec_lo, s7
	v_lshrrev_b32_e32 v42, 20, v42
	s_delay_alu instid0(VALU_DEP_2) | instskip(SKIP_2) | instid1(VALU_DEP_2)
	v_cmp_gt_i32_e32 vcc_lo, 16, v145
	v_lshrrev_b32_e32 v43, 24, v44
	v_min_i32_e32 v44, 15, v145
	v_dual_cndmask_b32 v42, 7, v42 :: v_dual_and_b32 v43, 0x80, v43
	s_delay_alu instid0(VALU_DEP_1) | instskip(SKIP_1) | instid1(VALU_DEP_2)
	v_or_b32_e32 v145, v145, v42
	v_and_b32_e32 v45, 7, v42
	v_cmp_ne_u32_e32 vcc_lo, 0, v145
	v_lshlrev_b32_e32 v44, 3, v44
	s_delay_alu instid0(VALU_DEP_1) | instskip(NEXT) | instid1(VALU_DEP_1)
	v_or3_b32 v42, v44, v43, v45
	v_cndmask_b32_e32 v145, 0, v42, vcc_lo
.LBB6_9337:                             ;   in Loop: Header=BB6_9048 Depth=2
	s_or_b32 exec_lo, exec_lo, s26
.LBB6_9338:                             ;   in Loop: Header=BB6_9048 Depth=2
	s_delay_alu instid0(SALU_CYCLE_1) | instskip(SKIP_2) | instid1(VALU_DEP_1)
	s_or_b32 exec_lo, exec_lo, s25
	v_and_b32_e32 v42, 0xff, v41
	s_and_not1_b32 vcc_lo, exec_lo, s23
	v_cmp_lt_i16_e64 s7, 0x7f, v42
	s_cbranch_vccnz .LBB6_9348
; %bb.9339:                             ;   in Loop: Header=BB6_9048 Depth=2
	s_mov_b32 s25, 0
                                        ; implicit-def: $sgpr26
	s_delay_alu instid0(VALU_DEP_1) | instskip(NEXT) | instid1(SALU_CYCLE_1)
	s_and_saveexec_b32 s27, s7
	s_xor_b32 s7, exec_lo, s27
	s_cbranch_execnz .LBB6_10134
; %bb.9340:                             ;   in Loop: Header=BB6_9048 Depth=2
	s_or_saveexec_b32 s7, s7
	v_mov_b32_e32 v43, s26
	s_xor_b32 exec_lo, exec_lo, s7
	s_cbranch_execnz .LBB6_10137
.LBB6_9341:                             ;   in Loop: Header=BB6_9048 Depth=2
	s_or_b32 exec_lo, exec_lo, s7
	s_and_saveexec_b32 s7, s25
	s_cbranch_execz .LBB6_9343
.LBB6_9342:                             ;   in Loop: Header=BB6_9048 Depth=2
	v_lshrrev_b16 v46, 3, v41
	v_lshlrev_b32_e32 v47, 24, v41
	s_delay_alu instid0(VALU_DEP_2) | instskip(NEXT) | instid1(VALU_DEP_1)
	v_and_b32_e32 v46, 15, v46
	v_cmp_eq_u32_e32 vcc_lo, 0, v46
	v_and_b32_e32 v43, 7, v41
	s_delay_alu instid0(VALU_DEP_1) | instskip(NEXT) | instid1(VALU_DEP_1)
	v_clz_i32_u32_e32 v44, v43
	v_min_u32_e32 v44, 32, v44
	s_delay_alu instid0(VALU_DEP_1) | instskip(SKIP_1) | instid1(VALU_DEP_1)
	v_subrev_nc_u32_e32 v45, 28, v44
	v_sub_nc_u32_e32 v44, 29, v44
	v_dual_cndmask_b32 v44, v46, v44 :: v_dual_lshlrev_b32 v45, v45, v41
	s_delay_alu instid0(VALU_DEP_1) | instskip(NEXT) | instid1(VALU_DEP_2)
	v_and_b32_e32 v45, 7, v45
	v_lshl_add_u32 v44, v44, 23, 0x3b800000
	s_delay_alu instid0(VALU_DEP_2) | instskip(SKIP_1) | instid1(VALU_DEP_2)
	v_cndmask_b32_e32 v43, v43, v45, vcc_lo
	v_and_b32_e32 v45, 0x80000000, v47
	v_lshlrev_b32_e32 v43, 20, v43
	s_delay_alu instid0(VALU_DEP_1)
	v_or3_b32 v43, v45, v44, v43
.LBB6_9343:                             ;   in Loop: Header=BB6_9048 Depth=2
	s_or_b32 exec_lo, exec_lo, s7
	s_waitcnt vmcnt(21) lgkmcnt(21)
	v_and_b32_e32 v45, 0xff, v148
	s_mov_b32 s7, 0
	s_mov_b32 s26, exec_lo
                                        ; implicit-def: $sgpr25
	s_delay_alu instid0(VALU_DEP_1)
	v_cmpx_lt_i16_e32 0x7f, v45
	s_xor_b32 s26, exec_lo, s26
	s_cbranch_execnz .LBB6_10138
; %bb.9344:                             ;   in Loop: Header=BB6_9048 Depth=2
	s_or_saveexec_b32 s26, s26
	v_mov_b32_e32 v44, s25
	s_xor_b32 exec_lo, exec_lo, s26
	s_cbranch_execnz .LBB6_10141
.LBB6_9345:                             ;   in Loop: Header=BB6_9048 Depth=2
	s_or_b32 exec_lo, exec_lo, s26
	s_and_saveexec_b32 s25, s7
	s_cbranch_execz .LBB6_9347
.LBB6_9346:                             ;   in Loop: Header=BB6_9048 Depth=2
	v_lshrrev_b16 v47, 3, v148
	v_lshlrev_b32_e32 v56, 24, v148
	s_delay_alu instid0(VALU_DEP_2) | instskip(NEXT) | instid1(VALU_DEP_1)
	v_and_b32_e32 v47, 15, v47
	v_cmp_eq_u32_e32 vcc_lo, 0, v47
	v_and_b32_e32 v44, 7, v148
	s_delay_alu instid0(VALU_DEP_1) | instskip(NEXT) | instid1(VALU_DEP_1)
	v_clz_i32_u32_e32 v45, v44
	v_min_u32_e32 v45, 32, v45
	s_delay_alu instid0(VALU_DEP_1) | instskip(SKIP_1) | instid1(VALU_DEP_1)
	v_subrev_nc_u32_e32 v46, 28, v45
	v_sub_nc_u32_e32 v45, 29, v45
	v_dual_cndmask_b32 v45, v47, v45 :: v_dual_lshlrev_b32 v46, v46, v148
	s_delay_alu instid0(VALU_DEP_1) | instskip(NEXT) | instid1(VALU_DEP_2)
	v_and_b32_e32 v46, 7, v46
	v_lshl_add_u32 v45, v45, 23, 0x3b800000
	s_delay_alu instid0(VALU_DEP_2) | instskip(SKIP_1) | instid1(VALU_DEP_2)
	v_cndmask_b32_e32 v44, v44, v46, vcc_lo
	v_and_b32_e32 v46, 0x80000000, v56
	v_lshlrev_b32_e32 v44, 20, v44
	s_delay_alu instid0(VALU_DEP_1)
	v_or3_b32 v44, v46, v45, v44
.LBB6_9347:                             ;   in Loop: Header=BB6_9048 Depth=2
	s_or_b32 exec_lo, exec_lo, s25
	s_delay_alu instid0(VALU_DEP_1) | instskip(SKIP_1) | instid1(VALU_DEP_1)
	v_dual_max_f32 v44, v44, v44 :: v_dual_max_f32 v43, v43, v43
	s_mov_b32 s7, 0
	v_max_f32_e32 v43, v43, v44
	s_branch .LBB6_9349
.LBB6_9348:                             ;   in Loop: Header=BB6_9048 Depth=2
	s_mov_b32 s7, -1
                                        ; implicit-def: $vgpr43
.LBB6_9349:                             ;   in Loop: Header=BB6_9048 Depth=2
	s_delay_alu instid0(SALU_CYCLE_1)
	s_and_b32 vcc_lo, exec_lo, s7
	s_cbranch_vccz .LBB6_9359
; %bb.9350:                             ;   in Loop: Header=BB6_9048 Depth=2
	s_mov_b32 s7, 0
	s_mov_b32 s26, exec_lo
                                        ; implicit-def: $sgpr25
	v_cmpx_lt_i16_e32 0x7f, v42
	s_xor_b32 s26, exec_lo, s26
	s_cbranch_execnz .LBB6_10142
; %bb.9351:                             ;   in Loop: Header=BB6_9048 Depth=2
	s_or_saveexec_b32 s26, s26
	v_mov_b32_e32 v43, s25
	s_xor_b32 exec_lo, exec_lo, s26
	s_cbranch_execnz .LBB6_10145
.LBB6_9352:                             ;   in Loop: Header=BB6_9048 Depth=2
	s_or_b32 exec_lo, exec_lo, s26
	s_and_saveexec_b32 s25, s7
	s_cbranch_execz .LBB6_9354
.LBB6_9353:                             ;   in Loop: Header=BB6_9048 Depth=2
	v_lshrrev_b16 v45, 3, v41
	s_delay_alu instid0(VALU_DEP_1) | instskip(NEXT) | instid1(VALU_DEP_1)
	v_and_b32_e32 v45, 15, v45
	v_cmp_eq_u32_e32 vcc_lo, 0, v45
	v_and_b32_e32 v42, 7, v41
	s_delay_alu instid0(VALU_DEP_1) | instskip(NEXT) | instid1(VALU_DEP_1)
	v_clz_i32_u32_e32 v43, v42
	v_min_u32_e32 v43, 32, v43
	s_delay_alu instid0(VALU_DEP_1) | instskip(SKIP_1) | instid1(VALU_DEP_1)
	v_subrev_nc_u32_e32 v44, 28, v43
	v_sub_nc_u32_e32 v43, 29, v43
	v_dual_cndmask_b32 v43, v45, v43 :: v_dual_lshlrev_b32 v44, v44, v41
	v_lshlrev_b32_e32 v41, 24, v41
	s_delay_alu instid0(VALU_DEP_2) | instskip(NEXT) | instid1(VALU_DEP_3)
	v_and_b32_e32 v44, 7, v44
	v_lshl_add_u32 v43, v43, 23, 0x3b800000
	s_delay_alu instid0(VALU_DEP_2) | instskip(NEXT) | instid1(VALU_DEP_1)
	v_dual_cndmask_b32 v42, v42, v44 :: v_dual_and_b32 v41, 0x80000000, v41
	v_lshlrev_b32_e32 v42, 20, v42
	s_delay_alu instid0(VALU_DEP_1)
	v_or3_b32 v43, v41, v43, v42
.LBB6_9354:                             ;   in Loop: Header=BB6_9048 Depth=2
	s_or_b32 exec_lo, exec_lo, s25
	s_waitcnt vmcnt(21) lgkmcnt(21)
	v_and_b32_e32 v42, 0xff, v148
	s_mov_b32 s7, 0
	s_mov_b32 s26, exec_lo
                                        ; implicit-def: $sgpr25
	s_delay_alu instid0(VALU_DEP_1)
	v_cmpx_lt_i16_e32 0x7f, v42
	s_xor_b32 s26, exec_lo, s26
	s_cbranch_execnz .LBB6_10146
; %bb.9355:                             ;   in Loop: Header=BB6_9048 Depth=2
	s_or_saveexec_b32 s26, s26
	v_mov_b32_e32 v41, s25
	s_xor_b32 exec_lo, exec_lo, s26
	s_cbranch_execnz .LBB6_10149
.LBB6_9356:                             ;   in Loop: Header=BB6_9048 Depth=2
	s_or_b32 exec_lo, exec_lo, s26
	s_and_saveexec_b32 s25, s7
	s_cbranch_execz .LBB6_9358
.LBB6_9357:                             ;   in Loop: Header=BB6_9048 Depth=2
	v_lshrrev_b16 v45, 3, v148
	s_delay_alu instid0(VALU_DEP_1) | instskip(NEXT) | instid1(VALU_DEP_1)
	v_and_b32_e32 v45, 15, v45
	v_cmp_eq_u32_e32 vcc_lo, 0, v45
	v_and_b32_e32 v41, 7, v148
	s_delay_alu instid0(VALU_DEP_1) | instskip(NEXT) | instid1(VALU_DEP_1)
	v_clz_i32_u32_e32 v42, v41
	v_min_u32_e32 v42, 32, v42
	s_delay_alu instid0(VALU_DEP_1) | instskip(SKIP_1) | instid1(VALU_DEP_2)
	v_subrev_nc_u32_e32 v44, 28, v42
	v_sub_nc_u32_e32 v42, 29, v42
	v_lshlrev_b32_e32 v44, v44, v148
	s_delay_alu instid0(VALU_DEP_2) | instskip(SKIP_1) | instid1(VALU_DEP_3)
	v_cndmask_b32_e32 v42, v45, v42, vcc_lo
	v_lshlrev_b32_e32 v148, 24, v148
	v_and_b32_e32 v44, 7, v44
	s_delay_alu instid0(VALU_DEP_3) | instskip(NEXT) | instid1(VALU_DEP_3)
	v_lshl_add_u32 v42, v42, 23, 0x3b800000
	v_and_b32_e32 v148, 0x80000000, v148
	s_delay_alu instid0(VALU_DEP_3) | instskip(NEXT) | instid1(VALU_DEP_1)
	v_cndmask_b32_e32 v41, v41, v44, vcc_lo
	v_lshlrev_b32_e32 v41, 20, v41
	s_delay_alu instid0(VALU_DEP_1)
	v_or3_b32 v41, v148, v42, v41
.LBB6_9358:                             ;   in Loop: Header=BB6_9048 Depth=2
	s_or_b32 exec_lo, exec_lo, s25
	s_delay_alu instid0(VALU_DEP_1) | instskip(NEXT) | instid1(VALU_DEP_1)
	v_dual_max_f32 v148, v41, v41 :: v_dual_max_f32 v41, v43, v43
	v_min_f32_e32 v43, v41, v148
.LBB6_9359:                             ;   in Loop: Header=BB6_9048 Depth=2
	s_waitcnt vmcnt(21) lgkmcnt(21)
	s_delay_alu instid0(VALU_DEP_1) | instskip(NEXT) | instid1(VALU_DEP_1)
	v_and_b32_e32 v148, 0x7f800000, v43
	v_cmp_ne_u32_e32 vcc_lo, 0x7f800000, v148
	v_mov_b32_e32 v148, 0x80
	s_and_saveexec_b32 s25, vcc_lo
	s_cbranch_execz .LBB6_9367
; %bb.9360:                             ;   in Loop: Header=BB6_9048 Depth=2
	v_mov_b32_e32 v148, 0
	s_mov_b32 s26, exec_lo
	v_cmpx_ne_u32_e32 0, v43
	s_cbranch_execz .LBB6_9366
; %bb.9361:                             ;   in Loop: Header=BB6_9048 Depth=2
	v_bfe_u32 v148, v43, 23, 8
	s_delay_alu instid0(VALU_DEP_1) | instskip(SKIP_1) | instid1(VALU_DEP_2)
	v_sub_nc_u32_e32 v42, 0x78, v148
	v_cmp_gt_u32_e32 vcc_lo, 0x79, v148
	v_dual_cndmask_b32 v42, 0, v42 :: v_dual_and_b32 v41, 0x7fffff, v43
	s_delay_alu instid0(VALU_DEP_1) | instskip(SKIP_2) | instid1(VALU_DEP_4)
	v_or_b32_e32 v44, 0x800000, v41
	v_cmp_eq_u32_e32 vcc_lo, 0, v148
	v_add_nc_u32_e32 v148, 0xffffff89, v148
	v_cndmask_b32_e64 v42, v42, 0x77, vcc_lo
	s_delay_alu instid0(VALU_DEP_4) | instskip(NEXT) | instid1(VALU_DEP_3)
	v_cndmask_b32_e32 v41, v44, v41, vcc_lo
	v_cndmask_b32_e64 v148, v148, 0xffffff8a, vcc_lo
	s_delay_alu instid0(VALU_DEP_3) | instskip(NEXT) | instid1(VALU_DEP_3)
	v_lshl_add_u32 v44, 0x100000, v42, -1
	v_lshrrev_b32_e32 v45, v42, v41
	v_lshlrev_b32_e64 v47, v42, 0x80000
	s_delay_alu instid0(VALU_DEP_4) | instskip(NEXT) | instid1(VALU_DEP_4)
	v_add_nc_u32_e32 v42, v42, v148
	v_and_b32_e32 v41, v44, v41
	s_delay_alu instid0(VALU_DEP_4) | instskip(NEXT) | instid1(VALU_DEP_2)
	v_bfe_u32 v46, v45, 20, 1
	v_cmp_eq_u32_e64 s7, v41, v47
	s_delay_alu instid0(VALU_DEP_2) | instskip(NEXT) | instid1(VALU_DEP_1)
	v_add_nc_u32_e32 v44, -1, v46
	v_cndmask_b32_e64 v41, 0, v44, s7
	v_lshrrev_b32_e32 v44, 23, v45
	s_mov_b32 s7, exec_lo
	s_delay_alu instid0(VALU_DEP_2) | instskip(NEXT) | instid1(VALU_DEP_2)
	v_add_nc_u32_e32 v41, v41, v45
	v_xor_b32_e32 v44, 1, v44
	s_delay_alu instid0(VALU_DEP_2) | instskip(NEXT) | instid1(VALU_DEP_1)
	v_and_b32_e32 v148, 0xfffff, v41
	v_add_nc_u32_e32 v41, v148, v45
                                        ; implicit-def: $vgpr148
	s_delay_alu instid0(VALU_DEP_3)
	v_cmpx_ne_u32_e64 v42, v44
	s_xor_b32 s7, exec_lo, s7
; %bb.9362:                             ;   in Loop: Header=BB6_9048 Depth=2
	s_delay_alu instid0(VALU_DEP_2) | instskip(SKIP_2) | instid1(VALU_DEP_2)
	v_cmp_lt_u32_e32 vcc_lo, 0xffffff, v41
	v_sub_nc_u32_e32 v148, v42, v44
	v_cndmask_b32_e64 v42, 0, 1, vcc_lo
	v_add_co_ci_u32_e32 v148, vcc_lo, 0, v148, vcc_lo
	s_delay_alu instid0(VALU_DEP_2)
	v_lshrrev_b32_e32 v41, v42, v41
; %bb.9363:                             ;   in Loop: Header=BB6_9048 Depth=2
	s_and_not1_saveexec_b32 s7, s7
; %bb.9364:                             ;   in Loop: Header=BB6_9048 Depth=2
	s_delay_alu instid0(VALU_DEP_1)
	v_bfe_u32 v148, v41, 23, 1
; %bb.9365:                             ;   in Loop: Header=BB6_9048 Depth=2
	s_or_b32 exec_lo, exec_lo, s7
	v_lshrrev_b32_e32 v41, 20, v41
	s_delay_alu instid0(VALU_DEP_2) | instskip(SKIP_2) | instid1(VALU_DEP_2)
	v_cmp_gt_i32_e32 vcc_lo, 16, v148
	v_lshrrev_b32_e32 v42, 24, v43
	v_min_i32_e32 v43, 15, v148
	v_dual_cndmask_b32 v41, 7, v41 :: v_dual_and_b32 v42, 0x80, v42
	s_delay_alu instid0(VALU_DEP_1) | instskip(SKIP_1) | instid1(VALU_DEP_2)
	v_or_b32_e32 v148, v148, v41
	v_and_b32_e32 v44, 7, v41
	v_cmp_ne_u32_e32 vcc_lo, 0, v148
	v_lshlrev_b32_e32 v43, 3, v43
	s_delay_alu instid0(VALU_DEP_1) | instskip(NEXT) | instid1(VALU_DEP_1)
	v_or3_b32 v41, v43, v42, v44
	v_cndmask_b32_e32 v148, 0, v41, vcc_lo
.LBB6_9366:                             ;   in Loop: Header=BB6_9048 Depth=2
	s_or_b32 exec_lo, exec_lo, s26
.LBB6_9367:                             ;   in Loop: Header=BB6_9048 Depth=2
	s_delay_alu instid0(SALU_CYCLE_1) | instskip(SKIP_2) | instid1(VALU_DEP_1)
	s_or_b32 exec_lo, exec_lo, s25
	v_and_b32_e32 v41, 0xff, v40
	s_and_not1_b32 vcc_lo, exec_lo, s23
	v_cmp_lt_i16_e64 s7, 0x7f, v41
	s_cbranch_vccnz .LBB6_9377
; %bb.9368:                             ;   in Loop: Header=BB6_9048 Depth=2
	s_mov_b32 s25, 0
                                        ; implicit-def: $sgpr26
	s_delay_alu instid0(VALU_DEP_1) | instskip(NEXT) | instid1(SALU_CYCLE_1)
	s_and_saveexec_b32 s27, s7
	s_xor_b32 s7, exec_lo, s27
	s_cbranch_execnz .LBB6_10150
; %bb.9369:                             ;   in Loop: Header=BB6_9048 Depth=2
	s_or_saveexec_b32 s7, s7
	v_mov_b32_e32 v42, s26
	s_xor_b32 exec_lo, exec_lo, s7
	s_cbranch_execnz .LBB6_10153
.LBB6_9370:                             ;   in Loop: Header=BB6_9048 Depth=2
	s_or_b32 exec_lo, exec_lo, s7
	s_and_saveexec_b32 s7, s25
	s_cbranch_execz .LBB6_9372
.LBB6_9371:                             ;   in Loop: Header=BB6_9048 Depth=2
	v_lshrrev_b16 v45, 3, v40
	v_lshlrev_b32_e32 v46, 24, v40
	s_delay_alu instid0(VALU_DEP_2) | instskip(NEXT) | instid1(VALU_DEP_1)
	v_and_b32_e32 v45, 15, v45
	v_cmp_eq_u32_e32 vcc_lo, 0, v45
	v_and_b32_e32 v42, 7, v40
	s_delay_alu instid0(VALU_DEP_1) | instskip(NEXT) | instid1(VALU_DEP_1)
	v_clz_i32_u32_e32 v43, v42
	v_min_u32_e32 v43, 32, v43
	s_delay_alu instid0(VALU_DEP_1) | instskip(SKIP_1) | instid1(VALU_DEP_1)
	v_subrev_nc_u32_e32 v44, 28, v43
	v_sub_nc_u32_e32 v43, 29, v43
	v_dual_cndmask_b32 v43, v45, v43 :: v_dual_lshlrev_b32 v44, v44, v40
	s_delay_alu instid0(VALU_DEP_1) | instskip(NEXT) | instid1(VALU_DEP_2)
	v_and_b32_e32 v44, 7, v44
	v_lshl_add_u32 v43, v43, 23, 0x3b800000
	s_delay_alu instid0(VALU_DEP_2) | instskip(SKIP_1) | instid1(VALU_DEP_2)
	v_cndmask_b32_e32 v42, v42, v44, vcc_lo
	v_and_b32_e32 v44, 0x80000000, v46
	v_lshlrev_b32_e32 v42, 20, v42
	s_delay_alu instid0(VALU_DEP_1)
	v_or3_b32 v42, v44, v43, v42
.LBB6_9372:                             ;   in Loop: Header=BB6_9048 Depth=2
	s_or_b32 exec_lo, exec_lo, s7
	s_waitcnt vmcnt(20) lgkmcnt(20)
	v_and_b32_e32 v44, 0xff, v151
	s_mov_b32 s7, 0
	s_mov_b32 s26, exec_lo
                                        ; implicit-def: $sgpr25
	s_delay_alu instid0(VALU_DEP_1)
	v_cmpx_lt_i16_e32 0x7f, v44
	s_xor_b32 s26, exec_lo, s26
	s_cbranch_execnz .LBB6_10154
; %bb.9373:                             ;   in Loop: Header=BB6_9048 Depth=2
	s_or_saveexec_b32 s26, s26
	v_mov_b32_e32 v43, s25
	s_xor_b32 exec_lo, exec_lo, s26
	s_cbranch_execnz .LBB6_10157
.LBB6_9374:                             ;   in Loop: Header=BB6_9048 Depth=2
	s_or_b32 exec_lo, exec_lo, s26
	s_and_saveexec_b32 s25, s7
	s_cbranch_execz .LBB6_9376
.LBB6_9375:                             ;   in Loop: Header=BB6_9048 Depth=2
	v_lshrrev_b16 v46, 3, v151
	v_lshlrev_b32_e32 v47, 24, v151
	s_delay_alu instid0(VALU_DEP_2) | instskip(NEXT) | instid1(VALU_DEP_1)
	v_and_b32_e32 v46, 15, v46
	v_cmp_eq_u32_e32 vcc_lo, 0, v46
	v_and_b32_e32 v43, 7, v151
	s_delay_alu instid0(VALU_DEP_1) | instskip(NEXT) | instid1(VALU_DEP_1)
	v_clz_i32_u32_e32 v44, v43
	v_min_u32_e32 v44, 32, v44
	s_delay_alu instid0(VALU_DEP_1) | instskip(SKIP_1) | instid1(VALU_DEP_1)
	v_subrev_nc_u32_e32 v45, 28, v44
	v_sub_nc_u32_e32 v44, 29, v44
	v_dual_cndmask_b32 v44, v46, v44 :: v_dual_lshlrev_b32 v45, v45, v151
	s_delay_alu instid0(VALU_DEP_1) | instskip(NEXT) | instid1(VALU_DEP_2)
	v_and_b32_e32 v45, 7, v45
	v_lshl_add_u32 v44, v44, 23, 0x3b800000
	s_delay_alu instid0(VALU_DEP_2) | instskip(SKIP_1) | instid1(VALU_DEP_2)
	v_cndmask_b32_e32 v43, v43, v45, vcc_lo
	v_and_b32_e32 v45, 0x80000000, v47
	v_lshlrev_b32_e32 v43, 20, v43
	s_delay_alu instid0(VALU_DEP_1)
	v_or3_b32 v43, v45, v44, v43
.LBB6_9376:                             ;   in Loop: Header=BB6_9048 Depth=2
	s_or_b32 exec_lo, exec_lo, s25
	s_delay_alu instid0(VALU_DEP_1) | instskip(SKIP_1) | instid1(VALU_DEP_1)
	v_dual_max_f32 v43, v43, v43 :: v_dual_max_f32 v42, v42, v42
	s_mov_b32 s7, 0
	v_max_f32_e32 v42, v42, v43
	s_branch .LBB6_9378
.LBB6_9377:                             ;   in Loop: Header=BB6_9048 Depth=2
	s_mov_b32 s7, -1
                                        ; implicit-def: $vgpr42
.LBB6_9378:                             ;   in Loop: Header=BB6_9048 Depth=2
	s_delay_alu instid0(SALU_CYCLE_1)
	s_and_b32 vcc_lo, exec_lo, s7
	s_cbranch_vccz .LBB6_9388
; %bb.9379:                             ;   in Loop: Header=BB6_9048 Depth=2
	s_mov_b32 s7, 0
	s_mov_b32 s26, exec_lo
                                        ; implicit-def: $sgpr25
	v_cmpx_lt_i16_e32 0x7f, v41
	s_xor_b32 s26, exec_lo, s26
	s_cbranch_execnz .LBB6_10158
; %bb.9380:                             ;   in Loop: Header=BB6_9048 Depth=2
	s_or_saveexec_b32 s26, s26
	v_mov_b32_e32 v42, s25
	s_xor_b32 exec_lo, exec_lo, s26
	s_cbranch_execnz .LBB6_10161
.LBB6_9381:                             ;   in Loop: Header=BB6_9048 Depth=2
	s_or_b32 exec_lo, exec_lo, s26
	s_and_saveexec_b32 s25, s7
	s_cbranch_execz .LBB6_9383
.LBB6_9382:                             ;   in Loop: Header=BB6_9048 Depth=2
	v_lshrrev_b16 v44, 3, v40
	s_delay_alu instid0(VALU_DEP_1) | instskip(NEXT) | instid1(VALU_DEP_1)
	v_and_b32_e32 v44, 15, v44
	v_cmp_eq_u32_e32 vcc_lo, 0, v44
	v_and_b32_e32 v41, 7, v40
	s_delay_alu instid0(VALU_DEP_1) | instskip(NEXT) | instid1(VALU_DEP_1)
	v_clz_i32_u32_e32 v42, v41
	v_min_u32_e32 v42, 32, v42
	s_delay_alu instid0(VALU_DEP_1) | instskip(SKIP_1) | instid1(VALU_DEP_1)
	v_subrev_nc_u32_e32 v43, 28, v42
	v_sub_nc_u32_e32 v42, 29, v42
	v_dual_cndmask_b32 v42, v44, v42 :: v_dual_lshlrev_b32 v43, v43, v40
	v_lshlrev_b32_e32 v40, 24, v40
	s_delay_alu instid0(VALU_DEP_2) | instskip(NEXT) | instid1(VALU_DEP_3)
	v_and_b32_e32 v43, 7, v43
	v_lshl_add_u32 v42, v42, 23, 0x3b800000
	s_delay_alu instid0(VALU_DEP_2) | instskip(NEXT) | instid1(VALU_DEP_1)
	v_dual_cndmask_b32 v41, v41, v43 :: v_dual_and_b32 v40, 0x80000000, v40
	v_lshlrev_b32_e32 v41, 20, v41
	s_delay_alu instid0(VALU_DEP_1)
	v_or3_b32 v42, v40, v42, v41
.LBB6_9383:                             ;   in Loop: Header=BB6_9048 Depth=2
	s_or_b32 exec_lo, exec_lo, s25
	s_waitcnt vmcnt(20) lgkmcnt(20)
	v_and_b32_e32 v41, 0xff, v151
	s_mov_b32 s7, 0
	s_mov_b32 s26, exec_lo
                                        ; implicit-def: $sgpr25
	s_delay_alu instid0(VALU_DEP_1)
	v_cmpx_lt_i16_e32 0x7f, v41
	s_xor_b32 s26, exec_lo, s26
	s_cbranch_execnz .LBB6_10162
; %bb.9384:                             ;   in Loop: Header=BB6_9048 Depth=2
	s_or_saveexec_b32 s26, s26
	v_mov_b32_e32 v40, s25
	s_xor_b32 exec_lo, exec_lo, s26
	s_cbranch_execnz .LBB6_10165
.LBB6_9385:                             ;   in Loop: Header=BB6_9048 Depth=2
	s_or_b32 exec_lo, exec_lo, s26
	s_and_saveexec_b32 s25, s7
	s_cbranch_execz .LBB6_9387
.LBB6_9386:                             ;   in Loop: Header=BB6_9048 Depth=2
	v_lshrrev_b16 v44, 3, v151
	s_delay_alu instid0(VALU_DEP_1) | instskip(NEXT) | instid1(VALU_DEP_1)
	v_and_b32_e32 v44, 15, v44
	v_cmp_eq_u32_e32 vcc_lo, 0, v44
	v_and_b32_e32 v40, 7, v151
	s_delay_alu instid0(VALU_DEP_1) | instskip(NEXT) | instid1(VALU_DEP_1)
	v_clz_i32_u32_e32 v41, v40
	v_min_u32_e32 v41, 32, v41
	s_delay_alu instid0(VALU_DEP_1) | instskip(SKIP_1) | instid1(VALU_DEP_2)
	v_subrev_nc_u32_e32 v43, 28, v41
	v_sub_nc_u32_e32 v41, 29, v41
	v_lshlrev_b32_e32 v43, v43, v151
	s_delay_alu instid0(VALU_DEP_2) | instskip(SKIP_1) | instid1(VALU_DEP_3)
	v_cndmask_b32_e32 v41, v44, v41, vcc_lo
	v_lshlrev_b32_e32 v151, 24, v151
	v_and_b32_e32 v43, 7, v43
	s_delay_alu instid0(VALU_DEP_3) | instskip(NEXT) | instid1(VALU_DEP_3)
	v_lshl_add_u32 v41, v41, 23, 0x3b800000
	v_and_b32_e32 v151, 0x80000000, v151
	s_delay_alu instid0(VALU_DEP_3) | instskip(NEXT) | instid1(VALU_DEP_1)
	v_cndmask_b32_e32 v40, v40, v43, vcc_lo
	v_lshlrev_b32_e32 v40, 20, v40
	s_delay_alu instid0(VALU_DEP_1)
	v_or3_b32 v40, v151, v41, v40
.LBB6_9387:                             ;   in Loop: Header=BB6_9048 Depth=2
	s_or_b32 exec_lo, exec_lo, s25
	s_delay_alu instid0(VALU_DEP_1) | instskip(NEXT) | instid1(VALU_DEP_1)
	v_dual_max_f32 v151, v40, v40 :: v_dual_max_f32 v40, v42, v42
	v_min_f32_e32 v42, v40, v151
.LBB6_9388:                             ;   in Loop: Header=BB6_9048 Depth=2
	s_waitcnt vmcnt(20) lgkmcnt(20)
	s_delay_alu instid0(VALU_DEP_1) | instskip(NEXT) | instid1(VALU_DEP_1)
	v_and_b32_e32 v151, 0x7f800000, v42
	v_cmp_ne_u32_e32 vcc_lo, 0x7f800000, v151
	v_mov_b32_e32 v151, 0x80
	s_and_saveexec_b32 s25, vcc_lo
	s_cbranch_execz .LBB6_9396
; %bb.9389:                             ;   in Loop: Header=BB6_9048 Depth=2
	v_mov_b32_e32 v151, 0
	s_mov_b32 s26, exec_lo
	v_cmpx_ne_u32_e32 0, v42
	s_cbranch_execz .LBB6_9395
; %bb.9390:                             ;   in Loop: Header=BB6_9048 Depth=2
	v_bfe_u32 v151, v42, 23, 8
	s_delay_alu instid0(VALU_DEP_1) | instskip(SKIP_1) | instid1(VALU_DEP_2)
	v_sub_nc_u32_e32 v41, 0x78, v151
	v_cmp_gt_u32_e32 vcc_lo, 0x79, v151
	v_dual_cndmask_b32 v41, 0, v41 :: v_dual_and_b32 v40, 0x7fffff, v42
	s_delay_alu instid0(VALU_DEP_1) | instskip(SKIP_2) | instid1(VALU_DEP_4)
	v_or_b32_e32 v43, 0x800000, v40
	v_cmp_eq_u32_e32 vcc_lo, 0, v151
	v_add_nc_u32_e32 v151, 0xffffff89, v151
	v_cndmask_b32_e64 v41, v41, 0x77, vcc_lo
	s_delay_alu instid0(VALU_DEP_4) | instskip(NEXT) | instid1(VALU_DEP_3)
	v_cndmask_b32_e32 v40, v43, v40, vcc_lo
	v_cndmask_b32_e64 v151, v151, 0xffffff8a, vcc_lo
	s_delay_alu instid0(VALU_DEP_3) | instskip(NEXT) | instid1(VALU_DEP_3)
	v_lshl_add_u32 v43, 0x100000, v41, -1
	v_lshrrev_b32_e32 v44, v41, v40
	v_lshlrev_b32_e64 v46, v41, 0x80000
	s_delay_alu instid0(VALU_DEP_4) | instskip(NEXT) | instid1(VALU_DEP_4)
	v_add_nc_u32_e32 v41, v41, v151
	v_and_b32_e32 v40, v43, v40
	s_delay_alu instid0(VALU_DEP_4) | instskip(NEXT) | instid1(VALU_DEP_2)
	v_bfe_u32 v45, v44, 20, 1
	v_cmp_eq_u32_e64 s7, v40, v46
	s_delay_alu instid0(VALU_DEP_2) | instskip(NEXT) | instid1(VALU_DEP_1)
	v_add_nc_u32_e32 v43, -1, v45
	v_cndmask_b32_e64 v40, 0, v43, s7
	v_lshrrev_b32_e32 v43, 23, v44
	s_mov_b32 s7, exec_lo
	s_delay_alu instid0(VALU_DEP_2) | instskip(NEXT) | instid1(VALU_DEP_2)
	v_add_nc_u32_e32 v40, v40, v44
	v_xor_b32_e32 v43, 1, v43
	s_delay_alu instid0(VALU_DEP_2) | instskip(NEXT) | instid1(VALU_DEP_1)
	v_and_b32_e32 v151, 0xfffff, v40
	v_add_nc_u32_e32 v40, v151, v44
                                        ; implicit-def: $vgpr151
	s_delay_alu instid0(VALU_DEP_3)
	v_cmpx_ne_u32_e64 v41, v43
	s_xor_b32 s7, exec_lo, s7
; %bb.9391:                             ;   in Loop: Header=BB6_9048 Depth=2
	s_delay_alu instid0(VALU_DEP_2) | instskip(SKIP_2) | instid1(VALU_DEP_2)
	v_cmp_lt_u32_e32 vcc_lo, 0xffffff, v40
	v_sub_nc_u32_e32 v151, v41, v43
	v_cndmask_b32_e64 v41, 0, 1, vcc_lo
	v_add_co_ci_u32_e32 v151, vcc_lo, 0, v151, vcc_lo
	s_delay_alu instid0(VALU_DEP_2)
	v_lshrrev_b32_e32 v40, v41, v40
; %bb.9392:                             ;   in Loop: Header=BB6_9048 Depth=2
	s_and_not1_saveexec_b32 s7, s7
; %bb.9393:                             ;   in Loop: Header=BB6_9048 Depth=2
	s_delay_alu instid0(VALU_DEP_1)
	v_bfe_u32 v151, v40, 23, 1
; %bb.9394:                             ;   in Loop: Header=BB6_9048 Depth=2
	s_or_b32 exec_lo, exec_lo, s7
	v_lshrrev_b32_e32 v40, 20, v40
	s_delay_alu instid0(VALU_DEP_2) | instskip(SKIP_2) | instid1(VALU_DEP_2)
	v_cmp_gt_i32_e32 vcc_lo, 16, v151
	v_lshrrev_b32_e32 v41, 24, v42
	v_min_i32_e32 v42, 15, v151
	v_dual_cndmask_b32 v40, 7, v40 :: v_dual_and_b32 v41, 0x80, v41
	s_delay_alu instid0(VALU_DEP_1) | instskip(SKIP_1) | instid1(VALU_DEP_2)
	v_or_b32_e32 v151, v151, v40
	v_and_b32_e32 v43, 7, v40
	v_cmp_ne_u32_e32 vcc_lo, 0, v151
	v_lshlrev_b32_e32 v42, 3, v42
	s_delay_alu instid0(VALU_DEP_1) | instskip(NEXT) | instid1(VALU_DEP_1)
	v_or3_b32 v40, v42, v41, v43
	v_cndmask_b32_e32 v151, 0, v40, vcc_lo
.LBB6_9395:                             ;   in Loop: Header=BB6_9048 Depth=2
	s_or_b32 exec_lo, exec_lo, s26
.LBB6_9396:                             ;   in Loop: Header=BB6_9048 Depth=2
	s_delay_alu instid0(SALU_CYCLE_1) | instskip(SKIP_2) | instid1(VALU_DEP_1)
	s_or_b32 exec_lo, exec_lo, s25
	v_and_b32_e32 v40, 0xff, v183
	s_and_not1_b32 vcc_lo, exec_lo, s23
	v_cmp_lt_i16_e64 s7, 0x7f, v40
	s_cbranch_vccnz .LBB6_9406
; %bb.9397:                             ;   in Loop: Header=BB6_9048 Depth=2
	s_mov_b32 s25, 0
                                        ; implicit-def: $sgpr26
	s_delay_alu instid0(VALU_DEP_1) | instskip(NEXT) | instid1(SALU_CYCLE_1)
	s_and_saveexec_b32 s27, s7
	s_xor_b32 s7, exec_lo, s27
	s_cbranch_execnz .LBB6_10166
; %bb.9398:                             ;   in Loop: Header=BB6_9048 Depth=2
	s_or_saveexec_b32 s7, s7
	v_mov_b32_e32 v41, s26
	s_xor_b32 exec_lo, exec_lo, s7
	s_cbranch_execnz .LBB6_10169
.LBB6_9399:                             ;   in Loop: Header=BB6_9048 Depth=2
	s_or_b32 exec_lo, exec_lo, s7
	s_and_saveexec_b32 s7, s25
	s_cbranch_execz .LBB6_9401
.LBB6_9400:                             ;   in Loop: Header=BB6_9048 Depth=2
	v_lshrrev_b16 v44, 3, v183
	v_lshlrev_b32_e32 v45, 24, v183
	s_delay_alu instid0(VALU_DEP_2) | instskip(NEXT) | instid1(VALU_DEP_1)
	v_and_b32_e32 v44, 15, v44
	v_cmp_eq_u32_e32 vcc_lo, 0, v44
	v_and_b32_e32 v41, 7, v183
	s_delay_alu instid0(VALU_DEP_1) | instskip(NEXT) | instid1(VALU_DEP_1)
	v_clz_i32_u32_e32 v42, v41
	v_min_u32_e32 v42, 32, v42
	s_delay_alu instid0(VALU_DEP_1) | instskip(SKIP_1) | instid1(VALU_DEP_1)
	v_subrev_nc_u32_e32 v43, 28, v42
	v_sub_nc_u32_e32 v42, 29, v42
	v_dual_cndmask_b32 v42, v44, v42 :: v_dual_lshlrev_b32 v43, v43, v183
	s_delay_alu instid0(VALU_DEP_1) | instskip(NEXT) | instid1(VALU_DEP_2)
	v_and_b32_e32 v43, 7, v43
	v_lshl_add_u32 v42, v42, 23, 0x3b800000
	s_delay_alu instid0(VALU_DEP_2) | instskip(SKIP_1) | instid1(VALU_DEP_2)
	v_cndmask_b32_e32 v41, v41, v43, vcc_lo
	v_and_b32_e32 v43, 0x80000000, v45
	v_lshlrev_b32_e32 v41, 20, v41
	s_delay_alu instid0(VALU_DEP_1)
	v_or3_b32 v41, v43, v42, v41
.LBB6_9401:                             ;   in Loop: Header=BB6_9048 Depth=2
	s_or_b32 exec_lo, exec_lo, s7
	s_waitcnt vmcnt(19) lgkmcnt(19)
	v_and_b32_e32 v43, 0xff, v162
	s_mov_b32 s7, 0
	s_mov_b32 s26, exec_lo
                                        ; implicit-def: $sgpr25
	s_delay_alu instid0(VALU_DEP_1)
	v_cmpx_lt_i16_e32 0x7f, v43
	s_xor_b32 s26, exec_lo, s26
	s_cbranch_execnz .LBB6_10170
; %bb.9402:                             ;   in Loop: Header=BB6_9048 Depth=2
	s_or_saveexec_b32 s26, s26
	v_mov_b32_e32 v42, s25
	s_xor_b32 exec_lo, exec_lo, s26
	s_cbranch_execnz .LBB6_10173
.LBB6_9403:                             ;   in Loop: Header=BB6_9048 Depth=2
	s_or_b32 exec_lo, exec_lo, s26
	s_and_saveexec_b32 s25, s7
	s_cbranch_execz .LBB6_9405
.LBB6_9404:                             ;   in Loop: Header=BB6_9048 Depth=2
	v_lshrrev_b16 v45, 3, v162
	v_lshlrev_b32_e32 v46, 24, v162
	s_delay_alu instid0(VALU_DEP_2) | instskip(NEXT) | instid1(VALU_DEP_1)
	v_and_b32_e32 v45, 15, v45
	v_cmp_eq_u32_e32 vcc_lo, 0, v45
	v_and_b32_e32 v42, 7, v162
	s_delay_alu instid0(VALU_DEP_1) | instskip(NEXT) | instid1(VALU_DEP_1)
	v_clz_i32_u32_e32 v43, v42
	v_min_u32_e32 v43, 32, v43
	s_delay_alu instid0(VALU_DEP_1) | instskip(SKIP_1) | instid1(VALU_DEP_1)
	v_subrev_nc_u32_e32 v44, 28, v43
	v_sub_nc_u32_e32 v43, 29, v43
	v_dual_cndmask_b32 v43, v45, v43 :: v_dual_lshlrev_b32 v44, v44, v162
	s_delay_alu instid0(VALU_DEP_1) | instskip(NEXT) | instid1(VALU_DEP_2)
	v_and_b32_e32 v44, 7, v44
	v_lshl_add_u32 v43, v43, 23, 0x3b800000
	s_delay_alu instid0(VALU_DEP_2) | instskip(SKIP_1) | instid1(VALU_DEP_2)
	v_cndmask_b32_e32 v42, v42, v44, vcc_lo
	v_and_b32_e32 v44, 0x80000000, v46
	v_lshlrev_b32_e32 v42, 20, v42
	s_delay_alu instid0(VALU_DEP_1)
	v_or3_b32 v42, v44, v43, v42
.LBB6_9405:                             ;   in Loop: Header=BB6_9048 Depth=2
	s_or_b32 exec_lo, exec_lo, s25
	s_delay_alu instid0(VALU_DEP_1) | instskip(SKIP_1) | instid1(VALU_DEP_1)
	v_dual_max_f32 v42, v42, v42 :: v_dual_max_f32 v41, v41, v41
	s_mov_b32 s7, 0
	v_max_f32_e32 v41, v41, v42
	s_branch .LBB6_9407
.LBB6_9406:                             ;   in Loop: Header=BB6_9048 Depth=2
	s_mov_b32 s7, -1
                                        ; implicit-def: $vgpr41
.LBB6_9407:                             ;   in Loop: Header=BB6_9048 Depth=2
	s_delay_alu instid0(SALU_CYCLE_1)
	s_and_b32 vcc_lo, exec_lo, s7
	s_cbranch_vccz .LBB6_9417
; %bb.9408:                             ;   in Loop: Header=BB6_9048 Depth=2
	s_mov_b32 s7, 0
	s_mov_b32 s26, exec_lo
                                        ; implicit-def: $sgpr25
	v_cmpx_lt_i16_e32 0x7f, v40
	s_xor_b32 s26, exec_lo, s26
	s_cbranch_execnz .LBB6_10174
; %bb.9409:                             ;   in Loop: Header=BB6_9048 Depth=2
	s_or_saveexec_b32 s26, s26
	v_mov_b32_e32 v41, s25
	s_xor_b32 exec_lo, exec_lo, s26
	s_cbranch_execnz .LBB6_10177
.LBB6_9410:                             ;   in Loop: Header=BB6_9048 Depth=2
	s_or_b32 exec_lo, exec_lo, s26
	s_and_saveexec_b32 s25, s7
	s_cbranch_execz .LBB6_9412
.LBB6_9411:                             ;   in Loop: Header=BB6_9048 Depth=2
	v_lshrrev_b16 v43, 3, v183
	s_delay_alu instid0(VALU_DEP_1) | instskip(NEXT) | instid1(VALU_DEP_1)
	v_and_b32_e32 v43, 15, v43
	v_cmp_eq_u32_e32 vcc_lo, 0, v43
	v_and_b32_e32 v40, 7, v183
	s_delay_alu instid0(VALU_DEP_1) | instskip(NEXT) | instid1(VALU_DEP_1)
	v_clz_i32_u32_e32 v41, v40
	v_min_u32_e32 v41, 32, v41
	s_delay_alu instid0(VALU_DEP_1) | instskip(SKIP_1) | instid1(VALU_DEP_1)
	v_subrev_nc_u32_e32 v42, 28, v41
	v_sub_nc_u32_e32 v41, 29, v41
	v_dual_cndmask_b32 v41, v43, v41 :: v_dual_lshlrev_b32 v42, v42, v183
	v_lshlrev_b32_e32 v183, 24, v183
	s_delay_alu instid0(VALU_DEP_2) | instskip(NEXT) | instid1(VALU_DEP_3)
	v_and_b32_e32 v42, 7, v42
	v_lshl_add_u32 v41, v41, 23, 0x3b800000
	s_delay_alu instid0(VALU_DEP_2) | instskip(NEXT) | instid1(VALU_DEP_1)
	v_dual_cndmask_b32 v40, v40, v42 :: v_dual_and_b32 v183, 0x80000000, v183
	v_lshlrev_b32_e32 v40, 20, v40
	s_delay_alu instid0(VALU_DEP_1)
	v_or3_b32 v41, v183, v41, v40
.LBB6_9412:                             ;   in Loop: Header=BB6_9048 Depth=2
	s_or_b32 exec_lo, exec_lo, s25
	s_waitcnt vmcnt(19) lgkmcnt(19)
	v_and_b32_e32 v40, 0xff, v162
	s_mov_b32 s7, 0
	s_mov_b32 s26, exec_lo
                                        ; implicit-def: $sgpr25
	s_delay_alu instid0(VALU_DEP_1)
	v_cmpx_lt_i16_e32 0x7f, v40
	s_xor_b32 s26, exec_lo, s26
	s_cbranch_execnz .LBB6_10178
; %bb.9413:                             ;   in Loop: Header=BB6_9048 Depth=2
	s_or_saveexec_b32 s26, s26
	v_mov_b32_e32 v183, s25
	s_xor_b32 exec_lo, exec_lo, s26
	s_cbranch_execnz .LBB6_10181
.LBB6_9414:                             ;   in Loop: Header=BB6_9048 Depth=2
	s_or_b32 exec_lo, exec_lo, s26
	s_and_saveexec_b32 s25, s7
	s_cbranch_execz .LBB6_9416
.LBB6_9415:                             ;   in Loop: Header=BB6_9048 Depth=2
	v_lshrrev_b16 v43, 3, v162
	s_delay_alu instid0(VALU_DEP_1) | instskip(NEXT) | instid1(VALU_DEP_1)
	v_and_b32_e32 v43, 15, v43
	v_cmp_eq_u32_e32 vcc_lo, 0, v43
	v_and_b32_e32 v183, 7, v162
	s_delay_alu instid0(VALU_DEP_1) | instskip(NEXT) | instid1(VALU_DEP_1)
	v_clz_i32_u32_e32 v40, v183
	v_min_u32_e32 v40, 32, v40
	s_delay_alu instid0(VALU_DEP_1) | instskip(SKIP_1) | instid1(VALU_DEP_2)
	v_subrev_nc_u32_e32 v42, 28, v40
	v_sub_nc_u32_e32 v40, 29, v40
	v_lshlrev_b32_e32 v42, v42, v162
	s_delay_alu instid0(VALU_DEP_2) | instskip(SKIP_1) | instid1(VALU_DEP_3)
	v_cndmask_b32_e32 v40, v43, v40, vcc_lo
	v_lshlrev_b32_e32 v162, 24, v162
	v_and_b32_e32 v42, 7, v42
	s_delay_alu instid0(VALU_DEP_3) | instskip(NEXT) | instid1(VALU_DEP_3)
	v_lshl_add_u32 v40, v40, 23, 0x3b800000
	v_and_b32_e32 v162, 0x80000000, v162
	s_delay_alu instid0(VALU_DEP_3) | instskip(NEXT) | instid1(VALU_DEP_1)
	v_cndmask_b32_e32 v183, v183, v42, vcc_lo
	v_lshlrev_b32_e32 v183, 20, v183
	s_delay_alu instid0(VALU_DEP_1)
	v_or3_b32 v183, v162, v40, v183
.LBB6_9416:                             ;   in Loop: Header=BB6_9048 Depth=2
	s_or_b32 exec_lo, exec_lo, s25
	s_delay_alu instid0(VALU_DEP_1) | instskip(NEXT) | instid1(VALU_DEP_1)
	v_dual_max_f32 v162, v183, v183 :: v_dual_max_f32 v183, v41, v41
	v_min_f32_e32 v41, v183, v162
.LBB6_9417:                             ;   in Loop: Header=BB6_9048 Depth=2
	s_waitcnt vmcnt(19) lgkmcnt(19)
	s_delay_alu instid0(VALU_DEP_1) | instskip(NEXT) | instid1(VALU_DEP_1)
	v_and_b32_e32 v162, 0x7f800000, v41
	v_cmp_ne_u32_e32 vcc_lo, 0x7f800000, v162
	v_mov_b32_e32 v162, 0x80
	s_and_saveexec_b32 s25, vcc_lo
	s_cbranch_execz .LBB6_9425
; %bb.9418:                             ;   in Loop: Header=BB6_9048 Depth=2
	v_mov_b32_e32 v162, 0
	s_mov_b32 s26, exec_lo
	v_cmpx_ne_u32_e32 0, v41
	s_cbranch_execz .LBB6_9424
; %bb.9419:                             ;   in Loop: Header=BB6_9048 Depth=2
	v_bfe_u32 v162, v41, 23, 8
	s_delay_alu instid0(VALU_DEP_1) | instskip(SKIP_1) | instid1(VALU_DEP_2)
	v_sub_nc_u32_e32 v40, 0x78, v162
	v_cmp_gt_u32_e32 vcc_lo, 0x79, v162
	v_dual_cndmask_b32 v40, 0, v40 :: v_dual_and_b32 v183, 0x7fffff, v41
	s_delay_alu instid0(VALU_DEP_1) | instskip(SKIP_2) | instid1(VALU_DEP_4)
	v_or_b32_e32 v42, 0x800000, v183
	v_cmp_eq_u32_e32 vcc_lo, 0, v162
	v_add_nc_u32_e32 v162, 0xffffff89, v162
	v_cndmask_b32_e64 v40, v40, 0x77, vcc_lo
	s_delay_alu instid0(VALU_DEP_4) | instskip(NEXT) | instid1(VALU_DEP_3)
	v_cndmask_b32_e32 v183, v42, v183, vcc_lo
	v_cndmask_b32_e64 v162, v162, 0xffffff8a, vcc_lo
	s_delay_alu instid0(VALU_DEP_3) | instskip(NEXT) | instid1(VALU_DEP_3)
	v_lshl_add_u32 v42, 0x100000, v40, -1
	v_lshrrev_b32_e32 v43, v40, v183
	v_lshlrev_b32_e64 v45, v40, 0x80000
	s_delay_alu instid0(VALU_DEP_4) | instskip(NEXT) | instid1(VALU_DEP_4)
	v_add_nc_u32_e32 v40, v40, v162
	v_and_b32_e32 v183, v42, v183
	s_delay_alu instid0(VALU_DEP_4) | instskip(NEXT) | instid1(VALU_DEP_2)
	v_bfe_u32 v44, v43, 20, 1
	v_cmp_eq_u32_e64 s7, v183, v45
	s_delay_alu instid0(VALU_DEP_2) | instskip(NEXT) | instid1(VALU_DEP_1)
	v_add_nc_u32_e32 v42, -1, v44
	v_cndmask_b32_e64 v183, 0, v42, s7
	v_lshrrev_b32_e32 v42, 23, v43
	s_mov_b32 s7, exec_lo
	s_delay_alu instid0(VALU_DEP_2) | instskip(NEXT) | instid1(VALU_DEP_2)
	v_add_nc_u32_e32 v183, v183, v43
	v_xor_b32_e32 v42, 1, v42
	s_delay_alu instid0(VALU_DEP_2) | instskip(NEXT) | instid1(VALU_DEP_1)
	v_and_b32_e32 v162, 0xfffff, v183
	v_add_nc_u32_e32 v183, v162, v43
                                        ; implicit-def: $vgpr162
	s_delay_alu instid0(VALU_DEP_3)
	v_cmpx_ne_u32_e64 v40, v42
	s_xor_b32 s7, exec_lo, s7
; %bb.9420:                             ;   in Loop: Header=BB6_9048 Depth=2
	s_delay_alu instid0(VALU_DEP_2) | instskip(SKIP_2) | instid1(VALU_DEP_2)
	v_cmp_lt_u32_e32 vcc_lo, 0xffffff, v183
	v_sub_nc_u32_e32 v162, v40, v42
	v_cndmask_b32_e64 v40, 0, 1, vcc_lo
	v_add_co_ci_u32_e32 v162, vcc_lo, 0, v162, vcc_lo
	s_delay_alu instid0(VALU_DEP_2)
	v_lshrrev_b32_e32 v183, v40, v183
; %bb.9421:                             ;   in Loop: Header=BB6_9048 Depth=2
	s_and_not1_saveexec_b32 s7, s7
; %bb.9422:                             ;   in Loop: Header=BB6_9048 Depth=2
	s_delay_alu instid0(VALU_DEP_1)
	v_bfe_u32 v162, v183, 23, 1
; %bb.9423:                             ;   in Loop: Header=BB6_9048 Depth=2
	s_or_b32 exec_lo, exec_lo, s7
	v_lshrrev_b32_e32 v183, 20, v183
	s_delay_alu instid0(VALU_DEP_2) | instskip(SKIP_2) | instid1(VALU_DEP_2)
	v_cmp_gt_i32_e32 vcc_lo, 16, v162
	v_lshrrev_b32_e32 v40, 24, v41
	v_min_i32_e32 v41, 15, v162
	v_dual_cndmask_b32 v183, 7, v183 :: v_dual_and_b32 v40, 0x80, v40
	s_delay_alu instid0(VALU_DEP_1) | instskip(SKIP_1) | instid1(VALU_DEP_2)
	v_or_b32_e32 v162, v162, v183
	v_and_b32_e32 v42, 7, v183
	v_cmp_ne_u32_e32 vcc_lo, 0, v162
	v_lshlrev_b32_e32 v41, 3, v41
	s_delay_alu instid0(VALU_DEP_1) | instskip(NEXT) | instid1(VALU_DEP_1)
	v_or3_b32 v183, v41, v40, v42
	v_cndmask_b32_e32 v162, 0, v183, vcc_lo
.LBB6_9424:                             ;   in Loop: Header=BB6_9048 Depth=2
	s_or_b32 exec_lo, exec_lo, s26
.LBB6_9425:                             ;   in Loop: Header=BB6_9048 Depth=2
	s_delay_alu instid0(SALU_CYCLE_1) | instskip(SKIP_2) | instid1(VALU_DEP_1)
	s_or_b32 exec_lo, exec_lo, s25
	v_and_b32_e32 v183, 0xff, v182
	s_and_not1_b32 vcc_lo, exec_lo, s23
	v_cmp_lt_i16_e64 s7, 0x7f, v183
	s_cbranch_vccnz .LBB6_9435
; %bb.9426:                             ;   in Loop: Header=BB6_9048 Depth=2
	s_mov_b32 s25, 0
                                        ; implicit-def: $sgpr26
	s_delay_alu instid0(VALU_DEP_1) | instskip(NEXT) | instid1(SALU_CYCLE_1)
	s_and_saveexec_b32 s27, s7
	s_xor_b32 s7, exec_lo, s27
	s_cbranch_execnz .LBB6_10182
; %bb.9427:                             ;   in Loop: Header=BB6_9048 Depth=2
	s_or_saveexec_b32 s7, s7
	v_mov_b32_e32 v40, s26
	s_xor_b32 exec_lo, exec_lo, s7
	s_cbranch_execnz .LBB6_10185
.LBB6_9428:                             ;   in Loop: Header=BB6_9048 Depth=2
	s_or_b32 exec_lo, exec_lo, s7
	s_and_saveexec_b32 s7, s25
	s_cbranch_execz .LBB6_9430
.LBB6_9429:                             ;   in Loop: Header=BB6_9048 Depth=2
	v_lshrrev_b16 v43, 3, v182
	v_lshlrev_b32_e32 v44, 24, v182
	s_delay_alu instid0(VALU_DEP_2) | instskip(NEXT) | instid1(VALU_DEP_1)
	v_and_b32_e32 v43, 15, v43
	v_cmp_eq_u32_e32 vcc_lo, 0, v43
	v_and_b32_e32 v40, 7, v182
	s_delay_alu instid0(VALU_DEP_1) | instskip(NEXT) | instid1(VALU_DEP_1)
	v_clz_i32_u32_e32 v41, v40
	v_min_u32_e32 v41, 32, v41
	s_delay_alu instid0(VALU_DEP_1) | instskip(SKIP_1) | instid1(VALU_DEP_1)
	v_subrev_nc_u32_e32 v42, 28, v41
	v_sub_nc_u32_e32 v41, 29, v41
	v_dual_cndmask_b32 v41, v43, v41 :: v_dual_lshlrev_b32 v42, v42, v182
	s_delay_alu instid0(VALU_DEP_1) | instskip(NEXT) | instid1(VALU_DEP_2)
	v_and_b32_e32 v42, 7, v42
	v_lshl_add_u32 v41, v41, 23, 0x3b800000
	s_delay_alu instid0(VALU_DEP_2) | instskip(SKIP_1) | instid1(VALU_DEP_2)
	v_cndmask_b32_e32 v40, v40, v42, vcc_lo
	v_and_b32_e32 v42, 0x80000000, v44
	v_lshlrev_b32_e32 v40, 20, v40
	s_delay_alu instid0(VALU_DEP_1)
	v_or3_b32 v40, v42, v41, v40
.LBB6_9430:                             ;   in Loop: Header=BB6_9048 Depth=2
	s_or_b32 exec_lo, exec_lo, s7
	s_waitcnt vmcnt(18) lgkmcnt(18)
	v_and_b32_e32 v42, 0xff, v165
	s_mov_b32 s7, 0
	s_mov_b32 s26, exec_lo
                                        ; implicit-def: $sgpr25
	s_delay_alu instid0(VALU_DEP_1)
	v_cmpx_lt_i16_e32 0x7f, v42
	s_xor_b32 s26, exec_lo, s26
	s_cbranch_execnz .LBB6_10186
; %bb.9431:                             ;   in Loop: Header=BB6_9048 Depth=2
	s_or_saveexec_b32 s26, s26
	v_mov_b32_e32 v41, s25
	s_xor_b32 exec_lo, exec_lo, s26
	s_cbranch_execnz .LBB6_10189
.LBB6_9432:                             ;   in Loop: Header=BB6_9048 Depth=2
	s_or_b32 exec_lo, exec_lo, s26
	s_and_saveexec_b32 s25, s7
	s_cbranch_execz .LBB6_9434
.LBB6_9433:                             ;   in Loop: Header=BB6_9048 Depth=2
	v_lshrrev_b16 v44, 3, v165
	v_lshlrev_b32_e32 v45, 24, v165
	s_delay_alu instid0(VALU_DEP_2) | instskip(NEXT) | instid1(VALU_DEP_1)
	v_and_b32_e32 v44, 15, v44
	v_cmp_eq_u32_e32 vcc_lo, 0, v44
	v_and_b32_e32 v41, 7, v165
	s_delay_alu instid0(VALU_DEP_1) | instskip(NEXT) | instid1(VALU_DEP_1)
	v_clz_i32_u32_e32 v42, v41
	v_min_u32_e32 v42, 32, v42
	s_delay_alu instid0(VALU_DEP_1) | instskip(SKIP_1) | instid1(VALU_DEP_1)
	v_subrev_nc_u32_e32 v43, 28, v42
	v_sub_nc_u32_e32 v42, 29, v42
	v_dual_cndmask_b32 v42, v44, v42 :: v_dual_lshlrev_b32 v43, v43, v165
	s_delay_alu instid0(VALU_DEP_1) | instskip(NEXT) | instid1(VALU_DEP_2)
	v_and_b32_e32 v43, 7, v43
	v_lshl_add_u32 v42, v42, 23, 0x3b800000
	s_delay_alu instid0(VALU_DEP_2) | instskip(SKIP_1) | instid1(VALU_DEP_2)
	v_cndmask_b32_e32 v41, v41, v43, vcc_lo
	v_and_b32_e32 v43, 0x80000000, v45
	v_lshlrev_b32_e32 v41, 20, v41
	s_delay_alu instid0(VALU_DEP_1)
	v_or3_b32 v41, v43, v42, v41
.LBB6_9434:                             ;   in Loop: Header=BB6_9048 Depth=2
	s_or_b32 exec_lo, exec_lo, s25
	s_delay_alu instid0(VALU_DEP_1) | instskip(SKIP_1) | instid1(VALU_DEP_1)
	v_dual_max_f32 v41, v41, v41 :: v_dual_max_f32 v40, v40, v40
	s_mov_b32 s7, 0
	v_max_f32_e32 v40, v40, v41
	s_branch .LBB6_9436
.LBB6_9435:                             ;   in Loop: Header=BB6_9048 Depth=2
	s_mov_b32 s7, -1
                                        ; implicit-def: $vgpr40
.LBB6_9436:                             ;   in Loop: Header=BB6_9048 Depth=2
	s_delay_alu instid0(SALU_CYCLE_1)
	s_and_b32 vcc_lo, exec_lo, s7
	s_cbranch_vccz .LBB6_9446
; %bb.9437:                             ;   in Loop: Header=BB6_9048 Depth=2
	s_mov_b32 s7, 0
	s_mov_b32 s26, exec_lo
                                        ; implicit-def: $sgpr25
	v_cmpx_lt_i16_e64 0x7f, v183
	s_xor_b32 s26, exec_lo, s26
	s_cbranch_execnz .LBB6_10190
; %bb.9438:                             ;   in Loop: Header=BB6_9048 Depth=2
	s_or_saveexec_b32 s26, s26
	v_mov_b32_e32 v40, s25
	s_xor_b32 exec_lo, exec_lo, s26
	s_cbranch_execnz .LBB6_10193
.LBB6_9439:                             ;   in Loop: Header=BB6_9048 Depth=2
	s_or_b32 exec_lo, exec_lo, s26
	s_and_saveexec_b32 s25, s7
	s_cbranch_execz .LBB6_9441
.LBB6_9440:                             ;   in Loop: Header=BB6_9048 Depth=2
	v_lshrrev_b16 v42, 3, v182
	s_delay_alu instid0(VALU_DEP_1) | instskip(NEXT) | instid1(VALU_DEP_1)
	v_and_b32_e32 v42, 15, v42
	v_cmp_eq_u32_e32 vcc_lo, 0, v42
	v_and_b32_e32 v183, 7, v182
	s_delay_alu instid0(VALU_DEP_1) | instskip(NEXT) | instid1(VALU_DEP_1)
	v_clz_i32_u32_e32 v40, v183
	v_min_u32_e32 v40, 32, v40
	s_delay_alu instid0(VALU_DEP_1) | instskip(SKIP_1) | instid1(VALU_DEP_1)
	v_subrev_nc_u32_e32 v41, 28, v40
	v_sub_nc_u32_e32 v40, 29, v40
	v_dual_cndmask_b32 v40, v42, v40 :: v_dual_lshlrev_b32 v41, v41, v182
	v_lshlrev_b32_e32 v182, 24, v182
	s_delay_alu instid0(VALU_DEP_2) | instskip(NEXT) | instid1(VALU_DEP_3)
	v_and_b32_e32 v41, 7, v41
	v_lshl_add_u32 v40, v40, 23, 0x3b800000
	s_delay_alu instid0(VALU_DEP_2) | instskip(NEXT) | instid1(VALU_DEP_1)
	v_dual_cndmask_b32 v183, v183, v41 :: v_dual_and_b32 v182, 0x80000000, v182
	v_lshlrev_b32_e32 v183, 20, v183
	s_delay_alu instid0(VALU_DEP_1)
	v_or3_b32 v40, v182, v40, v183
.LBB6_9441:                             ;   in Loop: Header=BB6_9048 Depth=2
	s_or_b32 exec_lo, exec_lo, s25
	s_waitcnt vmcnt(18) lgkmcnt(18)
	v_and_b32_e32 v183, 0xff, v165
	s_mov_b32 s7, 0
	s_mov_b32 s26, exec_lo
                                        ; implicit-def: $sgpr25
	s_delay_alu instid0(VALU_DEP_1)
	v_cmpx_lt_i16_e64 0x7f, v183
	s_xor_b32 s26, exec_lo, s26
	s_cbranch_execnz .LBB6_10194
; %bb.9442:                             ;   in Loop: Header=BB6_9048 Depth=2
	s_or_saveexec_b32 s26, s26
	v_mov_b32_e32 v182, s25
	s_xor_b32 exec_lo, exec_lo, s26
	s_cbranch_execnz .LBB6_10197
.LBB6_9443:                             ;   in Loop: Header=BB6_9048 Depth=2
	s_or_b32 exec_lo, exec_lo, s26
	s_and_saveexec_b32 s25, s7
	s_cbranch_execz .LBB6_9445
.LBB6_9444:                             ;   in Loop: Header=BB6_9048 Depth=2
	v_lshrrev_b16 v42, 3, v165
	s_delay_alu instid0(VALU_DEP_1) | instskip(NEXT) | instid1(VALU_DEP_1)
	v_and_b32_e32 v42, 15, v42
	v_cmp_eq_u32_e32 vcc_lo, 0, v42
	v_and_b32_e32 v182, 7, v165
	s_delay_alu instid0(VALU_DEP_1) | instskip(NEXT) | instid1(VALU_DEP_1)
	v_clz_i32_u32_e32 v183, v182
	v_min_u32_e32 v183, 32, v183
	s_delay_alu instid0(VALU_DEP_1) | instskip(SKIP_1) | instid1(VALU_DEP_2)
	v_subrev_nc_u32_e32 v41, 28, v183
	v_sub_nc_u32_e32 v183, 29, v183
	v_lshlrev_b32_e32 v41, v41, v165
	s_delay_alu instid0(VALU_DEP_2) | instskip(SKIP_1) | instid1(VALU_DEP_3)
	v_cndmask_b32_e32 v183, v42, v183, vcc_lo
	v_lshlrev_b32_e32 v165, 24, v165
	v_and_b32_e32 v41, 7, v41
	s_delay_alu instid0(VALU_DEP_3) | instskip(NEXT) | instid1(VALU_DEP_3)
	v_lshl_add_u32 v183, v183, 23, 0x3b800000
	v_and_b32_e32 v165, 0x80000000, v165
	s_delay_alu instid0(VALU_DEP_3) | instskip(NEXT) | instid1(VALU_DEP_1)
	v_cndmask_b32_e32 v182, v182, v41, vcc_lo
	v_lshlrev_b32_e32 v182, 20, v182
	s_delay_alu instid0(VALU_DEP_1)
	v_or3_b32 v182, v165, v183, v182
.LBB6_9445:                             ;   in Loop: Header=BB6_9048 Depth=2
	s_or_b32 exec_lo, exec_lo, s25
	s_delay_alu instid0(VALU_DEP_1) | instskip(NEXT) | instid1(VALU_DEP_1)
	v_dual_max_f32 v165, v182, v182 :: v_dual_max_f32 v182, v40, v40
	v_min_f32_e32 v40, v182, v165
.LBB6_9446:                             ;   in Loop: Header=BB6_9048 Depth=2
	s_waitcnt vmcnt(18) lgkmcnt(18)
	s_delay_alu instid0(VALU_DEP_1) | instskip(NEXT) | instid1(VALU_DEP_1)
	v_and_b32_e32 v165, 0x7f800000, v40
	v_cmp_ne_u32_e32 vcc_lo, 0x7f800000, v165
	v_mov_b32_e32 v165, 0x80
	s_and_saveexec_b32 s25, vcc_lo
	s_cbranch_execz .LBB6_9454
; %bb.9447:                             ;   in Loop: Header=BB6_9048 Depth=2
	v_mov_b32_e32 v165, 0
	s_mov_b32 s26, exec_lo
	v_cmpx_ne_u32_e32 0, v40
	s_cbranch_execz .LBB6_9453
; %bb.9448:                             ;   in Loop: Header=BB6_9048 Depth=2
	v_bfe_u32 v165, v40, 23, 8
	s_delay_alu instid0(VALU_DEP_1) | instskip(SKIP_1) | instid1(VALU_DEP_2)
	v_sub_nc_u32_e32 v183, 0x78, v165
	v_cmp_gt_u32_e32 vcc_lo, 0x79, v165
	v_dual_cndmask_b32 v183, 0, v183 :: v_dual_and_b32 v182, 0x7fffff, v40
	s_delay_alu instid0(VALU_DEP_1) | instskip(SKIP_2) | instid1(VALU_DEP_4)
	v_or_b32_e32 v41, 0x800000, v182
	v_cmp_eq_u32_e32 vcc_lo, 0, v165
	v_add_nc_u32_e32 v165, 0xffffff89, v165
	v_cndmask_b32_e64 v183, v183, 0x77, vcc_lo
	s_delay_alu instid0(VALU_DEP_4) | instskip(NEXT) | instid1(VALU_DEP_3)
	v_cndmask_b32_e32 v182, v41, v182, vcc_lo
	v_cndmask_b32_e64 v165, v165, 0xffffff8a, vcc_lo
	s_delay_alu instid0(VALU_DEP_3) | instskip(NEXT) | instid1(VALU_DEP_3)
	v_lshl_add_u32 v41, 0x100000, v183, -1
	v_lshrrev_b32_e32 v42, v183, v182
	v_lshlrev_b32_e64 v44, v183, 0x80000
	s_delay_alu instid0(VALU_DEP_4) | instskip(NEXT) | instid1(VALU_DEP_4)
	v_add_nc_u32_e32 v183, v183, v165
	v_and_b32_e32 v182, v41, v182
	s_delay_alu instid0(VALU_DEP_4) | instskip(NEXT) | instid1(VALU_DEP_2)
	v_bfe_u32 v43, v42, 20, 1
	v_cmp_eq_u32_e64 s7, v182, v44
	s_delay_alu instid0(VALU_DEP_2) | instskip(NEXT) | instid1(VALU_DEP_1)
	v_add_nc_u32_e32 v41, -1, v43
	v_cndmask_b32_e64 v182, 0, v41, s7
	v_lshrrev_b32_e32 v41, 23, v42
	s_mov_b32 s7, exec_lo
	s_delay_alu instid0(VALU_DEP_2) | instskip(NEXT) | instid1(VALU_DEP_2)
	v_add_nc_u32_e32 v182, v182, v42
	v_xor_b32_e32 v41, 1, v41
	s_delay_alu instid0(VALU_DEP_2) | instskip(NEXT) | instid1(VALU_DEP_1)
	v_and_b32_e32 v165, 0xfffff, v182
	v_add_nc_u32_e32 v182, v165, v42
                                        ; implicit-def: $vgpr165
	s_delay_alu instid0(VALU_DEP_3)
	v_cmpx_ne_u32_e64 v183, v41
	s_xor_b32 s7, exec_lo, s7
; %bb.9449:                             ;   in Loop: Header=BB6_9048 Depth=2
	s_delay_alu instid0(VALU_DEP_2) | instskip(SKIP_2) | instid1(VALU_DEP_2)
	v_cmp_lt_u32_e32 vcc_lo, 0xffffff, v182
	v_sub_nc_u32_e32 v165, v183, v41
	v_cndmask_b32_e64 v183, 0, 1, vcc_lo
	v_add_co_ci_u32_e32 v165, vcc_lo, 0, v165, vcc_lo
	s_delay_alu instid0(VALU_DEP_2)
	v_lshrrev_b32_e32 v182, v183, v182
; %bb.9450:                             ;   in Loop: Header=BB6_9048 Depth=2
	s_and_not1_saveexec_b32 s7, s7
; %bb.9451:                             ;   in Loop: Header=BB6_9048 Depth=2
	s_delay_alu instid0(VALU_DEP_1)
	v_bfe_u32 v165, v182, 23, 1
; %bb.9452:                             ;   in Loop: Header=BB6_9048 Depth=2
	s_or_b32 exec_lo, exec_lo, s7
	v_lshrrev_b32_e32 v182, 20, v182
	s_delay_alu instid0(VALU_DEP_2) | instskip(SKIP_2) | instid1(VALU_DEP_2)
	v_cmp_gt_i32_e32 vcc_lo, 16, v165
	v_lshrrev_b32_e32 v183, 24, v40
	v_min_i32_e32 v40, 15, v165
	v_dual_cndmask_b32 v182, 7, v182 :: v_dual_and_b32 v183, 0x80, v183
	s_delay_alu instid0(VALU_DEP_1) | instskip(SKIP_1) | instid1(VALU_DEP_2)
	v_or_b32_e32 v165, v165, v182
	v_and_b32_e32 v41, 7, v182
	v_cmp_ne_u32_e32 vcc_lo, 0, v165
	v_lshlrev_b32_e32 v40, 3, v40
	s_delay_alu instid0(VALU_DEP_1) | instskip(NEXT) | instid1(VALU_DEP_1)
	v_or3_b32 v182, v40, v183, v41
	v_cndmask_b32_e32 v165, 0, v182, vcc_lo
.LBB6_9453:                             ;   in Loop: Header=BB6_9048 Depth=2
	s_or_b32 exec_lo, exec_lo, s26
.LBB6_9454:                             ;   in Loop: Header=BB6_9048 Depth=2
	s_delay_alu instid0(SALU_CYCLE_1) | instskip(SKIP_2) | instid1(VALU_DEP_1)
	s_or_b32 exec_lo, exec_lo, s25
	v_and_b32_e32 v182, 0xff, v181
	s_and_not1_b32 vcc_lo, exec_lo, s23
	v_cmp_lt_i16_e64 s7, 0x7f, v182
	s_cbranch_vccnz .LBB6_9464
; %bb.9455:                             ;   in Loop: Header=BB6_9048 Depth=2
	s_mov_b32 s25, 0
                                        ; implicit-def: $sgpr26
	s_delay_alu instid0(VALU_DEP_1) | instskip(NEXT) | instid1(SALU_CYCLE_1)
	s_and_saveexec_b32 s27, s7
	s_xor_b32 s7, exec_lo, s27
	s_cbranch_execnz .LBB6_10198
; %bb.9456:                             ;   in Loop: Header=BB6_9048 Depth=2
	s_or_saveexec_b32 s7, s7
	v_mov_b32_e32 v183, s26
	s_xor_b32 exec_lo, exec_lo, s7
	s_cbranch_execnz .LBB6_10201
.LBB6_9457:                             ;   in Loop: Header=BB6_9048 Depth=2
	s_or_b32 exec_lo, exec_lo, s7
	s_and_saveexec_b32 s7, s25
	s_cbranch_execz .LBB6_9459
.LBB6_9458:                             ;   in Loop: Header=BB6_9048 Depth=2
	v_lshrrev_b16 v42, 3, v181
	v_lshlrev_b32_e32 v43, 24, v181
	s_delay_alu instid0(VALU_DEP_2) | instskip(NEXT) | instid1(VALU_DEP_1)
	v_and_b32_e32 v42, 15, v42
	v_cmp_eq_u32_e32 vcc_lo, 0, v42
	v_and_b32_e32 v183, 7, v181
	s_delay_alu instid0(VALU_DEP_1) | instskip(NEXT) | instid1(VALU_DEP_1)
	v_clz_i32_u32_e32 v40, v183
	v_min_u32_e32 v40, 32, v40
	s_delay_alu instid0(VALU_DEP_1) | instskip(SKIP_1) | instid1(VALU_DEP_1)
	v_subrev_nc_u32_e32 v41, 28, v40
	v_sub_nc_u32_e32 v40, 29, v40
	v_dual_cndmask_b32 v40, v42, v40 :: v_dual_lshlrev_b32 v41, v41, v181
	s_delay_alu instid0(VALU_DEP_1) | instskip(NEXT) | instid1(VALU_DEP_2)
	v_and_b32_e32 v41, 7, v41
	v_lshl_add_u32 v40, v40, 23, 0x3b800000
	s_delay_alu instid0(VALU_DEP_2) | instskip(SKIP_1) | instid1(VALU_DEP_2)
	v_cndmask_b32_e32 v183, v183, v41, vcc_lo
	v_and_b32_e32 v41, 0x80000000, v43
	v_lshlrev_b32_e32 v183, 20, v183
	s_delay_alu instid0(VALU_DEP_1)
	v_or3_b32 v183, v41, v40, v183
.LBB6_9459:                             ;   in Loop: Header=BB6_9048 Depth=2
	s_or_b32 exec_lo, exec_lo, s7
	s_waitcnt vmcnt(17) lgkmcnt(17)
	v_and_b32_e32 v41, 0xff, v176
	s_mov_b32 s7, 0
	s_mov_b32 s26, exec_lo
                                        ; implicit-def: $sgpr25
	s_delay_alu instid0(VALU_DEP_1)
	v_cmpx_lt_i16_e32 0x7f, v41
	s_xor_b32 s26, exec_lo, s26
	s_cbranch_execnz .LBB6_10202
; %bb.9460:                             ;   in Loop: Header=BB6_9048 Depth=2
	s_or_saveexec_b32 s26, s26
	v_mov_b32_e32 v40, s25
	s_xor_b32 exec_lo, exec_lo, s26
	s_cbranch_execnz .LBB6_10205
.LBB6_9461:                             ;   in Loop: Header=BB6_9048 Depth=2
	s_or_b32 exec_lo, exec_lo, s26
	s_and_saveexec_b32 s25, s7
	s_cbranch_execz .LBB6_9463
.LBB6_9462:                             ;   in Loop: Header=BB6_9048 Depth=2
	v_lshrrev_b16 v43, 3, v176
	v_lshlrev_b32_e32 v44, 24, v176
	s_delay_alu instid0(VALU_DEP_2) | instskip(NEXT) | instid1(VALU_DEP_1)
	v_and_b32_e32 v43, 15, v43
	v_cmp_eq_u32_e32 vcc_lo, 0, v43
	v_and_b32_e32 v40, 7, v176
	s_delay_alu instid0(VALU_DEP_1) | instskip(NEXT) | instid1(VALU_DEP_1)
	v_clz_i32_u32_e32 v41, v40
	v_min_u32_e32 v41, 32, v41
	s_delay_alu instid0(VALU_DEP_1) | instskip(SKIP_1) | instid1(VALU_DEP_1)
	v_subrev_nc_u32_e32 v42, 28, v41
	v_sub_nc_u32_e32 v41, 29, v41
	v_dual_cndmask_b32 v41, v43, v41 :: v_dual_lshlrev_b32 v42, v42, v176
	s_delay_alu instid0(VALU_DEP_1) | instskip(NEXT) | instid1(VALU_DEP_2)
	v_and_b32_e32 v42, 7, v42
	v_lshl_add_u32 v41, v41, 23, 0x3b800000
	s_delay_alu instid0(VALU_DEP_2) | instskip(SKIP_1) | instid1(VALU_DEP_2)
	v_cndmask_b32_e32 v40, v40, v42, vcc_lo
	v_and_b32_e32 v42, 0x80000000, v44
	v_lshlrev_b32_e32 v40, 20, v40
	s_delay_alu instid0(VALU_DEP_1)
	v_or3_b32 v40, v42, v41, v40
.LBB6_9463:                             ;   in Loop: Header=BB6_9048 Depth=2
	s_or_b32 exec_lo, exec_lo, s25
	s_delay_alu instid0(VALU_DEP_1) | instskip(SKIP_1) | instid1(VALU_DEP_1)
	v_dual_max_f32 v40, v40, v40 :: v_dual_max_f32 v183, v183, v183
	s_mov_b32 s7, 0
	v_max_f32_e32 v183, v183, v40
	s_branch .LBB6_9465
.LBB6_9464:                             ;   in Loop: Header=BB6_9048 Depth=2
	s_mov_b32 s7, -1
                                        ; implicit-def: $vgpr183
.LBB6_9465:                             ;   in Loop: Header=BB6_9048 Depth=2
	s_delay_alu instid0(SALU_CYCLE_1)
	s_and_b32 vcc_lo, exec_lo, s7
	s_cbranch_vccz .LBB6_9475
; %bb.9466:                             ;   in Loop: Header=BB6_9048 Depth=2
	s_mov_b32 s7, 0
	s_mov_b32 s26, exec_lo
                                        ; implicit-def: $sgpr25
	v_cmpx_lt_i16_e64 0x7f, v182
	s_xor_b32 s26, exec_lo, s26
	s_cbranch_execnz .LBB6_10206
; %bb.9467:                             ;   in Loop: Header=BB6_9048 Depth=2
	s_or_saveexec_b32 s26, s26
	v_mov_b32_e32 v183, s25
	s_xor_b32 exec_lo, exec_lo, s26
	s_cbranch_execnz .LBB6_10209
.LBB6_9468:                             ;   in Loop: Header=BB6_9048 Depth=2
	s_or_b32 exec_lo, exec_lo, s26
	s_and_saveexec_b32 s25, s7
	s_cbranch_execz .LBB6_9470
.LBB6_9469:                             ;   in Loop: Header=BB6_9048 Depth=2
	v_lshrrev_b16 v41, 3, v181
	s_delay_alu instid0(VALU_DEP_1) | instskip(NEXT) | instid1(VALU_DEP_1)
	v_and_b32_e32 v41, 15, v41
	v_cmp_eq_u32_e32 vcc_lo, 0, v41
	v_and_b32_e32 v182, 7, v181
	s_delay_alu instid0(VALU_DEP_1) | instskip(NEXT) | instid1(VALU_DEP_1)
	v_clz_i32_u32_e32 v183, v182
	v_min_u32_e32 v183, 32, v183
	s_delay_alu instid0(VALU_DEP_1) | instskip(SKIP_1) | instid1(VALU_DEP_1)
	v_subrev_nc_u32_e32 v40, 28, v183
	v_sub_nc_u32_e32 v183, 29, v183
	v_dual_cndmask_b32 v183, v41, v183 :: v_dual_lshlrev_b32 v40, v40, v181
	v_lshlrev_b32_e32 v181, 24, v181
	s_delay_alu instid0(VALU_DEP_2) | instskip(NEXT) | instid1(VALU_DEP_3)
	v_and_b32_e32 v40, 7, v40
	v_lshl_add_u32 v183, v183, 23, 0x3b800000
	s_delay_alu instid0(VALU_DEP_2) | instskip(NEXT) | instid1(VALU_DEP_1)
	v_dual_cndmask_b32 v182, v182, v40 :: v_dual_and_b32 v181, 0x80000000, v181
	v_lshlrev_b32_e32 v182, 20, v182
	s_delay_alu instid0(VALU_DEP_1)
	v_or3_b32 v183, v181, v183, v182
.LBB6_9470:                             ;   in Loop: Header=BB6_9048 Depth=2
	s_or_b32 exec_lo, exec_lo, s25
	s_waitcnt vmcnt(17) lgkmcnt(17)
	v_and_b32_e32 v182, 0xff, v176
	s_mov_b32 s7, 0
	s_mov_b32 s26, exec_lo
                                        ; implicit-def: $sgpr25
	s_delay_alu instid0(VALU_DEP_1)
	v_cmpx_lt_i16_e64 0x7f, v182
	s_xor_b32 s26, exec_lo, s26
	s_cbranch_execnz .LBB6_10210
; %bb.9471:                             ;   in Loop: Header=BB6_9048 Depth=2
	s_or_saveexec_b32 s26, s26
	v_mov_b32_e32 v181, s25
	s_xor_b32 exec_lo, exec_lo, s26
	s_cbranch_execnz .LBB6_10213
.LBB6_9472:                             ;   in Loop: Header=BB6_9048 Depth=2
	s_or_b32 exec_lo, exec_lo, s26
	s_and_saveexec_b32 s25, s7
	s_cbranch_execz .LBB6_9474
.LBB6_9473:                             ;   in Loop: Header=BB6_9048 Depth=2
	v_lshrrev_b16 v41, 3, v176
	s_delay_alu instid0(VALU_DEP_1) | instskip(NEXT) | instid1(VALU_DEP_1)
	v_and_b32_e32 v41, 15, v41
	v_cmp_eq_u32_e32 vcc_lo, 0, v41
	v_and_b32_e32 v181, 7, v176
	s_delay_alu instid0(VALU_DEP_1) | instskip(NEXT) | instid1(VALU_DEP_1)
	v_clz_i32_u32_e32 v182, v181
	v_min_u32_e32 v182, 32, v182
	s_delay_alu instid0(VALU_DEP_1) | instskip(SKIP_1) | instid1(VALU_DEP_2)
	v_subrev_nc_u32_e32 v40, 28, v182
	v_sub_nc_u32_e32 v182, 29, v182
	v_lshlrev_b32_e32 v40, v40, v176
	s_delay_alu instid0(VALU_DEP_2) | instskip(SKIP_1) | instid1(VALU_DEP_3)
	v_cndmask_b32_e32 v182, v41, v182, vcc_lo
	v_lshlrev_b32_e32 v176, 24, v176
	v_and_b32_e32 v40, 7, v40
	s_delay_alu instid0(VALU_DEP_3) | instskip(NEXT) | instid1(VALU_DEP_3)
	v_lshl_add_u32 v182, v182, 23, 0x3b800000
	v_and_b32_e32 v176, 0x80000000, v176
	s_delay_alu instid0(VALU_DEP_3) | instskip(NEXT) | instid1(VALU_DEP_1)
	v_cndmask_b32_e32 v181, v181, v40, vcc_lo
	v_lshlrev_b32_e32 v181, 20, v181
	s_delay_alu instid0(VALU_DEP_1)
	v_or3_b32 v181, v176, v182, v181
.LBB6_9474:                             ;   in Loop: Header=BB6_9048 Depth=2
	s_or_b32 exec_lo, exec_lo, s25
	s_delay_alu instid0(VALU_DEP_1) | instskip(NEXT) | instid1(VALU_DEP_1)
	v_dual_max_f32 v176, v181, v181 :: v_dual_max_f32 v181, v183, v183
	v_min_f32_e32 v183, v181, v176
.LBB6_9475:                             ;   in Loop: Header=BB6_9048 Depth=2
	s_waitcnt vmcnt(17) lgkmcnt(17)
	s_delay_alu instid0(VALU_DEP_1) | instskip(NEXT) | instid1(VALU_DEP_1)
	v_and_b32_e32 v176, 0x7f800000, v183
	v_cmp_ne_u32_e32 vcc_lo, 0x7f800000, v176
	v_mov_b32_e32 v176, 0x80
	s_and_saveexec_b32 s25, vcc_lo
	s_cbranch_execz .LBB6_9483
; %bb.9476:                             ;   in Loop: Header=BB6_9048 Depth=2
	v_mov_b32_e32 v176, 0
	s_mov_b32 s26, exec_lo
	v_cmpx_ne_u32_e32 0, v183
	s_cbranch_execz .LBB6_9482
; %bb.9477:                             ;   in Loop: Header=BB6_9048 Depth=2
	v_bfe_u32 v176, v183, 23, 8
	s_delay_alu instid0(VALU_DEP_1) | instskip(SKIP_1) | instid1(VALU_DEP_2)
	v_sub_nc_u32_e32 v182, 0x78, v176
	v_cmp_gt_u32_e32 vcc_lo, 0x79, v176
	v_dual_cndmask_b32 v182, 0, v182 :: v_dual_and_b32 v181, 0x7fffff, v183
	s_delay_alu instid0(VALU_DEP_1) | instskip(SKIP_2) | instid1(VALU_DEP_4)
	v_or_b32_e32 v40, 0x800000, v181
	v_cmp_eq_u32_e32 vcc_lo, 0, v176
	v_add_nc_u32_e32 v176, 0xffffff89, v176
	v_cndmask_b32_e64 v182, v182, 0x77, vcc_lo
	s_delay_alu instid0(VALU_DEP_4) | instskip(NEXT) | instid1(VALU_DEP_3)
	v_cndmask_b32_e32 v181, v40, v181, vcc_lo
	v_cndmask_b32_e64 v176, v176, 0xffffff8a, vcc_lo
	s_delay_alu instid0(VALU_DEP_3) | instskip(NEXT) | instid1(VALU_DEP_3)
	v_lshl_add_u32 v40, 0x100000, v182, -1
	v_lshrrev_b32_e32 v41, v182, v181
	v_lshlrev_b32_e64 v43, v182, 0x80000
	s_delay_alu instid0(VALU_DEP_4) | instskip(NEXT) | instid1(VALU_DEP_4)
	v_add_nc_u32_e32 v182, v182, v176
	v_and_b32_e32 v181, v40, v181
	s_delay_alu instid0(VALU_DEP_4) | instskip(NEXT) | instid1(VALU_DEP_2)
	v_bfe_u32 v42, v41, 20, 1
	v_cmp_eq_u32_e64 s7, v181, v43
	s_delay_alu instid0(VALU_DEP_2) | instskip(NEXT) | instid1(VALU_DEP_1)
	v_add_nc_u32_e32 v40, -1, v42
	v_cndmask_b32_e64 v181, 0, v40, s7
	v_lshrrev_b32_e32 v40, 23, v41
	s_mov_b32 s7, exec_lo
	s_delay_alu instid0(VALU_DEP_2) | instskip(NEXT) | instid1(VALU_DEP_2)
	v_add_nc_u32_e32 v181, v181, v41
	v_xor_b32_e32 v40, 1, v40
	s_delay_alu instid0(VALU_DEP_2) | instskip(NEXT) | instid1(VALU_DEP_1)
	v_and_b32_e32 v176, 0xfffff, v181
	v_add_nc_u32_e32 v181, v176, v41
                                        ; implicit-def: $vgpr176
	s_delay_alu instid0(VALU_DEP_3)
	v_cmpx_ne_u32_e64 v182, v40
	s_xor_b32 s7, exec_lo, s7
; %bb.9478:                             ;   in Loop: Header=BB6_9048 Depth=2
	s_delay_alu instid0(VALU_DEP_2) | instskip(SKIP_2) | instid1(VALU_DEP_2)
	v_cmp_lt_u32_e32 vcc_lo, 0xffffff, v181
	v_sub_nc_u32_e32 v176, v182, v40
	v_cndmask_b32_e64 v182, 0, 1, vcc_lo
	v_add_co_ci_u32_e32 v176, vcc_lo, 0, v176, vcc_lo
	s_delay_alu instid0(VALU_DEP_2)
	v_lshrrev_b32_e32 v181, v182, v181
; %bb.9479:                             ;   in Loop: Header=BB6_9048 Depth=2
	s_and_not1_saveexec_b32 s7, s7
; %bb.9480:                             ;   in Loop: Header=BB6_9048 Depth=2
	s_delay_alu instid0(VALU_DEP_1)
	v_bfe_u32 v176, v181, 23, 1
; %bb.9481:                             ;   in Loop: Header=BB6_9048 Depth=2
	s_or_b32 exec_lo, exec_lo, s7
	v_lshrrev_b32_e32 v181, 20, v181
	s_delay_alu instid0(VALU_DEP_2) | instskip(SKIP_2) | instid1(VALU_DEP_2)
	v_cmp_gt_i32_e32 vcc_lo, 16, v176
	v_lshrrev_b32_e32 v182, 24, v183
	v_min_i32_e32 v183, 15, v176
	v_dual_cndmask_b32 v181, 7, v181 :: v_dual_and_b32 v182, 0x80, v182
	s_delay_alu instid0(VALU_DEP_1) | instskip(SKIP_1) | instid1(VALU_DEP_2)
	v_or_b32_e32 v176, v176, v181
	v_and_b32_e32 v40, 7, v181
	v_cmp_ne_u32_e32 vcc_lo, 0, v176
	v_lshlrev_b32_e32 v183, 3, v183
	s_delay_alu instid0(VALU_DEP_1) | instskip(NEXT) | instid1(VALU_DEP_1)
	v_or3_b32 v181, v183, v182, v40
	v_cndmask_b32_e32 v176, 0, v181, vcc_lo
.LBB6_9482:                             ;   in Loop: Header=BB6_9048 Depth=2
	s_or_b32 exec_lo, exec_lo, s26
.LBB6_9483:                             ;   in Loop: Header=BB6_9048 Depth=2
	s_delay_alu instid0(SALU_CYCLE_1) | instskip(SKIP_2) | instid1(VALU_DEP_1)
	s_or_b32 exec_lo, exec_lo, s25
	v_and_b32_e32 v181, 0xff, v180
	s_and_not1_b32 vcc_lo, exec_lo, s23
	v_cmp_lt_i16_e64 s7, 0x7f, v181
	s_cbranch_vccnz .LBB6_9493
; %bb.9484:                             ;   in Loop: Header=BB6_9048 Depth=2
	s_mov_b32 s25, 0
                                        ; implicit-def: $sgpr26
	s_delay_alu instid0(VALU_DEP_1) | instskip(NEXT) | instid1(SALU_CYCLE_1)
	s_and_saveexec_b32 s27, s7
	s_xor_b32 s7, exec_lo, s27
	s_cbranch_execnz .LBB6_10214
; %bb.9485:                             ;   in Loop: Header=BB6_9048 Depth=2
	s_or_saveexec_b32 s7, s7
	v_mov_b32_e32 v182, s26
	s_xor_b32 exec_lo, exec_lo, s7
	s_cbranch_execnz .LBB6_10217
.LBB6_9486:                             ;   in Loop: Header=BB6_9048 Depth=2
	s_or_b32 exec_lo, exec_lo, s7
	s_and_saveexec_b32 s7, s25
	s_cbranch_execz .LBB6_9488
.LBB6_9487:                             ;   in Loop: Header=BB6_9048 Depth=2
	v_lshrrev_b16 v41, 3, v180
	v_lshlrev_b32_e32 v42, 24, v180
	s_delay_alu instid0(VALU_DEP_2) | instskip(NEXT) | instid1(VALU_DEP_1)
	v_and_b32_e32 v41, 15, v41
	v_cmp_eq_u32_e32 vcc_lo, 0, v41
	v_and_b32_e32 v182, 7, v180
	s_delay_alu instid0(VALU_DEP_1) | instskip(NEXT) | instid1(VALU_DEP_1)
	v_clz_i32_u32_e32 v183, v182
	v_min_u32_e32 v183, 32, v183
	s_delay_alu instid0(VALU_DEP_1) | instskip(SKIP_1) | instid1(VALU_DEP_1)
	v_subrev_nc_u32_e32 v40, 28, v183
	v_sub_nc_u32_e32 v183, 29, v183
	v_dual_cndmask_b32 v183, v41, v183 :: v_dual_lshlrev_b32 v40, v40, v180
	s_delay_alu instid0(VALU_DEP_1) | instskip(NEXT) | instid1(VALU_DEP_2)
	v_and_b32_e32 v40, 7, v40
	v_lshl_add_u32 v183, v183, 23, 0x3b800000
	s_delay_alu instid0(VALU_DEP_2) | instskip(SKIP_1) | instid1(VALU_DEP_2)
	v_cndmask_b32_e32 v182, v182, v40, vcc_lo
	v_and_b32_e32 v40, 0x80000000, v42
	v_lshlrev_b32_e32 v182, 20, v182
	s_delay_alu instid0(VALU_DEP_1)
	v_or3_b32 v182, v40, v183, v182
.LBB6_9488:                             ;   in Loop: Header=BB6_9048 Depth=2
	s_or_b32 exec_lo, exec_lo, s7
	s_waitcnt vmcnt(16) lgkmcnt(16)
	v_and_b32_e32 v40, 0xff, v179
	s_mov_b32 s7, 0
	s_mov_b32 s26, exec_lo
                                        ; implicit-def: $sgpr25
	s_delay_alu instid0(VALU_DEP_1)
	v_cmpx_lt_i16_e32 0x7f, v40
	s_xor_b32 s26, exec_lo, s26
	s_cbranch_execnz .LBB6_10218
; %bb.9489:                             ;   in Loop: Header=BB6_9048 Depth=2
	s_or_saveexec_b32 s26, s26
	v_mov_b32_e32 v183, s25
	s_xor_b32 exec_lo, exec_lo, s26
	s_cbranch_execnz .LBB6_10221
.LBB6_9490:                             ;   in Loop: Header=BB6_9048 Depth=2
	s_or_b32 exec_lo, exec_lo, s26
	s_and_saveexec_b32 s25, s7
	s_cbranch_execz .LBB6_9492
.LBB6_9491:                             ;   in Loop: Header=BB6_9048 Depth=2
	v_lshrrev_b16 v42, 3, v179
	v_lshlrev_b32_e32 v43, 24, v179
	s_delay_alu instid0(VALU_DEP_2) | instskip(NEXT) | instid1(VALU_DEP_1)
	v_and_b32_e32 v42, 15, v42
	v_cmp_eq_u32_e32 vcc_lo, 0, v42
	v_and_b32_e32 v183, 7, v179
	s_delay_alu instid0(VALU_DEP_1) | instskip(NEXT) | instid1(VALU_DEP_1)
	v_clz_i32_u32_e32 v40, v183
	v_min_u32_e32 v40, 32, v40
	s_delay_alu instid0(VALU_DEP_1) | instskip(SKIP_1) | instid1(VALU_DEP_1)
	v_subrev_nc_u32_e32 v41, 28, v40
	v_sub_nc_u32_e32 v40, 29, v40
	v_dual_cndmask_b32 v40, v42, v40 :: v_dual_lshlrev_b32 v41, v41, v179
	s_delay_alu instid0(VALU_DEP_1) | instskip(NEXT) | instid1(VALU_DEP_2)
	v_and_b32_e32 v41, 7, v41
	v_lshl_add_u32 v40, v40, 23, 0x3b800000
	s_delay_alu instid0(VALU_DEP_2) | instskip(SKIP_1) | instid1(VALU_DEP_2)
	v_cndmask_b32_e32 v183, v183, v41, vcc_lo
	v_and_b32_e32 v41, 0x80000000, v43
	v_lshlrev_b32_e32 v183, 20, v183
	s_delay_alu instid0(VALU_DEP_1)
	v_or3_b32 v183, v41, v40, v183
.LBB6_9492:                             ;   in Loop: Header=BB6_9048 Depth=2
	s_or_b32 exec_lo, exec_lo, s25
	s_delay_alu instid0(VALU_DEP_1) | instskip(SKIP_1) | instid1(VALU_DEP_1)
	v_dual_max_f32 v183, v183, v183 :: v_dual_max_f32 v182, v182, v182
	s_mov_b32 s7, 0
	v_max_f32_e32 v182, v182, v183
	s_branch .LBB6_9494
.LBB6_9493:                             ;   in Loop: Header=BB6_9048 Depth=2
	s_mov_b32 s7, -1
                                        ; implicit-def: $vgpr182
.LBB6_9494:                             ;   in Loop: Header=BB6_9048 Depth=2
	s_delay_alu instid0(SALU_CYCLE_1)
	s_and_b32 vcc_lo, exec_lo, s7
	s_cbranch_vccz .LBB6_9504
; %bb.9495:                             ;   in Loop: Header=BB6_9048 Depth=2
	s_mov_b32 s7, 0
	s_mov_b32 s26, exec_lo
                                        ; implicit-def: $sgpr25
	v_cmpx_lt_i16_e64 0x7f, v181
	s_xor_b32 s26, exec_lo, s26
	s_cbranch_execnz .LBB6_10222
; %bb.9496:                             ;   in Loop: Header=BB6_9048 Depth=2
	s_or_saveexec_b32 s26, s26
	v_mov_b32_e32 v182, s25
	s_xor_b32 exec_lo, exec_lo, s26
	s_cbranch_execnz .LBB6_10225
.LBB6_9497:                             ;   in Loop: Header=BB6_9048 Depth=2
	s_or_b32 exec_lo, exec_lo, s26
	s_and_saveexec_b32 s25, s7
	s_cbranch_execz .LBB6_9499
.LBB6_9498:                             ;   in Loop: Header=BB6_9048 Depth=2
	v_lshrrev_b16 v40, 3, v180
	s_delay_alu instid0(VALU_DEP_1) | instskip(NEXT) | instid1(VALU_DEP_1)
	v_and_b32_e32 v40, 15, v40
	v_cmp_eq_u32_e32 vcc_lo, 0, v40
	v_and_b32_e32 v181, 7, v180
	s_delay_alu instid0(VALU_DEP_1) | instskip(NEXT) | instid1(VALU_DEP_1)
	v_clz_i32_u32_e32 v182, v181
	v_min_u32_e32 v182, 32, v182
	s_delay_alu instid0(VALU_DEP_1) | instskip(SKIP_1) | instid1(VALU_DEP_1)
	v_subrev_nc_u32_e32 v183, 28, v182
	v_sub_nc_u32_e32 v182, 29, v182
	v_dual_cndmask_b32 v182, v40, v182 :: v_dual_lshlrev_b32 v183, v183, v180
	v_lshlrev_b32_e32 v180, 24, v180
	s_delay_alu instid0(VALU_DEP_2) | instskip(NEXT) | instid1(VALU_DEP_3)
	v_and_b32_e32 v183, 7, v183
	v_lshl_add_u32 v182, v182, 23, 0x3b800000
	s_delay_alu instid0(VALU_DEP_2) | instskip(NEXT) | instid1(VALU_DEP_1)
	v_dual_cndmask_b32 v181, v181, v183 :: v_dual_and_b32 v180, 0x80000000, v180
	v_lshlrev_b32_e32 v181, 20, v181
	s_delay_alu instid0(VALU_DEP_1)
	v_or3_b32 v182, v180, v182, v181
.LBB6_9499:                             ;   in Loop: Header=BB6_9048 Depth=2
	s_or_b32 exec_lo, exec_lo, s25
	s_waitcnt vmcnt(16) lgkmcnt(16)
	v_and_b32_e32 v181, 0xff, v179
	s_mov_b32 s7, 0
	s_mov_b32 s26, exec_lo
                                        ; implicit-def: $sgpr25
	s_delay_alu instid0(VALU_DEP_1)
	v_cmpx_lt_i16_e64 0x7f, v181
	s_xor_b32 s26, exec_lo, s26
	s_cbranch_execnz .LBB6_10226
; %bb.9500:                             ;   in Loop: Header=BB6_9048 Depth=2
	s_or_saveexec_b32 s26, s26
	v_mov_b32_e32 v180, s25
	s_xor_b32 exec_lo, exec_lo, s26
	s_cbranch_execnz .LBB6_10229
.LBB6_9501:                             ;   in Loop: Header=BB6_9048 Depth=2
	s_or_b32 exec_lo, exec_lo, s26
	s_and_saveexec_b32 s25, s7
	s_cbranch_execz .LBB6_9503
.LBB6_9502:                             ;   in Loop: Header=BB6_9048 Depth=2
	v_lshrrev_b16 v40, 3, v179
	s_delay_alu instid0(VALU_DEP_1) | instskip(NEXT) | instid1(VALU_DEP_1)
	v_and_b32_e32 v40, 15, v40
	v_cmp_eq_u32_e32 vcc_lo, 0, v40
	v_and_b32_e32 v180, 7, v179
	s_delay_alu instid0(VALU_DEP_1) | instskip(NEXT) | instid1(VALU_DEP_1)
	v_clz_i32_u32_e32 v181, v180
	v_min_u32_e32 v181, 32, v181
	s_delay_alu instid0(VALU_DEP_1) | instskip(SKIP_1) | instid1(VALU_DEP_2)
	v_subrev_nc_u32_e32 v183, 28, v181
	v_sub_nc_u32_e32 v181, 29, v181
	v_lshlrev_b32_e32 v183, v183, v179
	s_delay_alu instid0(VALU_DEP_2) | instskip(SKIP_1) | instid1(VALU_DEP_3)
	v_cndmask_b32_e32 v181, v40, v181, vcc_lo
	v_lshlrev_b32_e32 v179, 24, v179
	v_and_b32_e32 v183, 7, v183
	s_delay_alu instid0(VALU_DEP_3) | instskip(NEXT) | instid1(VALU_DEP_3)
	v_lshl_add_u32 v181, v181, 23, 0x3b800000
	v_and_b32_e32 v179, 0x80000000, v179
	s_delay_alu instid0(VALU_DEP_3) | instskip(NEXT) | instid1(VALU_DEP_1)
	v_cndmask_b32_e32 v180, v180, v183, vcc_lo
	v_lshlrev_b32_e32 v180, 20, v180
	s_delay_alu instid0(VALU_DEP_1)
	v_or3_b32 v180, v179, v181, v180
.LBB6_9503:                             ;   in Loop: Header=BB6_9048 Depth=2
	s_or_b32 exec_lo, exec_lo, s25
	s_delay_alu instid0(VALU_DEP_1) | instskip(NEXT) | instid1(VALU_DEP_1)
	v_dual_max_f32 v179, v180, v180 :: v_dual_max_f32 v180, v182, v182
	v_min_f32_e32 v182, v180, v179
.LBB6_9504:                             ;   in Loop: Header=BB6_9048 Depth=2
	s_waitcnt vmcnt(16) lgkmcnt(16)
	s_delay_alu instid0(VALU_DEP_1) | instskip(NEXT) | instid1(VALU_DEP_1)
	v_and_b32_e32 v179, 0x7f800000, v182
	v_cmp_ne_u32_e32 vcc_lo, 0x7f800000, v179
	v_mov_b32_e32 v179, 0x80
	s_and_saveexec_b32 s25, vcc_lo
	s_cbranch_execz .LBB6_9512
; %bb.9505:                             ;   in Loop: Header=BB6_9048 Depth=2
	v_mov_b32_e32 v179, 0
	s_mov_b32 s26, exec_lo
	v_cmpx_ne_u32_e32 0, v182
	s_cbranch_execz .LBB6_9511
; %bb.9506:                             ;   in Loop: Header=BB6_9048 Depth=2
	v_bfe_u32 v179, v182, 23, 8
	s_delay_alu instid0(VALU_DEP_1) | instskip(SKIP_1) | instid1(VALU_DEP_2)
	v_sub_nc_u32_e32 v181, 0x78, v179
	v_cmp_gt_u32_e32 vcc_lo, 0x79, v179
	v_dual_cndmask_b32 v181, 0, v181 :: v_dual_and_b32 v180, 0x7fffff, v182
	s_delay_alu instid0(VALU_DEP_1) | instskip(SKIP_2) | instid1(VALU_DEP_4)
	v_or_b32_e32 v183, 0x800000, v180
	v_cmp_eq_u32_e32 vcc_lo, 0, v179
	v_add_nc_u32_e32 v179, 0xffffff89, v179
	v_cndmask_b32_e64 v181, v181, 0x77, vcc_lo
	s_delay_alu instid0(VALU_DEP_4) | instskip(NEXT) | instid1(VALU_DEP_3)
	v_cndmask_b32_e32 v180, v183, v180, vcc_lo
	v_cndmask_b32_e64 v179, v179, 0xffffff8a, vcc_lo
	s_delay_alu instid0(VALU_DEP_3) | instskip(NEXT) | instid1(VALU_DEP_3)
	v_lshl_add_u32 v183, 0x100000, v181, -1
	v_lshrrev_b32_e32 v40, v181, v180
	v_lshlrev_b32_e64 v42, v181, 0x80000
	s_delay_alu instid0(VALU_DEP_4) | instskip(NEXT) | instid1(VALU_DEP_4)
	v_add_nc_u32_e32 v181, v181, v179
	v_and_b32_e32 v180, v183, v180
	s_delay_alu instid0(VALU_DEP_4) | instskip(NEXT) | instid1(VALU_DEP_2)
	v_bfe_u32 v41, v40, 20, 1
	v_cmp_eq_u32_e64 s7, v180, v42
	s_delay_alu instid0(VALU_DEP_2) | instskip(NEXT) | instid1(VALU_DEP_1)
	v_add_nc_u32_e32 v183, -1, v41
	v_cndmask_b32_e64 v180, 0, v183, s7
	v_lshrrev_b32_e32 v183, 23, v40
	s_mov_b32 s7, exec_lo
	s_delay_alu instid0(VALU_DEP_2) | instskip(NEXT) | instid1(VALU_DEP_2)
	v_add_nc_u32_e32 v180, v180, v40
	v_xor_b32_e32 v183, 1, v183
	s_delay_alu instid0(VALU_DEP_2) | instskip(NEXT) | instid1(VALU_DEP_1)
	v_and_b32_e32 v179, 0xfffff, v180
	v_add_nc_u32_e32 v180, v179, v40
                                        ; implicit-def: $vgpr179
	s_delay_alu instid0(VALU_DEP_3)
	v_cmpx_ne_u32_e64 v181, v183
	s_xor_b32 s7, exec_lo, s7
; %bb.9507:                             ;   in Loop: Header=BB6_9048 Depth=2
	s_delay_alu instid0(VALU_DEP_2) | instskip(SKIP_2) | instid1(VALU_DEP_2)
	v_cmp_lt_u32_e32 vcc_lo, 0xffffff, v180
	v_sub_nc_u32_e32 v179, v181, v183
	v_cndmask_b32_e64 v181, 0, 1, vcc_lo
	v_add_co_ci_u32_e32 v179, vcc_lo, 0, v179, vcc_lo
	s_delay_alu instid0(VALU_DEP_2)
	v_lshrrev_b32_e32 v180, v181, v180
; %bb.9508:                             ;   in Loop: Header=BB6_9048 Depth=2
	s_and_not1_saveexec_b32 s7, s7
; %bb.9509:                             ;   in Loop: Header=BB6_9048 Depth=2
	s_delay_alu instid0(VALU_DEP_1)
	v_bfe_u32 v179, v180, 23, 1
; %bb.9510:                             ;   in Loop: Header=BB6_9048 Depth=2
	s_or_b32 exec_lo, exec_lo, s7
	v_lshrrev_b32_e32 v180, 20, v180
	s_delay_alu instid0(VALU_DEP_2) | instskip(SKIP_2) | instid1(VALU_DEP_2)
	v_cmp_gt_i32_e32 vcc_lo, 16, v179
	v_lshrrev_b32_e32 v181, 24, v182
	v_min_i32_e32 v182, 15, v179
	v_dual_cndmask_b32 v180, 7, v180 :: v_dual_and_b32 v181, 0x80, v181
	s_delay_alu instid0(VALU_DEP_1) | instskip(SKIP_1) | instid1(VALU_DEP_2)
	v_or_b32_e32 v179, v179, v180
	v_and_b32_e32 v183, 7, v180
	v_cmp_ne_u32_e32 vcc_lo, 0, v179
	v_lshlrev_b32_e32 v182, 3, v182
	s_delay_alu instid0(VALU_DEP_1) | instskip(NEXT) | instid1(VALU_DEP_1)
	v_or3_b32 v180, v182, v181, v183
	v_cndmask_b32_e32 v179, 0, v180, vcc_lo
.LBB6_9511:                             ;   in Loop: Header=BB6_9048 Depth=2
	s_or_b32 exec_lo, exec_lo, s26
.LBB6_9512:                             ;   in Loop: Header=BB6_9048 Depth=2
	s_delay_alu instid0(SALU_CYCLE_1) | instskip(SKIP_2) | instid1(VALU_DEP_1)
	s_or_b32 exec_lo, exec_lo, s25
	v_and_b32_e32 v180, 0xff, v178
	s_and_not1_b32 vcc_lo, exec_lo, s23
	v_cmp_lt_i16_e64 s7, 0x7f, v180
	s_cbranch_vccnz .LBB6_9522
; %bb.9513:                             ;   in Loop: Header=BB6_9048 Depth=2
	s_mov_b32 s25, 0
                                        ; implicit-def: $sgpr26
	s_delay_alu instid0(VALU_DEP_1) | instskip(NEXT) | instid1(SALU_CYCLE_1)
	s_and_saveexec_b32 s27, s7
	s_xor_b32 s7, exec_lo, s27
	s_cbranch_execnz .LBB6_10230
; %bb.9514:                             ;   in Loop: Header=BB6_9048 Depth=2
	s_or_saveexec_b32 s7, s7
	v_mov_b32_e32 v181, s26
	s_xor_b32 exec_lo, exec_lo, s7
	s_cbranch_execnz .LBB6_10233
.LBB6_9515:                             ;   in Loop: Header=BB6_9048 Depth=2
	s_or_b32 exec_lo, exec_lo, s7
	s_and_saveexec_b32 s7, s25
	s_cbranch_execz .LBB6_9517
.LBB6_9516:                             ;   in Loop: Header=BB6_9048 Depth=2
	v_and_b32_e32 v181, 7, v178
	v_lshrrev_b16 v40, 3, v178
	v_lshlrev_b32_e32 v41, 24, v178
	s_delay_alu instid0(VALU_DEP_3) | instskip(NEXT) | instid1(VALU_DEP_1)
	v_clz_i32_u32_e32 v182, v181
	v_min_u32_e32 v182, 32, v182
	s_delay_alu instid0(VALU_DEP_1) | instskip(SKIP_1) | instid1(VALU_DEP_2)
	v_subrev_nc_u32_e32 v183, 28, v182
	v_sub_nc_u32_e32 v182, 29, v182
	v_lshlrev_b32_e32 v183, v183, v178
	s_delay_alu instid0(VALU_DEP_1) | instskip(SKIP_1) | instid1(VALU_DEP_1)
	v_and_b32_e32 v183, 7, v183
	v_and_b32_e32 v40, 15, v40
	v_cmp_eq_u32_e32 vcc_lo, 0, v40
	s_delay_alu instid0(VALU_DEP_3) | instskip(SKIP_1) | instid1(VALU_DEP_2)
	v_dual_cndmask_b32 v181, v181, v183 :: v_dual_cndmask_b32 v182, v40, v182
	v_and_b32_e32 v183, 0x80000000, v41
	v_lshlrev_b32_e32 v181, 20, v181
	s_delay_alu instid0(VALU_DEP_3) | instskip(NEXT) | instid1(VALU_DEP_1)
	v_lshl_add_u32 v182, v182, 23, 0x3b800000
	v_or3_b32 v181, v183, v182, v181
.LBB6_9517:                             ;   in Loop: Header=BB6_9048 Depth=2
	s_or_b32 exec_lo, exec_lo, s7
	s_waitcnt vmcnt(15) lgkmcnt(15)
	v_and_b32_e32 v183, 0xff, v177
	s_mov_b32 s7, 0
	s_mov_b32 s26, exec_lo
                                        ; implicit-def: $sgpr25
	s_delay_alu instid0(VALU_DEP_1)
	v_cmpx_lt_i16_e64 0x7f, v183
	s_xor_b32 s26, exec_lo, s26
	s_cbranch_execnz .LBB6_10234
; %bb.9518:                             ;   in Loop: Header=BB6_9048 Depth=2
	s_or_saveexec_b32 s26, s26
	v_mov_b32_e32 v182, s25
	s_xor_b32 exec_lo, exec_lo, s26
	s_cbranch_execnz .LBB6_10237
.LBB6_9519:                             ;   in Loop: Header=BB6_9048 Depth=2
	s_or_b32 exec_lo, exec_lo, s26
	s_and_saveexec_b32 s25, s7
	s_cbranch_execz .LBB6_9521
.LBB6_9520:                             ;   in Loop: Header=BB6_9048 Depth=2
	v_lshrrev_b16 v41, 3, v177
	v_lshlrev_b32_e32 v42, 24, v177
	s_delay_alu instid0(VALU_DEP_2) | instskip(NEXT) | instid1(VALU_DEP_1)
	v_and_b32_e32 v41, 15, v41
	v_cmp_eq_u32_e32 vcc_lo, 0, v41
	v_and_b32_e32 v182, 7, v177
	s_delay_alu instid0(VALU_DEP_1) | instskip(NEXT) | instid1(VALU_DEP_1)
	v_clz_i32_u32_e32 v183, v182
	v_min_u32_e32 v183, 32, v183
	s_delay_alu instid0(VALU_DEP_1) | instskip(SKIP_1) | instid1(VALU_DEP_1)
	v_subrev_nc_u32_e32 v40, 28, v183
	v_sub_nc_u32_e32 v183, 29, v183
	v_dual_cndmask_b32 v183, v41, v183 :: v_dual_lshlrev_b32 v40, v40, v177
	s_delay_alu instid0(VALU_DEP_1) | instskip(NEXT) | instid1(VALU_DEP_2)
	v_and_b32_e32 v40, 7, v40
	v_lshl_add_u32 v183, v183, 23, 0x3b800000
	s_delay_alu instid0(VALU_DEP_2) | instskip(SKIP_1) | instid1(VALU_DEP_2)
	v_cndmask_b32_e32 v182, v182, v40, vcc_lo
	v_and_b32_e32 v40, 0x80000000, v42
	v_lshlrev_b32_e32 v182, 20, v182
	s_delay_alu instid0(VALU_DEP_1)
	v_or3_b32 v182, v40, v183, v182
.LBB6_9521:                             ;   in Loop: Header=BB6_9048 Depth=2
	s_or_b32 exec_lo, exec_lo, s25
	s_delay_alu instid0(VALU_DEP_1) | instskip(SKIP_1) | instid1(VALU_DEP_1)
	v_dual_max_f32 v182, v182, v182 :: v_dual_max_f32 v181, v181, v181
	s_mov_b32 s7, 0
	v_max_f32_e32 v181, v181, v182
	s_branch .LBB6_9523
.LBB6_9522:                             ;   in Loop: Header=BB6_9048 Depth=2
	s_mov_b32 s7, -1
                                        ; implicit-def: $vgpr181
.LBB6_9523:                             ;   in Loop: Header=BB6_9048 Depth=2
	s_delay_alu instid0(SALU_CYCLE_1)
	s_and_b32 vcc_lo, exec_lo, s7
	s_cbranch_vccz .LBB6_9533
; %bb.9524:                             ;   in Loop: Header=BB6_9048 Depth=2
	s_mov_b32 s7, 0
	s_mov_b32 s26, exec_lo
                                        ; implicit-def: $sgpr25
	v_cmpx_lt_i16_e64 0x7f, v180
	s_xor_b32 s26, exec_lo, s26
	s_cbranch_execnz .LBB6_10238
; %bb.9525:                             ;   in Loop: Header=BB6_9048 Depth=2
	s_or_saveexec_b32 s26, s26
	v_mov_b32_e32 v181, s25
	s_xor_b32 exec_lo, exec_lo, s26
	s_cbranch_execnz .LBB6_10241
.LBB6_9526:                             ;   in Loop: Header=BB6_9048 Depth=2
	s_or_b32 exec_lo, exec_lo, s26
	s_and_saveexec_b32 s25, s7
	s_cbranch_execz .LBB6_9528
.LBB6_9527:                             ;   in Loop: Header=BB6_9048 Depth=2
	v_lshrrev_b16 v183, 3, v178
	s_delay_alu instid0(VALU_DEP_1) | instskip(NEXT) | instid1(VALU_DEP_1)
	v_and_b32_e32 v183, 15, v183
	v_cmp_eq_u32_e32 vcc_lo, 0, v183
	v_and_b32_e32 v180, 7, v178
	s_delay_alu instid0(VALU_DEP_1) | instskip(NEXT) | instid1(VALU_DEP_1)
	v_clz_i32_u32_e32 v181, v180
	v_min_u32_e32 v181, 32, v181
	s_delay_alu instid0(VALU_DEP_1) | instskip(SKIP_1) | instid1(VALU_DEP_1)
	v_subrev_nc_u32_e32 v182, 28, v181
	v_sub_nc_u32_e32 v181, 29, v181
	v_dual_cndmask_b32 v181, v183, v181 :: v_dual_lshlrev_b32 v182, v182, v178
	v_lshlrev_b32_e32 v178, 24, v178
	s_delay_alu instid0(VALU_DEP_2) | instskip(NEXT) | instid1(VALU_DEP_3)
	v_and_b32_e32 v182, 7, v182
	v_lshl_add_u32 v181, v181, 23, 0x3b800000
	s_delay_alu instid0(VALU_DEP_3) | instskip(NEXT) | instid1(VALU_DEP_3)
	v_and_b32_e32 v178, 0x80000000, v178
	v_cndmask_b32_e32 v180, v180, v182, vcc_lo
	s_delay_alu instid0(VALU_DEP_1) | instskip(NEXT) | instid1(VALU_DEP_1)
	v_lshlrev_b32_e32 v180, 20, v180
	v_or3_b32 v181, v178, v181, v180
.LBB6_9528:                             ;   in Loop: Header=BB6_9048 Depth=2
	s_or_b32 exec_lo, exec_lo, s25
	s_waitcnt vmcnt(15) lgkmcnt(15)
	v_and_b32_e32 v180, 0xff, v177
	s_mov_b32 s7, 0
	s_mov_b32 s26, exec_lo
                                        ; implicit-def: $sgpr25
	s_delay_alu instid0(VALU_DEP_1)
	v_cmpx_lt_i16_e64 0x7f, v180
	s_xor_b32 s26, exec_lo, s26
	s_cbranch_execnz .LBB6_10242
; %bb.9529:                             ;   in Loop: Header=BB6_9048 Depth=2
	s_or_saveexec_b32 s26, s26
	v_mov_b32_e32 v178, s25
	s_xor_b32 exec_lo, exec_lo, s26
	s_cbranch_execnz .LBB6_10245
.LBB6_9530:                             ;   in Loop: Header=BB6_9048 Depth=2
	s_or_b32 exec_lo, exec_lo, s26
	s_and_saveexec_b32 s25, s7
	s_cbranch_execz .LBB6_9532
.LBB6_9531:                             ;   in Loop: Header=BB6_9048 Depth=2
	v_and_b32_e32 v178, 7, v177
	v_lshrrev_b16 v183, 3, v177
	s_delay_alu instid0(VALU_DEP_2) | instskip(NEXT) | instid1(VALU_DEP_1)
	v_clz_i32_u32_e32 v180, v178
	v_min_u32_e32 v180, 32, v180
	s_delay_alu instid0(VALU_DEP_1) | instskip(SKIP_1) | instid1(VALU_DEP_2)
	v_subrev_nc_u32_e32 v182, 28, v180
	v_sub_nc_u32_e32 v180, 29, v180
	v_lshlrev_b32_e32 v182, v182, v177
	s_delay_alu instid0(VALU_DEP_1) | instskip(SKIP_1) | instid1(VALU_DEP_1)
	v_and_b32_e32 v182, 7, v182
	v_and_b32_e32 v183, 15, v183
	v_cmp_eq_u32_e32 vcc_lo, 0, v183
	s_delay_alu instid0(VALU_DEP_3) | instskip(SKIP_1) | instid1(VALU_DEP_2)
	v_dual_cndmask_b32 v178, v178, v182 :: v_dual_lshlrev_b32 v177, 24, v177
	v_cndmask_b32_e32 v180, v183, v180, vcc_lo
	v_lshlrev_b32_e32 v178, 20, v178
	s_delay_alu instid0(VALU_DEP_3) | instskip(NEXT) | instid1(VALU_DEP_3)
	v_and_b32_e32 v177, 0x80000000, v177
	v_lshl_add_u32 v180, v180, 23, 0x3b800000
	s_delay_alu instid0(VALU_DEP_1)
	v_or3_b32 v178, v177, v180, v178
.LBB6_9532:                             ;   in Loop: Header=BB6_9048 Depth=2
	s_or_b32 exec_lo, exec_lo, s25
	s_delay_alu instid0(VALU_DEP_1) | instskip(NEXT) | instid1(VALU_DEP_1)
	v_dual_max_f32 v177, v178, v178 :: v_dual_max_f32 v178, v181, v181
	v_min_f32_e32 v181, v178, v177
.LBB6_9533:                             ;   in Loop: Header=BB6_9048 Depth=2
	s_waitcnt vmcnt(15) lgkmcnt(15)
	s_delay_alu instid0(VALU_DEP_1) | instskip(NEXT) | instid1(VALU_DEP_1)
	v_and_b32_e32 v177, 0x7f800000, v181
	v_cmp_ne_u32_e32 vcc_lo, 0x7f800000, v177
	v_mov_b32_e32 v177, 0x80
	s_and_saveexec_b32 s25, vcc_lo
	s_cbranch_execz .LBB6_9541
; %bb.9534:                             ;   in Loop: Header=BB6_9048 Depth=2
	v_mov_b32_e32 v177, 0
	s_mov_b32 s26, exec_lo
	v_cmpx_ne_u32_e32 0, v181
	s_cbranch_execz .LBB6_9540
; %bb.9535:                             ;   in Loop: Header=BB6_9048 Depth=2
	v_bfe_u32 v177, v181, 23, 8
	v_and_b32_e32 v178, 0x7fffff, v181
	s_delay_alu instid0(VALU_DEP_2) | instskip(SKIP_1) | instid1(VALU_DEP_3)
	v_sub_nc_u32_e32 v180, 0x78, v177
	v_cmp_gt_u32_e32 vcc_lo, 0x79, v177
	v_or_b32_e32 v182, 0x800000, v178
	s_delay_alu instid0(VALU_DEP_3) | instskip(SKIP_2) | instid1(VALU_DEP_3)
	v_cndmask_b32_e32 v180, 0, v180, vcc_lo
	v_cmp_eq_u32_e32 vcc_lo, 0, v177
	v_add_nc_u32_e32 v177, 0xffffff89, v177
	v_cndmask_b32_e64 v180, v180, 0x77, vcc_lo
	v_cndmask_b32_e32 v178, v182, v178, vcc_lo
	s_delay_alu instid0(VALU_DEP_3) | instskip(NEXT) | instid1(VALU_DEP_3)
	v_cndmask_b32_e64 v177, v177, 0xffffff8a, vcc_lo
	v_lshl_add_u32 v182, 0x100000, v180, -1
	s_delay_alu instid0(VALU_DEP_3) | instskip(SKIP_1) | instid1(VALU_DEP_4)
	v_lshrrev_b32_e32 v183, v180, v178
	v_lshlrev_b32_e64 v41, v180, 0x80000
	v_add_nc_u32_e32 v180, v180, v177
	s_delay_alu instid0(VALU_DEP_4) | instskip(NEXT) | instid1(VALU_DEP_4)
	v_and_b32_e32 v178, v182, v178
	v_bfe_u32 v40, v183, 20, 1
	s_delay_alu instid0(VALU_DEP_2) | instskip(NEXT) | instid1(VALU_DEP_2)
	v_cmp_eq_u32_e64 s7, v178, v41
	v_add_nc_u32_e32 v182, -1, v40
	s_delay_alu instid0(VALU_DEP_1) | instskip(SKIP_2) | instid1(VALU_DEP_2)
	v_cndmask_b32_e64 v178, 0, v182, s7
	v_lshrrev_b32_e32 v182, 23, v183
	s_mov_b32 s7, exec_lo
	v_add_nc_u32_e32 v178, v178, v183
	s_delay_alu instid0(VALU_DEP_2) | instskip(NEXT) | instid1(VALU_DEP_2)
	v_xor_b32_e32 v182, 1, v182
	v_and_b32_e32 v177, 0xfffff, v178
	s_delay_alu instid0(VALU_DEP_1) | instskip(NEXT) | instid1(VALU_DEP_3)
	v_add_nc_u32_e32 v178, v177, v183
                                        ; implicit-def: $vgpr177
	v_cmpx_ne_u32_e64 v180, v182
	s_xor_b32 s7, exec_lo, s7
; %bb.9536:                             ;   in Loop: Header=BB6_9048 Depth=2
	s_delay_alu instid0(VALU_DEP_2) | instskip(SKIP_2) | instid1(VALU_DEP_2)
	v_cmp_lt_u32_e32 vcc_lo, 0xffffff, v178
	v_sub_nc_u32_e32 v177, v180, v182
	v_cndmask_b32_e64 v180, 0, 1, vcc_lo
	v_add_co_ci_u32_e32 v177, vcc_lo, 0, v177, vcc_lo
	s_delay_alu instid0(VALU_DEP_2)
	v_lshrrev_b32_e32 v178, v180, v178
; %bb.9537:                             ;   in Loop: Header=BB6_9048 Depth=2
	s_and_not1_saveexec_b32 s7, s7
; %bb.9538:                             ;   in Loop: Header=BB6_9048 Depth=2
	s_delay_alu instid0(VALU_DEP_1)
	v_bfe_u32 v177, v178, 23, 1
; %bb.9539:                             ;   in Loop: Header=BB6_9048 Depth=2
	s_or_b32 exec_lo, exec_lo, s7
	v_lshrrev_b32_e32 v178, 20, v178
	s_delay_alu instid0(VALU_DEP_2) | instskip(SKIP_2) | instid1(VALU_DEP_1)
	v_cmp_gt_i32_e32 vcc_lo, 16, v177
	v_lshrrev_b32_e32 v180, 24, v181
	v_min_i32_e32 v181, 15, v177
	v_dual_cndmask_b32 v178, 7, v178 :: v_dual_lshlrev_b32 v181, 3, v181
	s_delay_alu instid0(VALU_DEP_1) | instskip(SKIP_1) | instid1(VALU_DEP_2)
	v_or_b32_e32 v177, v177, v178
	v_and_b32_e32 v182, 7, v178
	v_cmp_ne_u32_e32 vcc_lo, 0, v177
	v_and_b32_e32 v180, 0x80, v180
	s_delay_alu instid0(VALU_DEP_1) | instskip(NEXT) | instid1(VALU_DEP_1)
	v_or3_b32 v178, v181, v180, v182
	v_cndmask_b32_e32 v177, 0, v178, vcc_lo
.LBB6_9540:                             ;   in Loop: Header=BB6_9048 Depth=2
	s_or_b32 exec_lo, exec_lo, s26
.LBB6_9541:                             ;   in Loop: Header=BB6_9048 Depth=2
	s_delay_alu instid0(SALU_CYCLE_1) | instskip(SKIP_2) | instid1(VALU_DEP_1)
	s_or_b32 exec_lo, exec_lo, s25
	v_and_b32_e32 v178, 0xff, v167
	s_and_not1_b32 vcc_lo, exec_lo, s23
	v_cmp_lt_i16_e64 s7, 0x7f, v178
	s_cbranch_vccnz .LBB6_9551
; %bb.9542:                             ;   in Loop: Header=BB6_9048 Depth=2
	s_mov_b32 s25, 0
                                        ; implicit-def: $sgpr26
	s_delay_alu instid0(VALU_DEP_1) | instskip(NEXT) | instid1(SALU_CYCLE_1)
	s_and_saveexec_b32 s27, s7
	s_xor_b32 s7, exec_lo, s27
	s_cbranch_execnz .LBB6_10246
; %bb.9543:                             ;   in Loop: Header=BB6_9048 Depth=2
	s_or_saveexec_b32 s7, s7
	v_mov_b32_e32 v180, s26
	s_xor_b32 exec_lo, exec_lo, s7
	s_cbranch_execnz .LBB6_10249
.LBB6_9544:                             ;   in Loop: Header=BB6_9048 Depth=2
	s_or_b32 exec_lo, exec_lo, s7
	s_and_saveexec_b32 s7, s25
	s_cbranch_execz .LBB6_9546
.LBB6_9545:                             ;   in Loop: Header=BB6_9048 Depth=2
	v_lshrrev_b16 v183, 3, v167
	v_lshlrev_b32_e32 v40, 24, v167
	s_delay_alu instid0(VALU_DEP_2) | instskip(NEXT) | instid1(VALU_DEP_1)
	v_and_b32_e32 v183, 15, v183
	v_cmp_eq_u32_e32 vcc_lo, 0, v183
	v_and_b32_e32 v180, 7, v167
	s_delay_alu instid0(VALU_DEP_1) | instskip(NEXT) | instid1(VALU_DEP_1)
	v_clz_i32_u32_e32 v181, v180
	v_min_u32_e32 v181, 32, v181
	s_delay_alu instid0(VALU_DEP_1) | instskip(SKIP_1) | instid1(VALU_DEP_1)
	v_subrev_nc_u32_e32 v182, 28, v181
	v_sub_nc_u32_e32 v181, 29, v181
	v_dual_cndmask_b32 v181, v183, v181 :: v_dual_lshlrev_b32 v182, v182, v167
	s_delay_alu instid0(VALU_DEP_1) | instskip(NEXT) | instid1(VALU_DEP_2)
	v_and_b32_e32 v182, 7, v182
	v_lshl_add_u32 v181, v181, 23, 0x3b800000
	s_delay_alu instid0(VALU_DEP_2) | instskip(SKIP_1) | instid1(VALU_DEP_2)
	v_cndmask_b32_e32 v180, v180, v182, vcc_lo
	v_and_b32_e32 v182, 0x80000000, v40
	v_lshlrev_b32_e32 v180, 20, v180
	s_delay_alu instid0(VALU_DEP_1)
	v_or3_b32 v180, v182, v181, v180
.LBB6_9546:                             ;   in Loop: Header=BB6_9048 Depth=2
	s_or_b32 exec_lo, exec_lo, s7
	s_waitcnt vmcnt(14) lgkmcnt(14)
	v_and_b32_e32 v182, 0xff, v166
	s_mov_b32 s7, 0
	s_mov_b32 s26, exec_lo
                                        ; implicit-def: $sgpr25
	s_delay_alu instid0(VALU_DEP_1)
	v_cmpx_lt_i16_e64 0x7f, v182
	s_xor_b32 s26, exec_lo, s26
	s_cbranch_execnz .LBB6_10250
; %bb.9547:                             ;   in Loop: Header=BB6_9048 Depth=2
	s_or_saveexec_b32 s26, s26
	v_mov_b32_e32 v181, s25
	s_xor_b32 exec_lo, exec_lo, s26
	s_cbranch_execnz .LBB6_10253
.LBB6_9548:                             ;   in Loop: Header=BB6_9048 Depth=2
	s_or_b32 exec_lo, exec_lo, s26
	s_and_saveexec_b32 s25, s7
	s_cbranch_execz .LBB6_9550
.LBB6_9549:                             ;   in Loop: Header=BB6_9048 Depth=2
	v_and_b32_e32 v181, 7, v166
	v_lshrrev_b16 v40, 3, v166
	v_lshlrev_b32_e32 v41, 24, v166
	s_delay_alu instid0(VALU_DEP_3) | instskip(NEXT) | instid1(VALU_DEP_1)
	v_clz_i32_u32_e32 v182, v181
	v_min_u32_e32 v182, 32, v182
	s_delay_alu instid0(VALU_DEP_1) | instskip(SKIP_1) | instid1(VALU_DEP_2)
	v_subrev_nc_u32_e32 v183, 28, v182
	v_sub_nc_u32_e32 v182, 29, v182
	v_lshlrev_b32_e32 v183, v183, v166
	s_delay_alu instid0(VALU_DEP_1) | instskip(SKIP_1) | instid1(VALU_DEP_1)
	v_and_b32_e32 v183, 7, v183
	v_and_b32_e32 v40, 15, v40
	v_cmp_eq_u32_e32 vcc_lo, 0, v40
	s_delay_alu instid0(VALU_DEP_3) | instskip(SKIP_1) | instid1(VALU_DEP_2)
	v_dual_cndmask_b32 v181, v181, v183 :: v_dual_cndmask_b32 v182, v40, v182
	v_and_b32_e32 v183, 0x80000000, v41
	v_lshlrev_b32_e32 v181, 20, v181
	s_delay_alu instid0(VALU_DEP_3) | instskip(NEXT) | instid1(VALU_DEP_1)
	v_lshl_add_u32 v182, v182, 23, 0x3b800000
	v_or3_b32 v181, v183, v182, v181
.LBB6_9550:                             ;   in Loop: Header=BB6_9048 Depth=2
	s_or_b32 exec_lo, exec_lo, s25
	s_delay_alu instid0(VALU_DEP_1) | instskip(SKIP_1) | instid1(VALU_DEP_1)
	v_dual_max_f32 v181, v181, v181 :: v_dual_max_f32 v180, v180, v180
	s_mov_b32 s7, 0
	v_max_f32_e32 v180, v180, v181
	s_branch .LBB6_9552
.LBB6_9551:                             ;   in Loop: Header=BB6_9048 Depth=2
	s_mov_b32 s7, -1
                                        ; implicit-def: $vgpr180
.LBB6_9552:                             ;   in Loop: Header=BB6_9048 Depth=2
	s_delay_alu instid0(SALU_CYCLE_1)
	s_and_b32 vcc_lo, exec_lo, s7
	s_cbranch_vccz .LBB6_9562
; %bb.9553:                             ;   in Loop: Header=BB6_9048 Depth=2
	s_mov_b32 s7, 0
	s_mov_b32 s26, exec_lo
                                        ; implicit-def: $sgpr25
	v_cmpx_lt_i16_e64 0x7f, v178
	s_xor_b32 s26, exec_lo, s26
	s_cbranch_execnz .LBB6_10254
; %bb.9554:                             ;   in Loop: Header=BB6_9048 Depth=2
	s_or_saveexec_b32 s26, s26
	v_mov_b32_e32 v180, s25
	s_xor_b32 exec_lo, exec_lo, s26
	s_cbranch_execnz .LBB6_10257
.LBB6_9555:                             ;   in Loop: Header=BB6_9048 Depth=2
	s_or_b32 exec_lo, exec_lo, s26
	s_and_saveexec_b32 s25, s7
	s_cbranch_execz .LBB6_9557
.LBB6_9556:                             ;   in Loop: Header=BB6_9048 Depth=2
	v_and_b32_e32 v178, 7, v167
	v_lshrrev_b16 v182, 3, v167
	s_delay_alu instid0(VALU_DEP_2) | instskip(NEXT) | instid1(VALU_DEP_2)
	v_clz_i32_u32_e32 v180, v178
	v_and_b32_e32 v182, 15, v182
	s_delay_alu instid0(VALU_DEP_2) | instskip(NEXT) | instid1(VALU_DEP_2)
	v_min_u32_e32 v180, 32, v180
	v_cmp_eq_u32_e32 vcc_lo, 0, v182
	s_delay_alu instid0(VALU_DEP_2) | instskip(SKIP_1) | instid1(VALU_DEP_1)
	v_subrev_nc_u32_e32 v181, 28, v180
	v_sub_nc_u32_e32 v180, 29, v180
	v_dual_cndmask_b32 v180, v182, v180 :: v_dual_lshlrev_b32 v181, v181, v167
	s_delay_alu instid0(VALU_DEP_1) | instskip(SKIP_1) | instid1(VALU_DEP_3)
	v_and_b32_e32 v181, 7, v181
	v_lshlrev_b32_e32 v167, 24, v167
	v_lshl_add_u32 v180, v180, 23, 0x3b800000
	s_delay_alu instid0(VALU_DEP_2) | instskip(NEXT) | instid1(VALU_DEP_1)
	v_dual_cndmask_b32 v178, v178, v181 :: v_dual_and_b32 v167, 0x80000000, v167
	v_lshlrev_b32_e32 v178, 20, v178
	s_delay_alu instid0(VALU_DEP_1)
	v_or3_b32 v180, v167, v180, v178
.LBB6_9557:                             ;   in Loop: Header=BB6_9048 Depth=2
	s_or_b32 exec_lo, exec_lo, s25
	s_waitcnt vmcnt(14) lgkmcnt(14)
	v_and_b32_e32 v178, 0xff, v166
	s_mov_b32 s7, 0
	s_mov_b32 s26, exec_lo
                                        ; implicit-def: $sgpr25
	s_delay_alu instid0(VALU_DEP_1)
	v_cmpx_lt_i16_e64 0x7f, v178
	s_xor_b32 s26, exec_lo, s26
	s_cbranch_execnz .LBB6_10258
; %bb.9558:                             ;   in Loop: Header=BB6_9048 Depth=2
	s_or_saveexec_b32 s26, s26
	v_mov_b32_e32 v167, s25
	s_xor_b32 exec_lo, exec_lo, s26
	s_cbranch_execnz .LBB6_10261
.LBB6_9559:                             ;   in Loop: Header=BB6_9048 Depth=2
	s_or_b32 exec_lo, exec_lo, s26
	s_and_saveexec_b32 s25, s7
	s_cbranch_execz .LBB6_9561
.LBB6_9560:                             ;   in Loop: Header=BB6_9048 Depth=2
	v_and_b32_e32 v167, 7, v166
	v_lshrrev_b16 v182, 3, v166
	s_delay_alu instid0(VALU_DEP_2) | instskip(NEXT) | instid1(VALU_DEP_1)
	v_clz_i32_u32_e32 v178, v167
	v_min_u32_e32 v178, 32, v178
	s_delay_alu instid0(VALU_DEP_1) | instskip(SKIP_1) | instid1(VALU_DEP_2)
	v_subrev_nc_u32_e32 v181, 28, v178
	v_sub_nc_u32_e32 v178, 29, v178
	v_lshlrev_b32_e32 v181, v181, v166
	v_lshlrev_b32_e32 v166, 24, v166
	s_delay_alu instid0(VALU_DEP_2) | instskip(SKIP_1) | instid1(VALU_DEP_3)
	v_and_b32_e32 v181, 7, v181
	v_and_b32_e32 v182, 15, v182
	;; [unrolled: 1-line block ×3, first 2 shown]
	s_delay_alu instid0(VALU_DEP_2) | instskip(NEXT) | instid1(VALU_DEP_4)
	v_cmp_eq_u32_e32 vcc_lo, 0, v182
	v_dual_cndmask_b32 v167, v167, v181 :: v_dual_cndmask_b32 v178, v182, v178
	s_delay_alu instid0(VALU_DEP_1) | instskip(NEXT) | instid1(VALU_DEP_2)
	v_lshlrev_b32_e32 v167, 20, v167
	v_lshl_add_u32 v178, v178, 23, 0x3b800000
	s_delay_alu instid0(VALU_DEP_1)
	v_or3_b32 v167, v166, v178, v167
.LBB6_9561:                             ;   in Loop: Header=BB6_9048 Depth=2
	s_or_b32 exec_lo, exec_lo, s25
	s_delay_alu instid0(VALU_DEP_1) | instskip(NEXT) | instid1(VALU_DEP_1)
	v_dual_max_f32 v166, v167, v167 :: v_dual_max_f32 v167, v180, v180
	v_min_f32_e32 v180, v167, v166
.LBB6_9562:                             ;   in Loop: Header=BB6_9048 Depth=2
	s_waitcnt vmcnt(14) lgkmcnt(14)
	s_delay_alu instid0(VALU_DEP_1) | instskip(NEXT) | instid1(VALU_DEP_1)
	v_and_b32_e32 v166, 0x7f800000, v180
	v_cmp_ne_u32_e32 vcc_lo, 0x7f800000, v166
	v_mov_b32_e32 v166, 0x80
	s_and_saveexec_b32 s25, vcc_lo
	s_cbranch_execz .LBB6_9570
; %bb.9563:                             ;   in Loop: Header=BB6_9048 Depth=2
	v_mov_b32_e32 v166, 0
	s_mov_b32 s26, exec_lo
	v_cmpx_ne_u32_e32 0, v180
	s_cbranch_execz .LBB6_9569
; %bb.9564:                             ;   in Loop: Header=BB6_9048 Depth=2
	v_bfe_u32 v166, v180, 23, 8
	s_delay_alu instid0(VALU_DEP_1) | instskip(SKIP_1) | instid1(VALU_DEP_2)
	v_sub_nc_u32_e32 v178, 0x78, v166
	v_cmp_gt_u32_e32 vcc_lo, 0x79, v166
	v_dual_cndmask_b32 v178, 0, v178 :: v_dual_and_b32 v167, 0x7fffff, v180
	s_delay_alu instid0(VALU_DEP_1) | instskip(SKIP_2) | instid1(VALU_DEP_4)
	v_or_b32_e32 v181, 0x800000, v167
	v_cmp_eq_u32_e32 vcc_lo, 0, v166
	v_add_nc_u32_e32 v166, 0xffffff89, v166
	v_cndmask_b32_e64 v178, v178, 0x77, vcc_lo
	s_delay_alu instid0(VALU_DEP_4) | instskip(NEXT) | instid1(VALU_DEP_3)
	v_cndmask_b32_e32 v167, v181, v167, vcc_lo
	v_cndmask_b32_e64 v166, v166, 0xffffff8a, vcc_lo
	s_delay_alu instid0(VALU_DEP_3) | instskip(NEXT) | instid1(VALU_DEP_3)
	v_lshl_add_u32 v181, 0x100000, v178, -1
	v_lshrrev_b32_e32 v182, v178, v167
	v_lshlrev_b32_e64 v40, v178, 0x80000
	s_delay_alu instid0(VALU_DEP_4) | instskip(NEXT) | instid1(VALU_DEP_4)
	v_add_nc_u32_e32 v178, v178, v166
	v_and_b32_e32 v167, v181, v167
	s_delay_alu instid0(VALU_DEP_4) | instskip(NEXT) | instid1(VALU_DEP_2)
	v_bfe_u32 v183, v182, 20, 1
	v_cmp_eq_u32_e64 s7, v167, v40
	s_delay_alu instid0(VALU_DEP_2) | instskip(NEXT) | instid1(VALU_DEP_1)
	v_add_nc_u32_e32 v181, -1, v183
	v_cndmask_b32_e64 v167, 0, v181, s7
	v_lshrrev_b32_e32 v181, 23, v182
	s_mov_b32 s7, exec_lo
	s_delay_alu instid0(VALU_DEP_2) | instskip(NEXT) | instid1(VALU_DEP_2)
	v_add_nc_u32_e32 v167, v167, v182
	v_xor_b32_e32 v181, 1, v181
	s_delay_alu instid0(VALU_DEP_2) | instskip(NEXT) | instid1(VALU_DEP_1)
	v_and_b32_e32 v166, 0xfffff, v167
	v_add_nc_u32_e32 v167, v166, v182
                                        ; implicit-def: $vgpr166
	s_delay_alu instid0(VALU_DEP_3)
	v_cmpx_ne_u32_e64 v178, v181
	s_xor_b32 s7, exec_lo, s7
; %bb.9565:                             ;   in Loop: Header=BB6_9048 Depth=2
	s_delay_alu instid0(VALU_DEP_2) | instskip(SKIP_2) | instid1(VALU_DEP_2)
	v_cmp_lt_u32_e32 vcc_lo, 0xffffff, v167
	v_sub_nc_u32_e32 v166, v178, v181
	v_cndmask_b32_e64 v178, 0, 1, vcc_lo
	v_add_co_ci_u32_e32 v166, vcc_lo, 0, v166, vcc_lo
	s_delay_alu instid0(VALU_DEP_2)
	v_lshrrev_b32_e32 v167, v178, v167
; %bb.9566:                             ;   in Loop: Header=BB6_9048 Depth=2
	s_and_not1_saveexec_b32 s7, s7
; %bb.9567:                             ;   in Loop: Header=BB6_9048 Depth=2
	s_delay_alu instid0(VALU_DEP_1)
	v_bfe_u32 v166, v167, 23, 1
; %bb.9568:                             ;   in Loop: Header=BB6_9048 Depth=2
	s_or_b32 exec_lo, exec_lo, s7
	v_lshrrev_b32_e32 v167, 20, v167
	s_delay_alu instid0(VALU_DEP_2) | instskip(SKIP_2) | instid1(VALU_DEP_2)
	v_cmp_gt_i32_e32 vcc_lo, 16, v166
	v_lshrrev_b32_e32 v178, 24, v180
	v_min_i32_e32 v180, 15, v166
	v_dual_cndmask_b32 v167, 7, v167 :: v_dual_and_b32 v178, 0x80, v178
	s_delay_alu instid0(VALU_DEP_2) | instskip(NEXT) | instid1(VALU_DEP_2)
	v_lshlrev_b32_e32 v180, 3, v180
	v_and_b32_e32 v181, 7, v167
	v_or_b32_e32 v166, v166, v167
	s_delay_alu instid0(VALU_DEP_2) | instskip(NEXT) | instid1(VALU_DEP_2)
	v_or3_b32 v167, v180, v178, v181
	v_cmp_ne_u32_e32 vcc_lo, 0, v166
	s_delay_alu instid0(VALU_DEP_2)
	v_cndmask_b32_e32 v166, 0, v167, vcc_lo
.LBB6_9569:                             ;   in Loop: Header=BB6_9048 Depth=2
	s_or_b32 exec_lo, exec_lo, s26
.LBB6_9570:                             ;   in Loop: Header=BB6_9048 Depth=2
	s_delay_alu instid0(SALU_CYCLE_1) | instskip(SKIP_2) | instid1(VALU_DEP_1)
	s_or_b32 exec_lo, exec_lo, s25
	v_and_b32_e32 v167, 0xff, v164
	s_and_not1_b32 vcc_lo, exec_lo, s23
	v_cmp_lt_i16_e64 s7, 0x7f, v167
	s_cbranch_vccnz .LBB6_9580
; %bb.9571:                             ;   in Loop: Header=BB6_9048 Depth=2
	s_mov_b32 s25, 0
                                        ; implicit-def: $sgpr26
	s_delay_alu instid0(VALU_DEP_1) | instskip(NEXT) | instid1(SALU_CYCLE_1)
	s_and_saveexec_b32 s27, s7
	s_xor_b32 s7, exec_lo, s27
	s_cbranch_execnz .LBB6_10262
; %bb.9572:                             ;   in Loop: Header=BB6_9048 Depth=2
	s_or_saveexec_b32 s7, s7
	v_mov_b32_e32 v178, s26
	s_xor_b32 exec_lo, exec_lo, s7
	s_cbranch_execnz .LBB6_10265
.LBB6_9573:                             ;   in Loop: Header=BB6_9048 Depth=2
	s_or_b32 exec_lo, exec_lo, s7
	s_and_saveexec_b32 s7, s25
	s_cbranch_execz .LBB6_9575
.LBB6_9574:                             ;   in Loop: Header=BB6_9048 Depth=2
	v_and_b32_e32 v178, 7, v164
	v_lshrrev_b16 v182, 3, v164
	s_delay_alu instid0(VALU_DEP_2) | instskip(NEXT) | instid1(VALU_DEP_2)
	v_clz_i32_u32_e32 v180, v178
	v_and_b32_e32 v182, 15, v182
	s_delay_alu instid0(VALU_DEP_2) | instskip(NEXT) | instid1(VALU_DEP_2)
	v_min_u32_e32 v180, 32, v180
	v_cmp_eq_u32_e32 vcc_lo, 0, v182
	s_delay_alu instid0(VALU_DEP_2) | instskip(SKIP_1) | instid1(VALU_DEP_2)
	v_subrev_nc_u32_e32 v181, 28, v180
	v_sub_nc_u32_e32 v180, 29, v180
	v_lshlrev_b32_e32 v181, v181, v164
	s_delay_alu instid0(VALU_DEP_1) | instskip(SKIP_1) | instid1(VALU_DEP_2)
	v_dual_cndmask_b32 v180, v182, v180 :: v_dual_and_b32 v181, 7, v181
	v_lshlrev_b32_e32 v183, 24, v164
	v_lshl_add_u32 v180, v180, 23, 0x3b800000
	s_delay_alu instid0(VALU_DEP_2) | instskip(NEXT) | instid1(VALU_DEP_1)
	v_dual_cndmask_b32 v178, v178, v181 :: v_dual_and_b32 v181, 0x80000000, v183
	v_lshlrev_b32_e32 v178, 20, v178
	s_delay_alu instid0(VALU_DEP_1)
	v_or3_b32 v178, v181, v180, v178
.LBB6_9575:                             ;   in Loop: Header=BB6_9048 Depth=2
	s_or_b32 exec_lo, exec_lo, s7
	s_waitcnt vmcnt(13) lgkmcnt(13)
	v_and_b32_e32 v181, 0xff, v163
	s_mov_b32 s7, 0
	s_mov_b32 s26, exec_lo
                                        ; implicit-def: $sgpr25
	s_delay_alu instid0(VALU_DEP_1)
	v_cmpx_lt_i16_e64 0x7f, v181
	s_xor_b32 s26, exec_lo, s26
	s_cbranch_execnz .LBB6_10266
; %bb.9576:                             ;   in Loop: Header=BB6_9048 Depth=2
	s_or_saveexec_b32 s26, s26
	v_mov_b32_e32 v180, s25
	s_xor_b32 exec_lo, exec_lo, s26
	s_cbranch_execnz .LBB6_10269
.LBB6_9577:                             ;   in Loop: Header=BB6_9048 Depth=2
	s_or_b32 exec_lo, exec_lo, s26
	s_and_saveexec_b32 s25, s7
	s_cbranch_execz .LBB6_9579
.LBB6_9578:                             ;   in Loop: Header=BB6_9048 Depth=2
	v_lshrrev_b16 v183, 3, v163
	v_lshlrev_b32_e32 v40, 24, v163
	s_delay_alu instid0(VALU_DEP_2) | instskip(NEXT) | instid1(VALU_DEP_1)
	v_and_b32_e32 v183, 15, v183
	v_cmp_eq_u32_e32 vcc_lo, 0, v183
	v_and_b32_e32 v180, 7, v163
	s_delay_alu instid0(VALU_DEP_1) | instskip(NEXT) | instid1(VALU_DEP_1)
	v_clz_i32_u32_e32 v181, v180
	v_min_u32_e32 v181, 32, v181
	s_delay_alu instid0(VALU_DEP_1) | instskip(SKIP_1) | instid1(VALU_DEP_1)
	v_subrev_nc_u32_e32 v182, 28, v181
	v_sub_nc_u32_e32 v181, 29, v181
	v_dual_cndmask_b32 v181, v183, v181 :: v_dual_lshlrev_b32 v182, v182, v163
	s_delay_alu instid0(VALU_DEP_1) | instskip(NEXT) | instid1(VALU_DEP_2)
	v_and_b32_e32 v182, 7, v182
	v_lshl_add_u32 v181, v181, 23, 0x3b800000
	s_delay_alu instid0(VALU_DEP_2) | instskip(SKIP_1) | instid1(VALU_DEP_2)
	v_cndmask_b32_e32 v180, v180, v182, vcc_lo
	v_and_b32_e32 v182, 0x80000000, v40
	v_lshlrev_b32_e32 v180, 20, v180
	s_delay_alu instid0(VALU_DEP_1)
	v_or3_b32 v180, v182, v181, v180
.LBB6_9579:                             ;   in Loop: Header=BB6_9048 Depth=2
	s_or_b32 exec_lo, exec_lo, s25
	s_delay_alu instid0(VALU_DEP_1) | instskip(SKIP_2) | instid1(VALU_DEP_1)
	v_max_f32_e32 v180, v180, v180
	v_max_f32_e32 v178, v178, v178
	s_mov_b32 s7, 0
	v_max_f32_e32 v178, v178, v180
	s_branch .LBB6_9581
.LBB6_9580:                             ;   in Loop: Header=BB6_9048 Depth=2
	s_mov_b32 s7, -1
                                        ; implicit-def: $vgpr178
.LBB6_9581:                             ;   in Loop: Header=BB6_9048 Depth=2
	s_delay_alu instid0(SALU_CYCLE_1)
	s_and_b32 vcc_lo, exec_lo, s7
	s_cbranch_vccz .LBB6_9591
; %bb.9582:                             ;   in Loop: Header=BB6_9048 Depth=2
	s_mov_b32 s7, 0
	s_mov_b32 s26, exec_lo
                                        ; implicit-def: $sgpr25
	v_cmpx_lt_i16_e64 0x7f, v167
	s_xor_b32 s26, exec_lo, s26
	s_cbranch_execnz .LBB6_10270
; %bb.9583:                             ;   in Loop: Header=BB6_9048 Depth=2
	s_or_saveexec_b32 s26, s26
	v_mov_b32_e32 v178, s25
	s_xor_b32 exec_lo, exec_lo, s26
	s_cbranch_execnz .LBB6_10273
.LBB6_9584:                             ;   in Loop: Header=BB6_9048 Depth=2
	s_or_b32 exec_lo, exec_lo, s26
	s_and_saveexec_b32 s25, s7
	s_cbranch_execz .LBB6_9586
.LBB6_9585:                             ;   in Loop: Header=BB6_9048 Depth=2
	v_lshrrev_b16 v181, 3, v164
	s_delay_alu instid0(VALU_DEP_1) | instskip(NEXT) | instid1(VALU_DEP_1)
	v_and_b32_e32 v181, 15, v181
	v_cmp_eq_u32_e32 vcc_lo, 0, v181
	v_and_b32_e32 v167, 7, v164
	s_delay_alu instid0(VALU_DEP_1) | instskip(NEXT) | instid1(VALU_DEP_1)
	v_clz_i32_u32_e32 v178, v167
	v_min_u32_e32 v178, 32, v178
	s_delay_alu instid0(VALU_DEP_1) | instskip(SKIP_1) | instid1(VALU_DEP_2)
	v_subrev_nc_u32_e32 v180, 28, v178
	v_sub_nc_u32_e32 v178, 29, v178
	v_lshlrev_b32_e32 v180, v180, v164
	s_delay_alu instid0(VALU_DEP_2) | instskip(SKIP_1) | instid1(VALU_DEP_3)
	v_cndmask_b32_e32 v178, v181, v178, vcc_lo
	v_lshlrev_b32_e32 v164, 24, v164
	v_and_b32_e32 v180, 7, v180
	s_delay_alu instid0(VALU_DEP_3) | instskip(NEXT) | instid1(VALU_DEP_3)
	v_lshl_add_u32 v178, v178, 23, 0x3b800000
	v_and_b32_e32 v164, 0x80000000, v164
	s_delay_alu instid0(VALU_DEP_3) | instskip(NEXT) | instid1(VALU_DEP_1)
	v_cndmask_b32_e32 v167, v167, v180, vcc_lo
	v_lshlrev_b32_e32 v167, 20, v167
	s_delay_alu instid0(VALU_DEP_1)
	v_or3_b32 v178, v164, v178, v167
.LBB6_9586:                             ;   in Loop: Header=BB6_9048 Depth=2
	s_or_b32 exec_lo, exec_lo, s25
	s_waitcnt vmcnt(13) lgkmcnt(13)
	v_and_b32_e32 v167, 0xff, v163
	s_mov_b32 s7, 0
	s_mov_b32 s26, exec_lo
                                        ; implicit-def: $sgpr25
	s_delay_alu instid0(VALU_DEP_1)
	v_cmpx_lt_i16_e64 0x7f, v167
	s_xor_b32 s26, exec_lo, s26
	s_cbranch_execnz .LBB6_10274
; %bb.9587:                             ;   in Loop: Header=BB6_9048 Depth=2
	s_or_saveexec_b32 s26, s26
	v_mov_b32_e32 v164, s25
	s_xor_b32 exec_lo, exec_lo, s26
	s_cbranch_execnz .LBB6_10277
.LBB6_9588:                             ;   in Loop: Header=BB6_9048 Depth=2
	s_or_b32 exec_lo, exec_lo, s26
	s_and_saveexec_b32 s25, s7
	s_cbranch_execz .LBB6_9590
.LBB6_9589:                             ;   in Loop: Header=BB6_9048 Depth=2
	v_and_b32_e32 v164, 7, v163
	v_lshrrev_b16 v181, 3, v163
	s_delay_alu instid0(VALU_DEP_2) | instskip(NEXT) | instid1(VALU_DEP_1)
	v_clz_i32_u32_e32 v167, v164
	v_min_u32_e32 v167, 32, v167
	s_delay_alu instid0(VALU_DEP_1) | instskip(SKIP_1) | instid1(VALU_DEP_2)
	v_subrev_nc_u32_e32 v180, 28, v167
	v_sub_nc_u32_e32 v167, 29, v167
	v_lshlrev_b32_e32 v180, v180, v163
	v_lshlrev_b32_e32 v163, 24, v163
	s_delay_alu instid0(VALU_DEP_2) | instskip(SKIP_1) | instid1(VALU_DEP_3)
	v_and_b32_e32 v180, 7, v180
	v_and_b32_e32 v181, 15, v181
	;; [unrolled: 1-line block ×3, first 2 shown]
	s_delay_alu instid0(VALU_DEP_2) | instskip(NEXT) | instid1(VALU_DEP_4)
	v_cmp_eq_u32_e32 vcc_lo, 0, v181
	v_dual_cndmask_b32 v164, v164, v180 :: v_dual_cndmask_b32 v167, v181, v167
	s_delay_alu instid0(VALU_DEP_1) | instskip(NEXT) | instid1(VALU_DEP_2)
	v_lshlrev_b32_e32 v164, 20, v164
	v_lshl_add_u32 v167, v167, 23, 0x3b800000
	s_delay_alu instid0(VALU_DEP_1)
	v_or3_b32 v164, v163, v167, v164
.LBB6_9590:                             ;   in Loop: Header=BB6_9048 Depth=2
	s_or_b32 exec_lo, exec_lo, s25
	s_delay_alu instid0(VALU_DEP_1) | instskip(NEXT) | instid1(VALU_DEP_1)
	v_dual_max_f32 v163, v164, v164 :: v_dual_max_f32 v164, v178, v178
	v_min_f32_e32 v178, v164, v163
.LBB6_9591:                             ;   in Loop: Header=BB6_9048 Depth=2
	s_waitcnt vmcnt(13) lgkmcnt(13)
	s_delay_alu instid0(VALU_DEP_1) | instskip(NEXT) | instid1(VALU_DEP_1)
	v_and_b32_e32 v163, 0x7f800000, v178
	v_cmp_ne_u32_e32 vcc_lo, 0x7f800000, v163
	v_mov_b32_e32 v163, 0x80
	s_and_saveexec_b32 s25, vcc_lo
	s_cbranch_execz .LBB6_9599
; %bb.9592:                             ;   in Loop: Header=BB6_9048 Depth=2
	v_mov_b32_e32 v163, 0
	s_mov_b32 s26, exec_lo
	v_cmpx_ne_u32_e32 0, v178
	s_cbranch_execz .LBB6_9598
; %bb.9593:                             ;   in Loop: Header=BB6_9048 Depth=2
	v_bfe_u32 v163, v178, 23, 8
	s_delay_alu instid0(VALU_DEP_1) | instskip(SKIP_1) | instid1(VALU_DEP_2)
	v_sub_nc_u32_e32 v167, 0x78, v163
	v_cmp_gt_u32_e32 vcc_lo, 0x79, v163
	v_dual_cndmask_b32 v167, 0, v167 :: v_dual_and_b32 v164, 0x7fffff, v178
	s_delay_alu instid0(VALU_DEP_1) | instskip(SKIP_2) | instid1(VALU_DEP_4)
	v_or_b32_e32 v180, 0x800000, v164
	v_cmp_eq_u32_e32 vcc_lo, 0, v163
	v_add_nc_u32_e32 v163, 0xffffff89, v163
	v_cndmask_b32_e64 v167, v167, 0x77, vcc_lo
	s_delay_alu instid0(VALU_DEP_4) | instskip(NEXT) | instid1(VALU_DEP_3)
	v_cndmask_b32_e32 v164, v180, v164, vcc_lo
	v_cndmask_b32_e64 v163, v163, 0xffffff8a, vcc_lo
	s_delay_alu instid0(VALU_DEP_3) | instskip(NEXT) | instid1(VALU_DEP_3)
	v_lshl_add_u32 v180, 0x100000, v167, -1
	v_lshrrev_b32_e32 v181, v167, v164
	v_lshlrev_b32_e64 v183, v167, 0x80000
	s_delay_alu instid0(VALU_DEP_4) | instskip(NEXT) | instid1(VALU_DEP_4)
	v_add_nc_u32_e32 v167, v167, v163
	v_and_b32_e32 v164, v180, v164
	s_delay_alu instid0(VALU_DEP_4) | instskip(NEXT) | instid1(VALU_DEP_2)
	v_bfe_u32 v182, v181, 20, 1
	v_cmp_eq_u32_e64 s7, v164, v183
	s_delay_alu instid0(VALU_DEP_2) | instskip(NEXT) | instid1(VALU_DEP_1)
	v_add_nc_u32_e32 v180, -1, v182
	v_cndmask_b32_e64 v164, 0, v180, s7
	v_lshrrev_b32_e32 v180, 23, v181
	s_mov_b32 s7, exec_lo
	s_delay_alu instid0(VALU_DEP_2) | instskip(NEXT) | instid1(VALU_DEP_2)
	v_add_nc_u32_e32 v164, v164, v181
	v_xor_b32_e32 v180, 1, v180
	s_delay_alu instid0(VALU_DEP_2) | instskip(NEXT) | instid1(VALU_DEP_1)
	v_and_b32_e32 v163, 0xfffff, v164
	v_add_nc_u32_e32 v164, v163, v181
                                        ; implicit-def: $vgpr163
	s_delay_alu instid0(VALU_DEP_3)
	v_cmpx_ne_u32_e64 v167, v180
	s_xor_b32 s7, exec_lo, s7
; %bb.9594:                             ;   in Loop: Header=BB6_9048 Depth=2
	s_delay_alu instid0(VALU_DEP_2) | instskip(SKIP_2) | instid1(VALU_DEP_2)
	v_cmp_lt_u32_e32 vcc_lo, 0xffffff, v164
	v_sub_nc_u32_e32 v163, v167, v180
	v_cndmask_b32_e64 v167, 0, 1, vcc_lo
	v_add_co_ci_u32_e32 v163, vcc_lo, 0, v163, vcc_lo
	s_delay_alu instid0(VALU_DEP_2)
	v_lshrrev_b32_e32 v164, v167, v164
; %bb.9595:                             ;   in Loop: Header=BB6_9048 Depth=2
	s_and_not1_saveexec_b32 s7, s7
; %bb.9596:                             ;   in Loop: Header=BB6_9048 Depth=2
	s_delay_alu instid0(VALU_DEP_1)
	v_bfe_u32 v163, v164, 23, 1
; %bb.9597:                             ;   in Loop: Header=BB6_9048 Depth=2
	s_or_b32 exec_lo, exec_lo, s7
	v_lshrrev_b32_e32 v164, 20, v164
	s_delay_alu instid0(VALU_DEP_2) | instskip(SKIP_2) | instid1(VALU_DEP_2)
	v_cmp_gt_i32_e32 vcc_lo, 16, v163
	v_lshrrev_b32_e32 v167, 24, v178
	v_min_i32_e32 v178, 15, v163
	v_dual_cndmask_b32 v164, 7, v164 :: v_dual_and_b32 v167, 0x80, v167
	s_delay_alu instid0(VALU_DEP_1) | instskip(SKIP_1) | instid1(VALU_DEP_2)
	v_or_b32_e32 v163, v163, v164
	v_and_b32_e32 v180, 7, v164
	v_cmp_ne_u32_e32 vcc_lo, 0, v163
	v_lshlrev_b32_e32 v178, 3, v178
	s_delay_alu instid0(VALU_DEP_1) | instskip(NEXT) | instid1(VALU_DEP_1)
	v_or3_b32 v164, v178, v167, v180
	v_cndmask_b32_e32 v163, 0, v164, vcc_lo
.LBB6_9598:                             ;   in Loop: Header=BB6_9048 Depth=2
	s_or_b32 exec_lo, exec_lo, s26
.LBB6_9599:                             ;   in Loop: Header=BB6_9048 Depth=2
	s_delay_alu instid0(SALU_CYCLE_1) | instskip(SKIP_2) | instid1(VALU_DEP_1)
	s_or_b32 exec_lo, exec_lo, s25
	v_and_b32_e32 v164, 0xff, v161
	s_and_not1_b32 vcc_lo, exec_lo, s23
	v_cmp_lt_i16_e64 s7, 0x7f, v164
	s_cbranch_vccnz .LBB6_9609
; %bb.9600:                             ;   in Loop: Header=BB6_9048 Depth=2
	s_mov_b32 s25, 0
                                        ; implicit-def: $sgpr26
	s_delay_alu instid0(VALU_DEP_1) | instskip(NEXT) | instid1(SALU_CYCLE_1)
	s_and_saveexec_b32 s27, s7
	s_xor_b32 s7, exec_lo, s27
	s_cbranch_execnz .LBB6_10278
; %bb.9601:                             ;   in Loop: Header=BB6_9048 Depth=2
	s_or_saveexec_b32 s7, s7
	v_mov_b32_e32 v167, s26
	s_xor_b32 exec_lo, exec_lo, s7
	s_cbranch_execnz .LBB6_10281
.LBB6_9602:                             ;   in Loop: Header=BB6_9048 Depth=2
	s_or_b32 exec_lo, exec_lo, s7
	s_and_saveexec_b32 s7, s25
	s_cbranch_execz .LBB6_9604
.LBB6_9603:                             ;   in Loop: Header=BB6_9048 Depth=2
	v_lshrrev_b16 v181, 3, v161
	s_delay_alu instid0(VALU_DEP_1) | instskip(NEXT) | instid1(VALU_DEP_1)
	v_and_b32_e32 v181, 15, v181
	v_cmp_eq_u32_e32 vcc_lo, 0, v181
	v_and_b32_e32 v167, 7, v161
	s_delay_alu instid0(VALU_DEP_1) | instskip(NEXT) | instid1(VALU_DEP_1)
	v_clz_i32_u32_e32 v178, v167
	v_min_u32_e32 v178, 32, v178
	s_delay_alu instid0(VALU_DEP_1) | instskip(SKIP_1) | instid1(VALU_DEP_2)
	v_subrev_nc_u32_e32 v180, 28, v178
	v_sub_nc_u32_e32 v178, 29, v178
	v_lshlrev_b32_e32 v180, v180, v161
	s_delay_alu instid0(VALU_DEP_2) | instskip(NEXT) | instid1(VALU_DEP_2)
	v_cndmask_b32_e32 v178, v181, v178, vcc_lo
	v_and_b32_e32 v180, 7, v180
	v_lshlrev_b32_e32 v182, 24, v161
	s_delay_alu instid0(VALU_DEP_3) | instskip(NEXT) | instid1(VALU_DEP_2)
	v_lshl_add_u32 v178, v178, 23, 0x3b800000
	v_dual_cndmask_b32 v167, v167, v180 :: v_dual_and_b32 v180, 0x80000000, v182
	s_delay_alu instid0(VALU_DEP_1) | instskip(NEXT) | instid1(VALU_DEP_1)
	v_lshlrev_b32_e32 v167, 20, v167
	v_or3_b32 v167, v180, v178, v167
.LBB6_9604:                             ;   in Loop: Header=BB6_9048 Depth=2
	s_or_b32 exec_lo, exec_lo, s7
	s_waitcnt vmcnt(12) lgkmcnt(12)
	v_and_b32_e32 v180, 0xff, v160
	s_mov_b32 s7, 0
	s_mov_b32 s26, exec_lo
                                        ; implicit-def: $sgpr25
	s_delay_alu instid0(VALU_DEP_1)
	v_cmpx_lt_i16_e64 0x7f, v180
	s_xor_b32 s26, exec_lo, s26
	s_cbranch_execnz .LBB6_10282
; %bb.9605:                             ;   in Loop: Header=BB6_9048 Depth=2
	s_or_saveexec_b32 s26, s26
	v_mov_b32_e32 v178, s25
	s_xor_b32 exec_lo, exec_lo, s26
	s_cbranch_execnz .LBB6_10285
.LBB6_9606:                             ;   in Loop: Header=BB6_9048 Depth=2
	s_or_b32 exec_lo, exec_lo, s26
	s_and_saveexec_b32 s25, s7
	s_cbranch_execz .LBB6_9608
.LBB6_9607:                             ;   in Loop: Header=BB6_9048 Depth=2
	v_and_b32_e32 v178, 7, v160
	v_lshrrev_b16 v182, 3, v160
	s_delay_alu instid0(VALU_DEP_2) | instskip(NEXT) | instid1(VALU_DEP_2)
	v_clz_i32_u32_e32 v180, v178
	v_and_b32_e32 v182, 15, v182
	s_delay_alu instid0(VALU_DEP_2) | instskip(NEXT) | instid1(VALU_DEP_2)
	v_min_u32_e32 v180, 32, v180
	v_cmp_eq_u32_e32 vcc_lo, 0, v182
	s_delay_alu instid0(VALU_DEP_2) | instskip(SKIP_1) | instid1(VALU_DEP_2)
	v_subrev_nc_u32_e32 v181, 28, v180
	v_sub_nc_u32_e32 v180, 29, v180
	v_lshlrev_b32_e32 v181, v181, v160
	s_delay_alu instid0(VALU_DEP_1) | instskip(SKIP_1) | instid1(VALU_DEP_2)
	v_dual_cndmask_b32 v180, v182, v180 :: v_dual_and_b32 v181, 7, v181
	v_lshlrev_b32_e32 v183, 24, v160
	v_lshl_add_u32 v180, v180, 23, 0x3b800000
	s_delay_alu instid0(VALU_DEP_2) | instskip(NEXT) | instid1(VALU_DEP_1)
	v_dual_cndmask_b32 v178, v178, v181 :: v_dual_and_b32 v181, 0x80000000, v183
	v_lshlrev_b32_e32 v178, 20, v178
	s_delay_alu instid0(VALU_DEP_1)
	v_or3_b32 v178, v181, v180, v178
.LBB6_9608:                             ;   in Loop: Header=BB6_9048 Depth=2
	s_or_b32 exec_lo, exec_lo, s25
	s_delay_alu instid0(VALU_DEP_1) | instskip(SKIP_1) | instid1(VALU_DEP_1)
	v_dual_max_f32 v178, v178, v178 :: v_dual_max_f32 v167, v167, v167
	s_mov_b32 s7, 0
	v_max_f32_e32 v167, v167, v178
	s_branch .LBB6_9610
.LBB6_9609:                             ;   in Loop: Header=BB6_9048 Depth=2
	s_mov_b32 s7, -1
                                        ; implicit-def: $vgpr167
.LBB6_9610:                             ;   in Loop: Header=BB6_9048 Depth=2
	s_delay_alu instid0(SALU_CYCLE_1)
	s_and_b32 vcc_lo, exec_lo, s7
	s_cbranch_vccz .LBB6_9620
; %bb.9611:                             ;   in Loop: Header=BB6_9048 Depth=2
	s_mov_b32 s7, 0
	s_mov_b32 s26, exec_lo
                                        ; implicit-def: $sgpr25
	v_cmpx_lt_i16_e64 0x7f, v164
	s_xor_b32 s26, exec_lo, s26
	s_cbranch_execnz .LBB6_10286
; %bb.9612:                             ;   in Loop: Header=BB6_9048 Depth=2
	s_or_saveexec_b32 s26, s26
	v_mov_b32_e32 v167, s25
	s_xor_b32 exec_lo, exec_lo, s26
	s_cbranch_execnz .LBB6_10289
.LBB6_9613:                             ;   in Loop: Header=BB6_9048 Depth=2
	s_or_b32 exec_lo, exec_lo, s26
	s_and_saveexec_b32 s25, s7
	s_cbranch_execz .LBB6_9615
.LBB6_9614:                             ;   in Loop: Header=BB6_9048 Depth=2
	v_lshrrev_b16 v180, 3, v161
	s_delay_alu instid0(VALU_DEP_1) | instskip(NEXT) | instid1(VALU_DEP_1)
	v_and_b32_e32 v180, 15, v180
	v_cmp_eq_u32_e32 vcc_lo, 0, v180
	v_and_b32_e32 v164, 7, v161
	s_delay_alu instid0(VALU_DEP_1) | instskip(NEXT) | instid1(VALU_DEP_1)
	v_clz_i32_u32_e32 v167, v164
	v_min_u32_e32 v167, 32, v167
	s_delay_alu instid0(VALU_DEP_1) | instskip(SKIP_1) | instid1(VALU_DEP_1)
	v_subrev_nc_u32_e32 v178, 28, v167
	v_sub_nc_u32_e32 v167, 29, v167
	v_dual_cndmask_b32 v167, v180, v167 :: v_dual_lshlrev_b32 v178, v178, v161
	s_delay_alu instid0(VALU_DEP_1) | instskip(SKIP_1) | instid1(VALU_DEP_3)
	v_and_b32_e32 v178, 7, v178
	v_lshlrev_b32_e32 v161, 24, v161
	v_lshl_add_u32 v167, v167, 23, 0x3b800000
	s_delay_alu instid0(VALU_DEP_2) | instskip(NEXT) | instid1(VALU_DEP_1)
	v_dual_cndmask_b32 v164, v164, v178 :: v_dual_and_b32 v161, 0x80000000, v161
	v_lshlrev_b32_e32 v164, 20, v164
	s_delay_alu instid0(VALU_DEP_1)
	v_or3_b32 v167, v161, v167, v164
.LBB6_9615:                             ;   in Loop: Header=BB6_9048 Depth=2
	s_or_b32 exec_lo, exec_lo, s25
	s_waitcnt vmcnt(12) lgkmcnt(12)
	v_and_b32_e32 v164, 0xff, v160
	s_mov_b32 s7, 0
	s_mov_b32 s26, exec_lo
                                        ; implicit-def: $sgpr25
	s_delay_alu instid0(VALU_DEP_1)
	v_cmpx_lt_i16_e64 0x7f, v164
	s_xor_b32 s26, exec_lo, s26
	s_cbranch_execnz .LBB6_10290
; %bb.9616:                             ;   in Loop: Header=BB6_9048 Depth=2
	s_or_saveexec_b32 s26, s26
	v_mov_b32_e32 v161, s25
	s_xor_b32 exec_lo, exec_lo, s26
	s_cbranch_execnz .LBB6_10293
.LBB6_9617:                             ;   in Loop: Header=BB6_9048 Depth=2
	s_or_b32 exec_lo, exec_lo, s26
	s_and_saveexec_b32 s25, s7
	s_cbranch_execz .LBB6_9619
.LBB6_9618:                             ;   in Loop: Header=BB6_9048 Depth=2
	v_and_b32_e32 v161, 7, v160
	v_lshrrev_b16 v180, 3, v160
	s_delay_alu instid0(VALU_DEP_2) | instskip(NEXT) | instid1(VALU_DEP_1)
	v_clz_i32_u32_e32 v164, v161
	v_min_u32_e32 v164, 32, v164
	s_delay_alu instid0(VALU_DEP_1) | instskip(SKIP_1) | instid1(VALU_DEP_2)
	v_subrev_nc_u32_e32 v178, 28, v164
	v_sub_nc_u32_e32 v164, 29, v164
	v_lshlrev_b32_e32 v178, v178, v160
	v_lshlrev_b32_e32 v160, 24, v160
	s_delay_alu instid0(VALU_DEP_2) | instskip(SKIP_1) | instid1(VALU_DEP_3)
	v_and_b32_e32 v178, 7, v178
	v_and_b32_e32 v180, 15, v180
	;; [unrolled: 1-line block ×3, first 2 shown]
	s_delay_alu instid0(VALU_DEP_2) | instskip(NEXT) | instid1(VALU_DEP_4)
	v_cmp_eq_u32_e32 vcc_lo, 0, v180
	v_dual_cndmask_b32 v161, v161, v178 :: v_dual_cndmask_b32 v164, v180, v164
	s_delay_alu instid0(VALU_DEP_1) | instskip(NEXT) | instid1(VALU_DEP_2)
	v_lshlrev_b32_e32 v161, 20, v161
	v_lshl_add_u32 v164, v164, 23, 0x3b800000
	s_delay_alu instid0(VALU_DEP_1)
	v_or3_b32 v161, v160, v164, v161
.LBB6_9619:                             ;   in Loop: Header=BB6_9048 Depth=2
	s_or_b32 exec_lo, exec_lo, s25
	s_delay_alu instid0(VALU_DEP_1) | instskip(NEXT) | instid1(VALU_DEP_1)
	v_dual_max_f32 v160, v161, v161 :: v_dual_max_f32 v161, v167, v167
	v_min_f32_e32 v167, v161, v160
.LBB6_9620:                             ;   in Loop: Header=BB6_9048 Depth=2
	s_waitcnt vmcnt(12) lgkmcnt(12)
	s_delay_alu instid0(VALU_DEP_1) | instskip(NEXT) | instid1(VALU_DEP_1)
	v_and_b32_e32 v160, 0x7f800000, v167
	v_cmp_ne_u32_e32 vcc_lo, 0x7f800000, v160
	v_mov_b32_e32 v160, 0x80
	s_and_saveexec_b32 s25, vcc_lo
	s_cbranch_execz .LBB6_9628
; %bb.9621:                             ;   in Loop: Header=BB6_9048 Depth=2
	v_mov_b32_e32 v160, 0
	s_mov_b32 s26, exec_lo
	v_cmpx_ne_u32_e32 0, v167
	s_cbranch_execz .LBB6_9627
; %bb.9622:                             ;   in Loop: Header=BB6_9048 Depth=2
	v_bfe_u32 v160, v167, 23, 8
	s_delay_alu instid0(VALU_DEP_1) | instskip(SKIP_1) | instid1(VALU_DEP_2)
	v_sub_nc_u32_e32 v164, 0x78, v160
	v_cmp_gt_u32_e32 vcc_lo, 0x79, v160
	v_dual_cndmask_b32 v164, 0, v164 :: v_dual_and_b32 v161, 0x7fffff, v167
	s_delay_alu instid0(VALU_DEP_1) | instskip(SKIP_2) | instid1(VALU_DEP_4)
	v_or_b32_e32 v178, 0x800000, v161
	v_cmp_eq_u32_e32 vcc_lo, 0, v160
	v_add_nc_u32_e32 v160, 0xffffff89, v160
	v_cndmask_b32_e64 v164, v164, 0x77, vcc_lo
	s_delay_alu instid0(VALU_DEP_4) | instskip(NEXT) | instid1(VALU_DEP_3)
	v_cndmask_b32_e32 v161, v178, v161, vcc_lo
	v_cndmask_b32_e64 v160, v160, 0xffffff8a, vcc_lo
	s_delay_alu instid0(VALU_DEP_3) | instskip(NEXT) | instid1(VALU_DEP_3)
	v_lshl_add_u32 v178, 0x100000, v164, -1
	v_lshrrev_b32_e32 v180, v164, v161
	v_lshlrev_b32_e64 v182, v164, 0x80000
	s_delay_alu instid0(VALU_DEP_4) | instskip(NEXT) | instid1(VALU_DEP_4)
	v_add_nc_u32_e32 v164, v164, v160
	v_and_b32_e32 v161, v178, v161
	s_delay_alu instid0(VALU_DEP_4) | instskip(NEXT) | instid1(VALU_DEP_2)
	v_bfe_u32 v181, v180, 20, 1
	v_cmp_eq_u32_e64 s7, v161, v182
	s_delay_alu instid0(VALU_DEP_2) | instskip(NEXT) | instid1(VALU_DEP_1)
	v_add_nc_u32_e32 v178, -1, v181
	v_cndmask_b32_e64 v161, 0, v178, s7
	v_lshrrev_b32_e32 v178, 23, v180
	s_mov_b32 s7, exec_lo
	s_delay_alu instid0(VALU_DEP_2) | instskip(NEXT) | instid1(VALU_DEP_2)
	v_add_nc_u32_e32 v161, v161, v180
	v_xor_b32_e32 v178, 1, v178
	s_delay_alu instid0(VALU_DEP_2) | instskip(NEXT) | instid1(VALU_DEP_1)
	v_and_b32_e32 v160, 0xfffff, v161
	v_add_nc_u32_e32 v161, v160, v180
                                        ; implicit-def: $vgpr160
	s_delay_alu instid0(VALU_DEP_3)
	v_cmpx_ne_u32_e64 v164, v178
	s_xor_b32 s7, exec_lo, s7
; %bb.9623:                             ;   in Loop: Header=BB6_9048 Depth=2
	s_delay_alu instid0(VALU_DEP_2) | instskip(SKIP_2) | instid1(VALU_DEP_2)
	v_cmp_lt_u32_e32 vcc_lo, 0xffffff, v161
	v_sub_nc_u32_e32 v160, v164, v178
	v_cndmask_b32_e64 v164, 0, 1, vcc_lo
	v_add_co_ci_u32_e32 v160, vcc_lo, 0, v160, vcc_lo
	s_delay_alu instid0(VALU_DEP_2)
	v_lshrrev_b32_e32 v161, v164, v161
; %bb.9624:                             ;   in Loop: Header=BB6_9048 Depth=2
	s_and_not1_saveexec_b32 s7, s7
; %bb.9625:                             ;   in Loop: Header=BB6_9048 Depth=2
	s_delay_alu instid0(VALU_DEP_1)
	v_bfe_u32 v160, v161, 23, 1
; %bb.9626:                             ;   in Loop: Header=BB6_9048 Depth=2
	s_or_b32 exec_lo, exec_lo, s7
	v_lshrrev_b32_e32 v161, 20, v161
	s_delay_alu instid0(VALU_DEP_2) | instskip(SKIP_2) | instid1(VALU_DEP_2)
	v_cmp_gt_i32_e32 vcc_lo, 16, v160
	v_lshrrev_b32_e32 v164, 24, v167
	v_min_i32_e32 v167, 15, v160
	v_dual_cndmask_b32 v161, 7, v161 :: v_dual_and_b32 v164, 0x80, v164
	s_delay_alu instid0(VALU_DEP_1) | instskip(SKIP_1) | instid1(VALU_DEP_2)
	v_or_b32_e32 v160, v160, v161
	v_and_b32_e32 v178, 7, v161
	v_cmp_ne_u32_e32 vcc_lo, 0, v160
	v_lshlrev_b32_e32 v167, 3, v167
	s_delay_alu instid0(VALU_DEP_1) | instskip(NEXT) | instid1(VALU_DEP_1)
	v_or3_b32 v161, v167, v164, v178
	v_cndmask_b32_e32 v160, 0, v161, vcc_lo
.LBB6_9627:                             ;   in Loop: Header=BB6_9048 Depth=2
	s_or_b32 exec_lo, exec_lo, s26
.LBB6_9628:                             ;   in Loop: Header=BB6_9048 Depth=2
	s_delay_alu instid0(SALU_CYCLE_1) | instskip(SKIP_2) | instid1(VALU_DEP_1)
	s_or_b32 exec_lo, exec_lo, s25
	v_and_b32_e32 v161, 0xff, v150
	s_and_not1_b32 vcc_lo, exec_lo, s23
	v_cmp_lt_i16_e64 s7, 0x7f, v161
	s_cbranch_vccnz .LBB6_9638
; %bb.9629:                             ;   in Loop: Header=BB6_9048 Depth=2
	s_mov_b32 s25, 0
                                        ; implicit-def: $sgpr26
	s_delay_alu instid0(VALU_DEP_1) | instskip(NEXT) | instid1(SALU_CYCLE_1)
	s_and_saveexec_b32 s27, s7
	s_xor_b32 s7, exec_lo, s27
	s_cbranch_execnz .LBB6_10294
; %bb.9630:                             ;   in Loop: Header=BB6_9048 Depth=2
	s_or_saveexec_b32 s7, s7
	v_mov_b32_e32 v164, s26
	s_xor_b32 exec_lo, exec_lo, s7
	s_cbranch_execnz .LBB6_10297
.LBB6_9631:                             ;   in Loop: Header=BB6_9048 Depth=2
	s_or_b32 exec_lo, exec_lo, s7
	s_and_saveexec_b32 s7, s25
	s_cbranch_execz .LBB6_9633
.LBB6_9632:                             ;   in Loop: Header=BB6_9048 Depth=2
	v_lshrrev_b16 v180, 3, v150
	v_lshlrev_b32_e32 v181, 24, v150
	s_delay_alu instid0(VALU_DEP_2) | instskip(NEXT) | instid1(VALU_DEP_1)
	v_and_b32_e32 v180, 15, v180
	v_cmp_eq_u32_e32 vcc_lo, 0, v180
	v_and_b32_e32 v164, 7, v150
	s_delay_alu instid0(VALU_DEP_1) | instskip(NEXT) | instid1(VALU_DEP_1)
	v_clz_i32_u32_e32 v167, v164
	v_min_u32_e32 v167, 32, v167
	s_delay_alu instid0(VALU_DEP_1) | instskip(SKIP_1) | instid1(VALU_DEP_1)
	v_subrev_nc_u32_e32 v178, 28, v167
	v_sub_nc_u32_e32 v167, 29, v167
	v_dual_cndmask_b32 v167, v180, v167 :: v_dual_lshlrev_b32 v178, v178, v150
	s_delay_alu instid0(VALU_DEP_1) | instskip(NEXT) | instid1(VALU_DEP_2)
	v_and_b32_e32 v178, 7, v178
	v_lshl_add_u32 v167, v167, 23, 0x3b800000
	s_delay_alu instid0(VALU_DEP_2) | instskip(SKIP_1) | instid1(VALU_DEP_2)
	v_cndmask_b32_e32 v164, v164, v178, vcc_lo
	v_and_b32_e32 v178, 0x80000000, v181
	v_lshlrev_b32_e32 v164, 20, v164
	s_delay_alu instid0(VALU_DEP_1)
	v_or3_b32 v164, v178, v167, v164
.LBB6_9633:                             ;   in Loop: Header=BB6_9048 Depth=2
	s_or_b32 exec_lo, exec_lo, s7
	s_waitcnt vmcnt(11) lgkmcnt(11)
	v_and_b32_e32 v178, 0xff, v149
	s_mov_b32 s7, 0
	s_mov_b32 s26, exec_lo
                                        ; implicit-def: $sgpr25
	s_delay_alu instid0(VALU_DEP_1)
	v_cmpx_lt_i16_e64 0x7f, v178
	s_xor_b32 s26, exec_lo, s26
	s_cbranch_execnz .LBB6_10298
; %bb.9634:                             ;   in Loop: Header=BB6_9048 Depth=2
	s_or_saveexec_b32 s26, s26
	v_mov_b32_e32 v167, s25
	s_xor_b32 exec_lo, exec_lo, s26
	s_cbranch_execnz .LBB6_10301
.LBB6_9635:                             ;   in Loop: Header=BB6_9048 Depth=2
	s_or_b32 exec_lo, exec_lo, s26
	s_and_saveexec_b32 s25, s7
	s_cbranch_execz .LBB6_9637
.LBB6_9636:                             ;   in Loop: Header=BB6_9048 Depth=2
	v_lshrrev_b16 v181, 3, v149
	s_delay_alu instid0(VALU_DEP_1) | instskip(NEXT) | instid1(VALU_DEP_1)
	v_and_b32_e32 v181, 15, v181
	v_cmp_eq_u32_e32 vcc_lo, 0, v181
	v_and_b32_e32 v167, 7, v149
	s_delay_alu instid0(VALU_DEP_1) | instskip(NEXT) | instid1(VALU_DEP_1)
	v_clz_i32_u32_e32 v178, v167
	v_min_u32_e32 v178, 32, v178
	s_delay_alu instid0(VALU_DEP_1) | instskip(SKIP_1) | instid1(VALU_DEP_2)
	v_subrev_nc_u32_e32 v180, 28, v178
	v_sub_nc_u32_e32 v178, 29, v178
	v_lshlrev_b32_e32 v180, v180, v149
	s_delay_alu instid0(VALU_DEP_2) | instskip(NEXT) | instid1(VALU_DEP_2)
	v_cndmask_b32_e32 v178, v181, v178, vcc_lo
	v_and_b32_e32 v180, 7, v180
	v_lshlrev_b32_e32 v182, 24, v149
	s_delay_alu instid0(VALU_DEP_3) | instskip(NEXT) | instid1(VALU_DEP_2)
	v_lshl_add_u32 v178, v178, 23, 0x3b800000
	v_dual_cndmask_b32 v167, v167, v180 :: v_dual_and_b32 v180, 0x80000000, v182
	s_delay_alu instid0(VALU_DEP_1) | instskip(NEXT) | instid1(VALU_DEP_1)
	v_lshlrev_b32_e32 v167, 20, v167
	v_or3_b32 v167, v180, v178, v167
.LBB6_9637:                             ;   in Loop: Header=BB6_9048 Depth=2
	s_or_b32 exec_lo, exec_lo, s25
	s_delay_alu instid0(VALU_DEP_1) | instskip(SKIP_1) | instid1(VALU_DEP_1)
	v_dual_max_f32 v167, v167, v167 :: v_dual_max_f32 v164, v164, v164
	s_mov_b32 s7, 0
	v_max_f32_e32 v164, v164, v167
	s_branch .LBB6_9639
.LBB6_9638:                             ;   in Loop: Header=BB6_9048 Depth=2
	s_mov_b32 s7, -1
                                        ; implicit-def: $vgpr164
.LBB6_9639:                             ;   in Loop: Header=BB6_9048 Depth=2
	s_delay_alu instid0(SALU_CYCLE_1)
	s_and_b32 vcc_lo, exec_lo, s7
	s_cbranch_vccz .LBB6_9649
; %bb.9640:                             ;   in Loop: Header=BB6_9048 Depth=2
	s_mov_b32 s7, 0
	s_mov_b32 s26, exec_lo
                                        ; implicit-def: $sgpr25
	v_cmpx_lt_i16_e64 0x7f, v161
	s_xor_b32 s26, exec_lo, s26
	s_cbranch_execnz .LBB6_10302
; %bb.9641:                             ;   in Loop: Header=BB6_9048 Depth=2
	s_or_saveexec_b32 s26, s26
	v_mov_b32_e32 v164, s25
	s_xor_b32 exec_lo, exec_lo, s26
	s_cbranch_execnz .LBB6_10305
.LBB6_9642:                             ;   in Loop: Header=BB6_9048 Depth=2
	s_or_b32 exec_lo, exec_lo, s26
	s_and_saveexec_b32 s25, s7
	s_cbranch_execz .LBB6_9644
.LBB6_9643:                             ;   in Loop: Header=BB6_9048 Depth=2
	v_lshrrev_b16 v178, 3, v150
	s_delay_alu instid0(VALU_DEP_1) | instskip(NEXT) | instid1(VALU_DEP_1)
	v_and_b32_e32 v178, 15, v178
	v_cmp_eq_u32_e32 vcc_lo, 0, v178
	v_and_b32_e32 v161, 7, v150
	s_delay_alu instid0(VALU_DEP_1) | instskip(NEXT) | instid1(VALU_DEP_1)
	v_clz_i32_u32_e32 v164, v161
	v_min_u32_e32 v164, 32, v164
	s_delay_alu instid0(VALU_DEP_1) | instskip(SKIP_1) | instid1(VALU_DEP_1)
	v_subrev_nc_u32_e32 v167, 28, v164
	v_sub_nc_u32_e32 v164, 29, v164
	v_dual_cndmask_b32 v164, v178, v164 :: v_dual_lshlrev_b32 v167, v167, v150
	v_lshlrev_b32_e32 v150, 24, v150
	s_delay_alu instid0(VALU_DEP_2) | instskip(NEXT) | instid1(VALU_DEP_3)
	v_and_b32_e32 v167, 7, v167
	v_lshl_add_u32 v164, v164, 23, 0x3b800000
	s_delay_alu instid0(VALU_DEP_2) | instskip(NEXT) | instid1(VALU_DEP_1)
	v_dual_cndmask_b32 v161, v161, v167 :: v_dual_and_b32 v150, 0x80000000, v150
	v_lshlrev_b32_e32 v161, 20, v161
	s_delay_alu instid0(VALU_DEP_1)
	v_or3_b32 v164, v150, v164, v161
.LBB6_9644:                             ;   in Loop: Header=BB6_9048 Depth=2
	s_or_b32 exec_lo, exec_lo, s25
	s_waitcnt vmcnt(11) lgkmcnt(11)
	v_and_b32_e32 v161, 0xff, v149
	s_mov_b32 s7, 0
	s_mov_b32 s26, exec_lo
                                        ; implicit-def: $sgpr25
	s_delay_alu instid0(VALU_DEP_1)
	v_cmpx_lt_i16_e64 0x7f, v161
	s_xor_b32 s26, exec_lo, s26
	s_cbranch_execnz .LBB6_10306
; %bb.9645:                             ;   in Loop: Header=BB6_9048 Depth=2
	s_or_saveexec_b32 s26, s26
	v_mov_b32_e32 v150, s25
	s_xor_b32 exec_lo, exec_lo, s26
	s_cbranch_execnz .LBB6_10309
.LBB6_9646:                             ;   in Loop: Header=BB6_9048 Depth=2
	s_or_b32 exec_lo, exec_lo, s26
	s_and_saveexec_b32 s25, s7
	s_cbranch_execz .LBB6_9648
.LBB6_9647:                             ;   in Loop: Header=BB6_9048 Depth=2
	v_and_b32_e32 v150, 7, v149
	v_lshrrev_b16 v178, 3, v149
	s_delay_alu instid0(VALU_DEP_2) | instskip(NEXT) | instid1(VALU_DEP_2)
	v_clz_i32_u32_e32 v161, v150
	v_and_b32_e32 v178, 15, v178
	s_delay_alu instid0(VALU_DEP_2) | instskip(NEXT) | instid1(VALU_DEP_2)
	v_min_u32_e32 v161, 32, v161
	v_cmp_eq_u32_e32 vcc_lo, 0, v178
	s_delay_alu instid0(VALU_DEP_2) | instskip(SKIP_1) | instid1(VALU_DEP_2)
	v_subrev_nc_u32_e32 v167, 28, v161
	v_sub_nc_u32_e32 v161, 29, v161
	v_lshlrev_b32_e32 v167, v167, v149
	s_delay_alu instid0(VALU_DEP_1) | instskip(NEXT) | instid1(VALU_DEP_1)
	v_and_b32_e32 v167, 7, v167
	v_dual_cndmask_b32 v150, v150, v167 :: v_dual_lshlrev_b32 v149, 24, v149
	s_delay_alu instid0(VALU_DEP_4) | instskip(NEXT) | instid1(VALU_DEP_2)
	v_cndmask_b32_e32 v161, v178, v161, vcc_lo
	v_and_b32_e32 v149, 0x80000000, v149
	s_delay_alu instid0(VALU_DEP_3) | instskip(NEXT) | instid1(VALU_DEP_3)
	v_lshlrev_b32_e32 v150, 20, v150
	v_lshl_add_u32 v161, v161, 23, 0x3b800000
	s_delay_alu instid0(VALU_DEP_1)
	v_or3_b32 v150, v149, v161, v150
.LBB6_9648:                             ;   in Loop: Header=BB6_9048 Depth=2
	s_or_b32 exec_lo, exec_lo, s25
	s_delay_alu instid0(VALU_DEP_1) | instskip(NEXT) | instid1(VALU_DEP_1)
	v_dual_max_f32 v149, v150, v150 :: v_dual_max_f32 v150, v164, v164
	v_min_f32_e32 v164, v150, v149
.LBB6_9649:                             ;   in Loop: Header=BB6_9048 Depth=2
	s_waitcnt vmcnt(11) lgkmcnt(11)
	s_delay_alu instid0(VALU_DEP_1) | instskip(NEXT) | instid1(VALU_DEP_1)
	v_and_b32_e32 v149, 0x7f800000, v164
	v_cmp_ne_u32_e32 vcc_lo, 0x7f800000, v149
	v_mov_b32_e32 v149, 0x80
	s_and_saveexec_b32 s25, vcc_lo
	s_cbranch_execz .LBB6_9657
; %bb.9650:                             ;   in Loop: Header=BB6_9048 Depth=2
	v_mov_b32_e32 v149, 0
	s_mov_b32 s26, exec_lo
	v_cmpx_ne_u32_e32 0, v164
	s_cbranch_execz .LBB6_9656
; %bb.9651:                             ;   in Loop: Header=BB6_9048 Depth=2
	v_bfe_u32 v149, v164, 23, 8
	s_delay_alu instid0(VALU_DEP_1) | instskip(SKIP_1) | instid1(VALU_DEP_2)
	v_sub_nc_u32_e32 v161, 0x78, v149
	v_cmp_gt_u32_e32 vcc_lo, 0x79, v149
	v_dual_cndmask_b32 v161, 0, v161 :: v_dual_and_b32 v150, 0x7fffff, v164
	s_delay_alu instid0(VALU_DEP_1) | instskip(SKIP_2) | instid1(VALU_DEP_4)
	v_or_b32_e32 v167, 0x800000, v150
	v_cmp_eq_u32_e32 vcc_lo, 0, v149
	v_add_nc_u32_e32 v149, 0xffffff89, v149
	v_cndmask_b32_e64 v161, v161, 0x77, vcc_lo
	s_delay_alu instid0(VALU_DEP_4) | instskip(NEXT) | instid1(VALU_DEP_3)
	v_cndmask_b32_e32 v150, v167, v150, vcc_lo
	v_cndmask_b32_e64 v149, v149, 0xffffff8a, vcc_lo
	s_delay_alu instid0(VALU_DEP_3) | instskip(NEXT) | instid1(VALU_DEP_3)
	v_lshl_add_u32 v167, 0x100000, v161, -1
	v_lshrrev_b32_e32 v178, v161, v150
	v_lshlrev_b32_e64 v181, v161, 0x80000
	s_delay_alu instid0(VALU_DEP_4) | instskip(NEXT) | instid1(VALU_DEP_4)
	v_add_nc_u32_e32 v161, v161, v149
	v_and_b32_e32 v150, v167, v150
	s_delay_alu instid0(VALU_DEP_4) | instskip(NEXT) | instid1(VALU_DEP_2)
	v_bfe_u32 v180, v178, 20, 1
	v_cmp_eq_u32_e64 s7, v150, v181
	s_delay_alu instid0(VALU_DEP_2) | instskip(NEXT) | instid1(VALU_DEP_1)
	v_add_nc_u32_e32 v167, -1, v180
	v_cndmask_b32_e64 v150, 0, v167, s7
	v_lshrrev_b32_e32 v167, 23, v178
	s_mov_b32 s7, exec_lo
	s_delay_alu instid0(VALU_DEP_2) | instskip(NEXT) | instid1(VALU_DEP_2)
	v_add_nc_u32_e32 v150, v150, v178
	v_xor_b32_e32 v167, 1, v167
	s_delay_alu instid0(VALU_DEP_2) | instskip(NEXT) | instid1(VALU_DEP_1)
	v_and_b32_e32 v149, 0xfffff, v150
	v_add_nc_u32_e32 v150, v149, v178
                                        ; implicit-def: $vgpr149
	s_delay_alu instid0(VALU_DEP_3)
	v_cmpx_ne_u32_e64 v161, v167
	s_xor_b32 s7, exec_lo, s7
; %bb.9652:                             ;   in Loop: Header=BB6_9048 Depth=2
	s_delay_alu instid0(VALU_DEP_2) | instskip(SKIP_2) | instid1(VALU_DEP_2)
	v_cmp_lt_u32_e32 vcc_lo, 0xffffff, v150
	v_sub_nc_u32_e32 v149, v161, v167
	v_cndmask_b32_e64 v161, 0, 1, vcc_lo
	v_add_co_ci_u32_e32 v149, vcc_lo, 0, v149, vcc_lo
	s_delay_alu instid0(VALU_DEP_2)
	v_lshrrev_b32_e32 v150, v161, v150
; %bb.9653:                             ;   in Loop: Header=BB6_9048 Depth=2
	s_and_not1_saveexec_b32 s7, s7
; %bb.9654:                             ;   in Loop: Header=BB6_9048 Depth=2
	s_delay_alu instid0(VALU_DEP_1)
	v_bfe_u32 v149, v150, 23, 1
; %bb.9655:                             ;   in Loop: Header=BB6_9048 Depth=2
	s_or_b32 exec_lo, exec_lo, s7
	v_lshrrev_b32_e32 v150, 20, v150
	s_delay_alu instid0(VALU_DEP_2) | instskip(SKIP_2) | instid1(VALU_DEP_2)
	v_cmp_gt_i32_e32 vcc_lo, 16, v149
	v_lshrrev_b32_e32 v161, 24, v164
	v_min_i32_e32 v164, 15, v149
	v_dual_cndmask_b32 v150, 7, v150 :: v_dual_and_b32 v161, 0x80, v161
	s_delay_alu instid0(VALU_DEP_1) | instskip(SKIP_1) | instid1(VALU_DEP_2)
	v_or_b32_e32 v149, v149, v150
	v_and_b32_e32 v167, 7, v150
	v_cmp_ne_u32_e32 vcc_lo, 0, v149
	v_lshlrev_b32_e32 v164, 3, v164
	s_delay_alu instid0(VALU_DEP_1) | instskip(NEXT) | instid1(VALU_DEP_1)
	v_or3_b32 v150, v164, v161, v167
	v_cndmask_b32_e32 v149, 0, v150, vcc_lo
.LBB6_9656:                             ;   in Loop: Header=BB6_9048 Depth=2
	s_or_b32 exec_lo, exec_lo, s26
.LBB6_9657:                             ;   in Loop: Header=BB6_9048 Depth=2
	s_delay_alu instid0(SALU_CYCLE_1) | instskip(SKIP_2) | instid1(VALU_DEP_1)
	s_or_b32 exec_lo, exec_lo, s25
	v_and_b32_e32 v150, 0xff, v147
	s_and_not1_b32 vcc_lo, exec_lo, s23
	v_cmp_lt_i16_e64 s7, 0x7f, v150
	s_cbranch_vccnz .LBB6_9667
; %bb.9658:                             ;   in Loop: Header=BB6_9048 Depth=2
	s_mov_b32 s25, 0
                                        ; implicit-def: $sgpr26
	s_delay_alu instid0(VALU_DEP_1) | instskip(NEXT) | instid1(SALU_CYCLE_1)
	s_and_saveexec_b32 s27, s7
	s_xor_b32 s7, exec_lo, s27
	s_cbranch_execnz .LBB6_10310
; %bb.9659:                             ;   in Loop: Header=BB6_9048 Depth=2
	s_or_saveexec_b32 s7, s7
	v_mov_b32_e32 v161, s26
	s_xor_b32 exec_lo, exec_lo, s7
	s_cbranch_execnz .LBB6_10313
.LBB6_9660:                             ;   in Loop: Header=BB6_9048 Depth=2
	s_or_b32 exec_lo, exec_lo, s7
	s_and_saveexec_b32 s7, s25
	s_cbranch_execz .LBB6_9662
.LBB6_9661:                             ;   in Loop: Header=BB6_9048 Depth=2
	v_lshrrev_b16 v178, 3, v147
	v_lshlrev_b32_e32 v180, 24, v147
	s_delay_alu instid0(VALU_DEP_2) | instskip(NEXT) | instid1(VALU_DEP_1)
	v_and_b32_e32 v178, 15, v178
	v_cmp_eq_u32_e32 vcc_lo, 0, v178
	v_and_b32_e32 v161, 7, v147
	s_delay_alu instid0(VALU_DEP_1) | instskip(NEXT) | instid1(VALU_DEP_1)
	v_clz_i32_u32_e32 v164, v161
	v_min_u32_e32 v164, 32, v164
	s_delay_alu instid0(VALU_DEP_1) | instskip(SKIP_1) | instid1(VALU_DEP_1)
	v_subrev_nc_u32_e32 v167, 28, v164
	v_sub_nc_u32_e32 v164, 29, v164
	v_dual_cndmask_b32 v164, v178, v164 :: v_dual_lshlrev_b32 v167, v167, v147
	s_delay_alu instid0(VALU_DEP_1) | instskip(NEXT) | instid1(VALU_DEP_2)
	v_and_b32_e32 v167, 7, v167
	v_lshl_add_u32 v164, v164, 23, 0x3b800000
	s_delay_alu instid0(VALU_DEP_2) | instskip(SKIP_1) | instid1(VALU_DEP_2)
	v_cndmask_b32_e32 v161, v161, v167, vcc_lo
	v_and_b32_e32 v167, 0x80000000, v180
	v_lshlrev_b32_e32 v161, 20, v161
	s_delay_alu instid0(VALU_DEP_1)
	v_or3_b32 v161, v167, v164, v161
.LBB6_9662:                             ;   in Loop: Header=BB6_9048 Depth=2
	s_or_b32 exec_lo, exec_lo, s7
	s_waitcnt vmcnt(10) lgkmcnt(10)
	v_and_b32_e32 v167, 0xff, v146
	s_mov_b32 s7, 0
	s_mov_b32 s26, exec_lo
                                        ; implicit-def: $sgpr25
	s_delay_alu instid0(VALU_DEP_1)
	v_cmpx_lt_i16_e64 0x7f, v167
	s_xor_b32 s26, exec_lo, s26
	s_cbranch_execnz .LBB6_10314
; %bb.9663:                             ;   in Loop: Header=BB6_9048 Depth=2
	s_or_saveexec_b32 s26, s26
	v_mov_b32_e32 v164, s25
	s_xor_b32 exec_lo, exec_lo, s26
	s_cbranch_execnz .LBB6_10317
.LBB6_9664:                             ;   in Loop: Header=BB6_9048 Depth=2
	s_or_b32 exec_lo, exec_lo, s26
	s_and_saveexec_b32 s25, s7
	s_cbranch_execz .LBB6_9666
.LBB6_9665:                             ;   in Loop: Header=BB6_9048 Depth=2
	v_lshrrev_b16 v180, 3, v146
	v_lshlrev_b32_e32 v181, 24, v146
	s_delay_alu instid0(VALU_DEP_2) | instskip(NEXT) | instid1(VALU_DEP_1)
	v_and_b32_e32 v180, 15, v180
	v_cmp_eq_u32_e32 vcc_lo, 0, v180
	v_and_b32_e32 v164, 7, v146
	s_delay_alu instid0(VALU_DEP_1) | instskip(NEXT) | instid1(VALU_DEP_1)
	v_clz_i32_u32_e32 v167, v164
	v_min_u32_e32 v167, 32, v167
	s_delay_alu instid0(VALU_DEP_1) | instskip(SKIP_1) | instid1(VALU_DEP_1)
	v_subrev_nc_u32_e32 v178, 28, v167
	v_sub_nc_u32_e32 v167, 29, v167
	v_dual_cndmask_b32 v167, v180, v167 :: v_dual_lshlrev_b32 v178, v178, v146
	s_delay_alu instid0(VALU_DEP_1) | instskip(NEXT) | instid1(VALU_DEP_2)
	v_and_b32_e32 v178, 7, v178
	v_lshl_add_u32 v167, v167, 23, 0x3b800000
	s_delay_alu instid0(VALU_DEP_2) | instskip(SKIP_1) | instid1(VALU_DEP_2)
	v_cndmask_b32_e32 v164, v164, v178, vcc_lo
	v_and_b32_e32 v178, 0x80000000, v181
	v_lshlrev_b32_e32 v164, 20, v164
	s_delay_alu instid0(VALU_DEP_1)
	v_or3_b32 v164, v178, v167, v164
.LBB6_9666:                             ;   in Loop: Header=BB6_9048 Depth=2
	s_or_b32 exec_lo, exec_lo, s25
	s_delay_alu instid0(VALU_DEP_1) | instskip(SKIP_1) | instid1(VALU_DEP_1)
	v_dual_max_f32 v164, v164, v164 :: v_dual_max_f32 v161, v161, v161
	s_mov_b32 s7, 0
	v_max_f32_e32 v161, v161, v164
	s_branch .LBB6_9668
.LBB6_9667:                             ;   in Loop: Header=BB6_9048 Depth=2
	s_mov_b32 s7, -1
                                        ; implicit-def: $vgpr161
.LBB6_9668:                             ;   in Loop: Header=BB6_9048 Depth=2
	s_delay_alu instid0(SALU_CYCLE_1)
	s_and_b32 vcc_lo, exec_lo, s7
	s_cbranch_vccz .LBB6_9678
; %bb.9669:                             ;   in Loop: Header=BB6_9048 Depth=2
	s_mov_b32 s7, 0
	s_mov_b32 s26, exec_lo
                                        ; implicit-def: $sgpr25
	v_cmpx_lt_i16_e64 0x7f, v150
	s_xor_b32 s26, exec_lo, s26
	s_cbranch_execnz .LBB6_10318
; %bb.9670:                             ;   in Loop: Header=BB6_9048 Depth=2
	s_or_saveexec_b32 s26, s26
	v_mov_b32_e32 v161, s25
	s_xor_b32 exec_lo, exec_lo, s26
	s_cbranch_execnz .LBB6_10321
.LBB6_9671:                             ;   in Loop: Header=BB6_9048 Depth=2
	s_or_b32 exec_lo, exec_lo, s26
	s_and_saveexec_b32 s25, s7
	s_cbranch_execz .LBB6_9673
.LBB6_9672:                             ;   in Loop: Header=BB6_9048 Depth=2
	v_lshrrev_b16 v167, 3, v147
	s_delay_alu instid0(VALU_DEP_1) | instskip(NEXT) | instid1(VALU_DEP_1)
	v_and_b32_e32 v167, 15, v167
	v_cmp_eq_u32_e32 vcc_lo, 0, v167
	v_and_b32_e32 v150, 7, v147
	s_delay_alu instid0(VALU_DEP_1) | instskip(NEXT) | instid1(VALU_DEP_1)
	v_clz_i32_u32_e32 v161, v150
	v_min_u32_e32 v161, 32, v161
	s_delay_alu instid0(VALU_DEP_1) | instskip(SKIP_1) | instid1(VALU_DEP_1)
	v_subrev_nc_u32_e32 v164, 28, v161
	v_sub_nc_u32_e32 v161, 29, v161
	v_dual_cndmask_b32 v161, v167, v161 :: v_dual_lshlrev_b32 v164, v164, v147
	v_lshlrev_b32_e32 v147, 24, v147
	s_delay_alu instid0(VALU_DEP_2) | instskip(NEXT) | instid1(VALU_DEP_3)
	v_and_b32_e32 v164, 7, v164
	v_lshl_add_u32 v161, v161, 23, 0x3b800000
	s_delay_alu instid0(VALU_DEP_2) | instskip(NEXT) | instid1(VALU_DEP_1)
	v_dual_cndmask_b32 v150, v150, v164 :: v_dual_and_b32 v147, 0x80000000, v147
	v_lshlrev_b32_e32 v150, 20, v150
	s_delay_alu instid0(VALU_DEP_1)
	v_or3_b32 v161, v147, v161, v150
.LBB6_9673:                             ;   in Loop: Header=BB6_9048 Depth=2
	s_or_b32 exec_lo, exec_lo, s25
	s_waitcnt vmcnt(10) lgkmcnt(10)
	v_and_b32_e32 v150, 0xff, v146
	s_mov_b32 s7, 0
	s_mov_b32 s26, exec_lo
                                        ; implicit-def: $sgpr25
	s_delay_alu instid0(VALU_DEP_1)
	v_cmpx_lt_i16_e64 0x7f, v150
	s_xor_b32 s26, exec_lo, s26
	s_cbranch_execnz .LBB6_10322
; %bb.9674:                             ;   in Loop: Header=BB6_9048 Depth=2
	s_or_saveexec_b32 s26, s26
	v_mov_b32_e32 v147, s25
	s_xor_b32 exec_lo, exec_lo, s26
	s_cbranch_execnz .LBB6_10325
.LBB6_9675:                             ;   in Loop: Header=BB6_9048 Depth=2
	s_or_b32 exec_lo, exec_lo, s26
	s_and_saveexec_b32 s25, s7
	s_cbranch_execz .LBB6_9677
.LBB6_9676:                             ;   in Loop: Header=BB6_9048 Depth=2
	v_and_b32_e32 v147, 7, v146
	v_lshrrev_b16 v167, 3, v146
	s_delay_alu instid0(VALU_DEP_2) | instskip(NEXT) | instid1(VALU_DEP_2)
	v_clz_i32_u32_e32 v150, v147
	v_and_b32_e32 v167, 15, v167
	s_delay_alu instid0(VALU_DEP_2) | instskip(NEXT) | instid1(VALU_DEP_2)
	v_min_u32_e32 v150, 32, v150
	v_cmp_eq_u32_e32 vcc_lo, 0, v167
	s_delay_alu instid0(VALU_DEP_2) | instskip(SKIP_1) | instid1(VALU_DEP_2)
	v_subrev_nc_u32_e32 v164, 28, v150
	v_sub_nc_u32_e32 v150, 29, v150
	v_lshlrev_b32_e32 v164, v164, v146
	s_delay_alu instid0(VALU_DEP_1) | instskip(NEXT) | instid1(VALU_DEP_1)
	v_and_b32_e32 v164, 7, v164
	v_dual_cndmask_b32 v147, v147, v164 :: v_dual_lshlrev_b32 v146, 24, v146
	s_delay_alu instid0(VALU_DEP_4) | instskip(NEXT) | instid1(VALU_DEP_2)
	v_cndmask_b32_e32 v150, v167, v150, vcc_lo
	v_and_b32_e32 v146, 0x80000000, v146
	s_delay_alu instid0(VALU_DEP_3) | instskip(NEXT) | instid1(VALU_DEP_3)
	v_lshlrev_b32_e32 v147, 20, v147
	v_lshl_add_u32 v150, v150, 23, 0x3b800000
	s_delay_alu instid0(VALU_DEP_1)
	v_or3_b32 v147, v146, v150, v147
.LBB6_9677:                             ;   in Loop: Header=BB6_9048 Depth=2
	s_or_b32 exec_lo, exec_lo, s25
	s_delay_alu instid0(VALU_DEP_1) | instskip(NEXT) | instid1(VALU_DEP_1)
	v_dual_max_f32 v146, v147, v147 :: v_dual_max_f32 v147, v161, v161
	v_min_f32_e32 v161, v147, v146
.LBB6_9678:                             ;   in Loop: Header=BB6_9048 Depth=2
	s_waitcnt vmcnt(10) lgkmcnt(10)
	s_delay_alu instid0(VALU_DEP_1) | instskip(NEXT) | instid1(VALU_DEP_1)
	v_and_b32_e32 v146, 0x7f800000, v161
	v_cmp_ne_u32_e32 vcc_lo, 0x7f800000, v146
	v_mov_b32_e32 v146, 0x80
	s_and_saveexec_b32 s25, vcc_lo
	s_cbranch_execz .LBB6_9686
; %bb.9679:                             ;   in Loop: Header=BB6_9048 Depth=2
	v_mov_b32_e32 v146, 0
	s_mov_b32 s26, exec_lo
	v_cmpx_ne_u32_e32 0, v161
	s_cbranch_execz .LBB6_9685
; %bb.9680:                             ;   in Loop: Header=BB6_9048 Depth=2
	v_bfe_u32 v146, v161, 23, 8
	s_delay_alu instid0(VALU_DEP_1) | instskip(SKIP_1) | instid1(VALU_DEP_2)
	v_sub_nc_u32_e32 v150, 0x78, v146
	v_cmp_gt_u32_e32 vcc_lo, 0x79, v146
	v_dual_cndmask_b32 v150, 0, v150 :: v_dual_and_b32 v147, 0x7fffff, v161
	s_delay_alu instid0(VALU_DEP_1) | instskip(SKIP_2) | instid1(VALU_DEP_4)
	v_or_b32_e32 v164, 0x800000, v147
	v_cmp_eq_u32_e32 vcc_lo, 0, v146
	v_add_nc_u32_e32 v146, 0xffffff89, v146
	v_cndmask_b32_e64 v150, v150, 0x77, vcc_lo
	s_delay_alu instid0(VALU_DEP_4) | instskip(NEXT) | instid1(VALU_DEP_3)
	v_cndmask_b32_e32 v147, v164, v147, vcc_lo
	v_cndmask_b32_e64 v146, v146, 0xffffff8a, vcc_lo
	s_delay_alu instid0(VALU_DEP_3) | instskip(NEXT) | instid1(VALU_DEP_3)
	v_lshl_add_u32 v164, 0x100000, v150, -1
	v_lshrrev_b32_e32 v167, v150, v147
	v_lshlrev_b32_e64 v180, v150, 0x80000
	s_delay_alu instid0(VALU_DEP_4) | instskip(NEXT) | instid1(VALU_DEP_4)
	v_add_nc_u32_e32 v150, v150, v146
	v_and_b32_e32 v147, v164, v147
	s_delay_alu instid0(VALU_DEP_4) | instskip(NEXT) | instid1(VALU_DEP_2)
	v_bfe_u32 v178, v167, 20, 1
	v_cmp_eq_u32_e64 s7, v147, v180
	s_delay_alu instid0(VALU_DEP_2) | instskip(NEXT) | instid1(VALU_DEP_1)
	v_add_nc_u32_e32 v164, -1, v178
	v_cndmask_b32_e64 v147, 0, v164, s7
	v_lshrrev_b32_e32 v164, 23, v167
	s_mov_b32 s7, exec_lo
	s_delay_alu instid0(VALU_DEP_2) | instskip(NEXT) | instid1(VALU_DEP_2)
	v_add_nc_u32_e32 v147, v147, v167
	v_xor_b32_e32 v164, 1, v164
	s_delay_alu instid0(VALU_DEP_2) | instskip(NEXT) | instid1(VALU_DEP_1)
	v_and_b32_e32 v146, 0xfffff, v147
	v_add_nc_u32_e32 v147, v146, v167
                                        ; implicit-def: $vgpr146
	s_delay_alu instid0(VALU_DEP_3)
	v_cmpx_ne_u32_e64 v150, v164
	s_xor_b32 s7, exec_lo, s7
; %bb.9681:                             ;   in Loop: Header=BB6_9048 Depth=2
	s_delay_alu instid0(VALU_DEP_2) | instskip(SKIP_2) | instid1(VALU_DEP_2)
	v_cmp_lt_u32_e32 vcc_lo, 0xffffff, v147
	v_sub_nc_u32_e32 v146, v150, v164
	v_cndmask_b32_e64 v150, 0, 1, vcc_lo
	v_add_co_ci_u32_e32 v146, vcc_lo, 0, v146, vcc_lo
	s_delay_alu instid0(VALU_DEP_2)
	v_lshrrev_b32_e32 v147, v150, v147
; %bb.9682:                             ;   in Loop: Header=BB6_9048 Depth=2
	s_and_not1_saveexec_b32 s7, s7
; %bb.9683:                             ;   in Loop: Header=BB6_9048 Depth=2
	s_delay_alu instid0(VALU_DEP_1)
	v_bfe_u32 v146, v147, 23, 1
; %bb.9684:                             ;   in Loop: Header=BB6_9048 Depth=2
	s_or_b32 exec_lo, exec_lo, s7
	v_lshrrev_b32_e32 v147, 20, v147
	s_delay_alu instid0(VALU_DEP_2) | instskip(SKIP_2) | instid1(VALU_DEP_2)
	v_cmp_gt_i32_e32 vcc_lo, 16, v146
	v_lshrrev_b32_e32 v150, 24, v161
	v_min_i32_e32 v161, 15, v146
	v_dual_cndmask_b32 v147, 7, v147 :: v_dual_and_b32 v150, 0x80, v150
	s_delay_alu instid0(VALU_DEP_1) | instskip(SKIP_1) | instid1(VALU_DEP_2)
	v_or_b32_e32 v146, v146, v147
	v_and_b32_e32 v164, 7, v147
	v_cmp_ne_u32_e32 vcc_lo, 0, v146
	v_lshlrev_b32_e32 v161, 3, v161
	s_delay_alu instid0(VALU_DEP_1) | instskip(NEXT) | instid1(VALU_DEP_1)
	v_or3_b32 v147, v161, v150, v164
	v_cndmask_b32_e32 v146, 0, v147, vcc_lo
.LBB6_9685:                             ;   in Loop: Header=BB6_9048 Depth=2
	s_or_b32 exec_lo, exec_lo, s26
.LBB6_9686:                             ;   in Loop: Header=BB6_9048 Depth=2
	s_delay_alu instid0(SALU_CYCLE_1) | instskip(SKIP_2) | instid1(VALU_DEP_1)
	s_or_b32 exec_lo, exec_lo, s25
	v_and_b32_e32 v147, 0xff, v144
	s_and_not1_b32 vcc_lo, exec_lo, s23
	v_cmp_lt_i16_e64 s7, 0x7f, v147
	s_cbranch_vccnz .LBB6_9696
; %bb.9687:                             ;   in Loop: Header=BB6_9048 Depth=2
	s_mov_b32 s25, 0
                                        ; implicit-def: $sgpr26
	s_delay_alu instid0(VALU_DEP_1) | instskip(NEXT) | instid1(SALU_CYCLE_1)
	s_and_saveexec_b32 s27, s7
	s_xor_b32 s7, exec_lo, s27
	s_cbranch_execnz .LBB6_10326
; %bb.9688:                             ;   in Loop: Header=BB6_9048 Depth=2
	s_or_saveexec_b32 s7, s7
	v_mov_b32_e32 v150, s26
	s_xor_b32 exec_lo, exec_lo, s7
	s_cbranch_execnz .LBB6_10329
.LBB6_9689:                             ;   in Loop: Header=BB6_9048 Depth=2
	s_or_b32 exec_lo, exec_lo, s7
	s_and_saveexec_b32 s7, s25
	s_cbranch_execz .LBB6_9691
.LBB6_9690:                             ;   in Loop: Header=BB6_9048 Depth=2
	v_lshrrev_b16 v167, 3, v144
	v_lshlrev_b32_e32 v178, 24, v144
	s_delay_alu instid0(VALU_DEP_2) | instskip(NEXT) | instid1(VALU_DEP_1)
	v_and_b32_e32 v167, 15, v167
	v_cmp_eq_u32_e32 vcc_lo, 0, v167
	v_and_b32_e32 v150, 7, v144
	s_delay_alu instid0(VALU_DEP_1) | instskip(NEXT) | instid1(VALU_DEP_1)
	v_clz_i32_u32_e32 v161, v150
	v_min_u32_e32 v161, 32, v161
	s_delay_alu instid0(VALU_DEP_1) | instskip(SKIP_1) | instid1(VALU_DEP_1)
	v_subrev_nc_u32_e32 v164, 28, v161
	v_sub_nc_u32_e32 v161, 29, v161
	v_dual_cndmask_b32 v161, v167, v161 :: v_dual_lshlrev_b32 v164, v164, v144
	s_delay_alu instid0(VALU_DEP_1) | instskip(NEXT) | instid1(VALU_DEP_2)
	v_and_b32_e32 v164, 7, v164
	v_lshl_add_u32 v161, v161, 23, 0x3b800000
	s_delay_alu instid0(VALU_DEP_2) | instskip(SKIP_1) | instid1(VALU_DEP_2)
	v_cndmask_b32_e32 v150, v150, v164, vcc_lo
	v_and_b32_e32 v164, 0x80000000, v178
	v_lshlrev_b32_e32 v150, 20, v150
	s_delay_alu instid0(VALU_DEP_1)
	v_or3_b32 v150, v164, v161, v150
.LBB6_9691:                             ;   in Loop: Header=BB6_9048 Depth=2
	s_or_b32 exec_lo, exec_lo, s7
	s_waitcnt vmcnt(9) lgkmcnt(9)
	v_and_b32_e32 v164, 0xff, v135
	s_mov_b32 s7, 0
	s_mov_b32 s26, exec_lo
                                        ; implicit-def: $sgpr25
	s_delay_alu instid0(VALU_DEP_1)
	v_cmpx_lt_i16_e64 0x7f, v164
	s_xor_b32 s26, exec_lo, s26
	s_cbranch_execnz .LBB6_10330
; %bb.9692:                             ;   in Loop: Header=BB6_9048 Depth=2
	s_or_saveexec_b32 s26, s26
	v_mov_b32_e32 v161, s25
	s_xor_b32 exec_lo, exec_lo, s26
	s_cbranch_execnz .LBB6_10333
.LBB6_9693:                             ;   in Loop: Header=BB6_9048 Depth=2
	s_or_b32 exec_lo, exec_lo, s26
	s_and_saveexec_b32 s25, s7
	s_cbranch_execz .LBB6_9695
.LBB6_9694:                             ;   in Loop: Header=BB6_9048 Depth=2
	v_lshrrev_b16 v178, 3, v135
	v_lshlrev_b32_e32 v180, 24, v135
	s_delay_alu instid0(VALU_DEP_2) | instskip(NEXT) | instid1(VALU_DEP_1)
	v_and_b32_e32 v178, 15, v178
	v_cmp_eq_u32_e32 vcc_lo, 0, v178
	v_and_b32_e32 v161, 7, v135
	s_delay_alu instid0(VALU_DEP_1) | instskip(NEXT) | instid1(VALU_DEP_1)
	v_clz_i32_u32_e32 v164, v161
	v_min_u32_e32 v164, 32, v164
	s_delay_alu instid0(VALU_DEP_1) | instskip(SKIP_1) | instid1(VALU_DEP_1)
	v_subrev_nc_u32_e32 v167, 28, v164
	v_sub_nc_u32_e32 v164, 29, v164
	v_dual_cndmask_b32 v164, v178, v164 :: v_dual_lshlrev_b32 v167, v167, v135
	s_delay_alu instid0(VALU_DEP_1) | instskip(NEXT) | instid1(VALU_DEP_2)
	v_and_b32_e32 v167, 7, v167
	v_lshl_add_u32 v164, v164, 23, 0x3b800000
	s_delay_alu instid0(VALU_DEP_2) | instskip(SKIP_1) | instid1(VALU_DEP_2)
	v_cndmask_b32_e32 v161, v161, v167, vcc_lo
	v_and_b32_e32 v167, 0x80000000, v180
	v_lshlrev_b32_e32 v161, 20, v161
	s_delay_alu instid0(VALU_DEP_1)
	v_or3_b32 v161, v167, v164, v161
.LBB6_9695:                             ;   in Loop: Header=BB6_9048 Depth=2
	s_or_b32 exec_lo, exec_lo, s25
	s_delay_alu instid0(VALU_DEP_1) | instskip(SKIP_1) | instid1(VALU_DEP_1)
	v_dual_max_f32 v161, v161, v161 :: v_dual_max_f32 v150, v150, v150
	s_mov_b32 s7, 0
	v_max_f32_e32 v150, v150, v161
	s_branch .LBB6_9697
.LBB6_9696:                             ;   in Loop: Header=BB6_9048 Depth=2
	s_mov_b32 s7, -1
                                        ; implicit-def: $vgpr150
.LBB6_9697:                             ;   in Loop: Header=BB6_9048 Depth=2
	s_delay_alu instid0(SALU_CYCLE_1)
	s_and_b32 vcc_lo, exec_lo, s7
	s_cbranch_vccz .LBB6_9707
; %bb.9698:                             ;   in Loop: Header=BB6_9048 Depth=2
	s_mov_b32 s7, 0
	s_mov_b32 s26, exec_lo
                                        ; implicit-def: $sgpr25
	v_cmpx_lt_i16_e64 0x7f, v147
	s_xor_b32 s26, exec_lo, s26
	s_cbranch_execnz .LBB6_10334
; %bb.9699:                             ;   in Loop: Header=BB6_9048 Depth=2
	s_or_saveexec_b32 s26, s26
	v_mov_b32_e32 v150, s25
	s_xor_b32 exec_lo, exec_lo, s26
	s_cbranch_execnz .LBB6_10337
.LBB6_9700:                             ;   in Loop: Header=BB6_9048 Depth=2
	s_or_b32 exec_lo, exec_lo, s26
	s_and_saveexec_b32 s25, s7
	s_cbranch_execz .LBB6_9702
.LBB6_9701:                             ;   in Loop: Header=BB6_9048 Depth=2
	v_lshrrev_b16 v164, 3, v144
	s_delay_alu instid0(VALU_DEP_1) | instskip(NEXT) | instid1(VALU_DEP_1)
	v_and_b32_e32 v164, 15, v164
	v_cmp_eq_u32_e32 vcc_lo, 0, v164
	v_and_b32_e32 v147, 7, v144
	s_delay_alu instid0(VALU_DEP_1) | instskip(NEXT) | instid1(VALU_DEP_1)
	v_clz_i32_u32_e32 v150, v147
	v_min_u32_e32 v150, 32, v150
	s_delay_alu instid0(VALU_DEP_1) | instskip(SKIP_1) | instid1(VALU_DEP_1)
	v_subrev_nc_u32_e32 v161, 28, v150
	v_sub_nc_u32_e32 v150, 29, v150
	v_dual_cndmask_b32 v150, v164, v150 :: v_dual_lshlrev_b32 v161, v161, v144
	v_lshlrev_b32_e32 v144, 24, v144
	s_delay_alu instid0(VALU_DEP_2) | instskip(NEXT) | instid1(VALU_DEP_3)
	v_and_b32_e32 v161, 7, v161
	v_lshl_add_u32 v150, v150, 23, 0x3b800000
	s_delay_alu instid0(VALU_DEP_2) | instskip(NEXT) | instid1(VALU_DEP_1)
	v_dual_cndmask_b32 v147, v147, v161 :: v_dual_and_b32 v144, 0x80000000, v144
	v_lshlrev_b32_e32 v147, 20, v147
	s_delay_alu instid0(VALU_DEP_1)
	v_or3_b32 v150, v144, v150, v147
.LBB6_9702:                             ;   in Loop: Header=BB6_9048 Depth=2
	s_or_b32 exec_lo, exec_lo, s25
	s_waitcnt vmcnt(9) lgkmcnt(9)
	v_and_b32_e32 v147, 0xff, v135
	s_mov_b32 s7, 0
	s_mov_b32 s26, exec_lo
                                        ; implicit-def: $sgpr25
	s_delay_alu instid0(VALU_DEP_1)
	v_cmpx_lt_i16_e64 0x7f, v147
	s_xor_b32 s26, exec_lo, s26
	s_cbranch_execnz .LBB6_10338
; %bb.9703:                             ;   in Loop: Header=BB6_9048 Depth=2
	s_or_saveexec_b32 s26, s26
	v_mov_b32_e32 v144, s25
	s_xor_b32 exec_lo, exec_lo, s26
	s_cbranch_execnz .LBB6_10341
.LBB6_9704:                             ;   in Loop: Header=BB6_9048 Depth=2
	s_or_b32 exec_lo, exec_lo, s26
	s_and_saveexec_b32 s25, s7
	s_cbranch_execz .LBB6_9706
.LBB6_9705:                             ;   in Loop: Header=BB6_9048 Depth=2
	v_and_b32_e32 v144, 7, v135
	v_lshrrev_b16 v164, 3, v135
	s_delay_alu instid0(VALU_DEP_2) | instskip(NEXT) | instid1(VALU_DEP_2)
	v_clz_i32_u32_e32 v147, v144
	v_and_b32_e32 v164, 15, v164
	s_delay_alu instid0(VALU_DEP_2) | instskip(NEXT) | instid1(VALU_DEP_2)
	v_min_u32_e32 v147, 32, v147
	v_cmp_eq_u32_e32 vcc_lo, 0, v164
	s_delay_alu instid0(VALU_DEP_2) | instskip(SKIP_1) | instid1(VALU_DEP_2)
	v_subrev_nc_u32_e32 v161, 28, v147
	v_sub_nc_u32_e32 v147, 29, v147
	v_lshlrev_b32_e32 v161, v161, v135
	s_delay_alu instid0(VALU_DEP_1) | instskip(NEXT) | instid1(VALU_DEP_1)
	v_and_b32_e32 v161, 7, v161
	v_dual_cndmask_b32 v144, v144, v161 :: v_dual_lshlrev_b32 v135, 24, v135
	s_delay_alu instid0(VALU_DEP_4) | instskip(NEXT) | instid1(VALU_DEP_2)
	v_cndmask_b32_e32 v147, v164, v147, vcc_lo
	v_and_b32_e32 v135, 0x80000000, v135
	s_delay_alu instid0(VALU_DEP_3) | instskip(NEXT) | instid1(VALU_DEP_3)
	v_lshlrev_b32_e32 v144, 20, v144
	v_lshl_add_u32 v147, v147, 23, 0x3b800000
	s_delay_alu instid0(VALU_DEP_1)
	v_or3_b32 v144, v135, v147, v144
.LBB6_9706:                             ;   in Loop: Header=BB6_9048 Depth=2
	s_or_b32 exec_lo, exec_lo, s25
	s_delay_alu instid0(VALU_DEP_1) | instskip(NEXT) | instid1(VALU_DEP_1)
	v_dual_max_f32 v135, v144, v144 :: v_dual_max_f32 v144, v150, v150
	v_min_f32_e32 v150, v144, v135
.LBB6_9707:                             ;   in Loop: Header=BB6_9048 Depth=2
	s_waitcnt vmcnt(9) lgkmcnt(9)
	s_delay_alu instid0(VALU_DEP_1) | instskip(NEXT) | instid1(VALU_DEP_1)
	v_and_b32_e32 v135, 0x7f800000, v150
	v_cmp_ne_u32_e32 vcc_lo, 0x7f800000, v135
	v_mov_b32_e32 v135, 0x80
	s_and_saveexec_b32 s25, vcc_lo
	s_cbranch_execz .LBB6_9715
; %bb.9708:                             ;   in Loop: Header=BB6_9048 Depth=2
	v_mov_b32_e32 v135, 0
	s_mov_b32 s26, exec_lo
	v_cmpx_ne_u32_e32 0, v150
	s_cbranch_execz .LBB6_9714
; %bb.9709:                             ;   in Loop: Header=BB6_9048 Depth=2
	v_bfe_u32 v135, v150, 23, 8
	s_delay_alu instid0(VALU_DEP_1) | instskip(SKIP_1) | instid1(VALU_DEP_2)
	v_sub_nc_u32_e32 v147, 0x78, v135
	v_cmp_gt_u32_e32 vcc_lo, 0x79, v135
	v_dual_cndmask_b32 v147, 0, v147 :: v_dual_and_b32 v144, 0x7fffff, v150
	s_delay_alu instid0(VALU_DEP_1) | instskip(SKIP_2) | instid1(VALU_DEP_4)
	v_or_b32_e32 v161, 0x800000, v144
	v_cmp_eq_u32_e32 vcc_lo, 0, v135
	v_add_nc_u32_e32 v135, 0xffffff89, v135
	v_cndmask_b32_e64 v147, v147, 0x77, vcc_lo
	s_delay_alu instid0(VALU_DEP_4) | instskip(NEXT) | instid1(VALU_DEP_3)
	v_cndmask_b32_e32 v144, v161, v144, vcc_lo
	v_cndmask_b32_e64 v135, v135, 0xffffff8a, vcc_lo
	s_delay_alu instid0(VALU_DEP_3) | instskip(NEXT) | instid1(VALU_DEP_3)
	v_lshl_add_u32 v161, 0x100000, v147, -1
	v_lshrrev_b32_e32 v164, v147, v144
	v_lshlrev_b32_e64 v178, v147, 0x80000
	s_delay_alu instid0(VALU_DEP_4) | instskip(NEXT) | instid1(VALU_DEP_4)
	v_add_nc_u32_e32 v147, v147, v135
	v_and_b32_e32 v144, v161, v144
	s_delay_alu instid0(VALU_DEP_4) | instskip(NEXT) | instid1(VALU_DEP_2)
	v_bfe_u32 v167, v164, 20, 1
	v_cmp_eq_u32_e64 s7, v144, v178
	s_delay_alu instid0(VALU_DEP_2) | instskip(NEXT) | instid1(VALU_DEP_1)
	v_add_nc_u32_e32 v161, -1, v167
	v_cndmask_b32_e64 v144, 0, v161, s7
	v_lshrrev_b32_e32 v161, 23, v164
	s_mov_b32 s7, exec_lo
	s_delay_alu instid0(VALU_DEP_2) | instskip(NEXT) | instid1(VALU_DEP_2)
	v_add_nc_u32_e32 v144, v144, v164
	v_xor_b32_e32 v161, 1, v161
	s_delay_alu instid0(VALU_DEP_2) | instskip(NEXT) | instid1(VALU_DEP_1)
	v_and_b32_e32 v135, 0xfffff, v144
	v_add_nc_u32_e32 v144, v135, v164
                                        ; implicit-def: $vgpr135
	s_delay_alu instid0(VALU_DEP_3)
	v_cmpx_ne_u32_e64 v147, v161
	s_xor_b32 s7, exec_lo, s7
; %bb.9710:                             ;   in Loop: Header=BB6_9048 Depth=2
	s_delay_alu instid0(VALU_DEP_2) | instskip(SKIP_2) | instid1(VALU_DEP_2)
	v_cmp_lt_u32_e32 vcc_lo, 0xffffff, v144
	v_sub_nc_u32_e32 v135, v147, v161
	v_cndmask_b32_e64 v147, 0, 1, vcc_lo
	v_add_co_ci_u32_e32 v135, vcc_lo, 0, v135, vcc_lo
	s_delay_alu instid0(VALU_DEP_2)
	v_lshrrev_b32_e32 v144, v147, v144
; %bb.9711:                             ;   in Loop: Header=BB6_9048 Depth=2
	s_and_not1_saveexec_b32 s7, s7
; %bb.9712:                             ;   in Loop: Header=BB6_9048 Depth=2
	s_delay_alu instid0(VALU_DEP_1)
	v_bfe_u32 v135, v144, 23, 1
; %bb.9713:                             ;   in Loop: Header=BB6_9048 Depth=2
	s_or_b32 exec_lo, exec_lo, s7
	v_lshrrev_b32_e32 v144, 20, v144
	s_delay_alu instid0(VALU_DEP_2) | instskip(SKIP_2) | instid1(VALU_DEP_2)
	v_cmp_gt_i32_e32 vcc_lo, 16, v135
	v_lshrrev_b32_e32 v147, 24, v150
	v_min_i32_e32 v150, 15, v135
	v_dual_cndmask_b32 v144, 7, v144 :: v_dual_and_b32 v147, 0x80, v147
	s_delay_alu instid0(VALU_DEP_1) | instskip(SKIP_1) | instid1(VALU_DEP_2)
	v_or_b32_e32 v135, v135, v144
	v_and_b32_e32 v161, 7, v144
	v_cmp_ne_u32_e32 vcc_lo, 0, v135
	v_lshlrev_b32_e32 v150, 3, v150
	s_delay_alu instid0(VALU_DEP_1) | instskip(NEXT) | instid1(VALU_DEP_1)
	v_or3_b32 v144, v150, v147, v161
	v_cndmask_b32_e32 v135, 0, v144, vcc_lo
.LBB6_9714:                             ;   in Loop: Header=BB6_9048 Depth=2
	s_or_b32 exec_lo, exec_lo, s26
.LBB6_9715:                             ;   in Loop: Header=BB6_9048 Depth=2
	s_delay_alu instid0(SALU_CYCLE_1) | instskip(SKIP_2) | instid1(VALU_DEP_1)
	s_or_b32 exec_lo, exec_lo, s25
	v_and_b32_e32 v144, 0xff, v98
	s_and_not1_b32 vcc_lo, exec_lo, s23
	v_cmp_lt_i16_e64 s7, 0x7f, v144
	s_cbranch_vccnz .LBB6_9725
; %bb.9716:                             ;   in Loop: Header=BB6_9048 Depth=2
	s_mov_b32 s25, 0
                                        ; implicit-def: $sgpr26
	s_delay_alu instid0(VALU_DEP_1) | instskip(NEXT) | instid1(SALU_CYCLE_1)
	s_and_saveexec_b32 s27, s7
	s_xor_b32 s7, exec_lo, s27
	s_cbranch_execnz .LBB6_10342
; %bb.9717:                             ;   in Loop: Header=BB6_9048 Depth=2
	s_or_saveexec_b32 s7, s7
	v_mov_b32_e32 v147, s26
	s_xor_b32 exec_lo, exec_lo, s7
	s_cbranch_execnz .LBB6_10345
.LBB6_9718:                             ;   in Loop: Header=BB6_9048 Depth=2
	s_or_b32 exec_lo, exec_lo, s7
	s_and_saveexec_b32 s7, s25
	s_cbranch_execz .LBB6_9720
.LBB6_9719:                             ;   in Loop: Header=BB6_9048 Depth=2
	v_and_b32_e32 v147, 7, v98
	v_lshrrev_b16 v164, 3, v98
	v_lshlrev_b32_e32 v167, 24, v98
	s_delay_alu instid0(VALU_DEP_3) | instskip(NEXT) | instid1(VALU_DEP_1)
	v_clz_i32_u32_e32 v150, v147
	v_min_u32_e32 v150, 32, v150
	s_delay_alu instid0(VALU_DEP_1) | instskip(SKIP_1) | instid1(VALU_DEP_2)
	v_subrev_nc_u32_e32 v161, 28, v150
	v_sub_nc_u32_e32 v150, 29, v150
	v_lshlrev_b32_e32 v161, v161, v98
	s_delay_alu instid0(VALU_DEP_1) | instskip(SKIP_1) | instid1(VALU_DEP_1)
	v_and_b32_e32 v161, 7, v161
	v_and_b32_e32 v164, 15, v164
	v_cmp_eq_u32_e32 vcc_lo, 0, v164
	s_delay_alu instid0(VALU_DEP_3) | instskip(SKIP_1) | instid1(VALU_DEP_2)
	v_dual_cndmask_b32 v147, v147, v161 :: v_dual_cndmask_b32 v150, v164, v150
	v_and_b32_e32 v161, 0x80000000, v167
	v_lshlrev_b32_e32 v147, 20, v147
	s_delay_alu instid0(VALU_DEP_3) | instskip(NEXT) | instid1(VALU_DEP_1)
	v_lshl_add_u32 v150, v150, 23, 0x3b800000
	v_or3_b32 v147, v161, v150, v147
.LBB6_9720:                             ;   in Loop: Header=BB6_9048 Depth=2
	s_or_b32 exec_lo, exec_lo, s7
	s_waitcnt vmcnt(8) lgkmcnt(8)
	v_and_b32_e32 v161, 0xff, v97
	s_mov_b32 s7, 0
	s_mov_b32 s26, exec_lo
                                        ; implicit-def: $sgpr25
	s_delay_alu instid0(VALU_DEP_1)
	v_cmpx_lt_i16_e64 0x7f, v161
	s_xor_b32 s26, exec_lo, s26
	s_cbranch_execnz .LBB6_10346
; %bb.9721:                             ;   in Loop: Header=BB6_9048 Depth=2
	s_or_saveexec_b32 s26, s26
	v_mov_b32_e32 v150, s25
	s_xor_b32 exec_lo, exec_lo, s26
	s_cbranch_execnz .LBB6_10349
.LBB6_9722:                             ;   in Loop: Header=BB6_9048 Depth=2
	s_or_b32 exec_lo, exec_lo, s26
	s_and_saveexec_b32 s25, s7
	s_cbranch_execz .LBB6_9724
.LBB6_9723:                             ;   in Loop: Header=BB6_9048 Depth=2
	v_and_b32_e32 v150, 7, v97
	v_lshrrev_b16 v167, 3, v97
	v_lshlrev_b32_e32 v178, 24, v97
	s_delay_alu instid0(VALU_DEP_3) | instskip(NEXT) | instid1(VALU_DEP_1)
	v_clz_i32_u32_e32 v161, v150
	v_min_u32_e32 v161, 32, v161
	s_delay_alu instid0(VALU_DEP_1) | instskip(SKIP_1) | instid1(VALU_DEP_2)
	v_subrev_nc_u32_e32 v164, 28, v161
	v_sub_nc_u32_e32 v161, 29, v161
	v_lshlrev_b32_e32 v164, v164, v97
	s_delay_alu instid0(VALU_DEP_1) | instskip(SKIP_1) | instid1(VALU_DEP_1)
	v_and_b32_e32 v164, 7, v164
	v_and_b32_e32 v167, 15, v167
	v_cmp_eq_u32_e32 vcc_lo, 0, v167
	s_delay_alu instid0(VALU_DEP_3) | instskip(SKIP_1) | instid1(VALU_DEP_2)
	v_dual_cndmask_b32 v150, v150, v164 :: v_dual_cndmask_b32 v161, v167, v161
	v_and_b32_e32 v164, 0x80000000, v178
	v_lshlrev_b32_e32 v150, 20, v150
	s_delay_alu instid0(VALU_DEP_3) | instskip(NEXT) | instid1(VALU_DEP_1)
	v_lshl_add_u32 v161, v161, 23, 0x3b800000
	v_or3_b32 v150, v164, v161, v150
.LBB6_9724:                             ;   in Loop: Header=BB6_9048 Depth=2
	s_or_b32 exec_lo, exec_lo, s25
	s_delay_alu instid0(VALU_DEP_1) | instskip(SKIP_1) | instid1(VALU_DEP_1)
	v_dual_max_f32 v150, v150, v150 :: v_dual_max_f32 v147, v147, v147
	s_mov_b32 s7, 0
	v_max_f32_e32 v147, v147, v150
	s_branch .LBB6_9726
.LBB6_9725:                             ;   in Loop: Header=BB6_9048 Depth=2
	s_mov_b32 s7, -1
                                        ; implicit-def: $vgpr147
.LBB6_9726:                             ;   in Loop: Header=BB6_9048 Depth=2
	s_delay_alu instid0(SALU_CYCLE_1)
	s_and_b32 vcc_lo, exec_lo, s7
	s_cbranch_vccz .LBB6_9736
; %bb.9727:                             ;   in Loop: Header=BB6_9048 Depth=2
	s_mov_b32 s7, 0
	s_mov_b32 s26, exec_lo
                                        ; implicit-def: $sgpr25
	v_cmpx_lt_i16_e64 0x7f, v144
	s_xor_b32 s26, exec_lo, s26
	s_cbranch_execnz .LBB6_10350
; %bb.9728:                             ;   in Loop: Header=BB6_9048 Depth=2
	s_or_saveexec_b32 s26, s26
	v_mov_b32_e32 v147, s25
	s_xor_b32 exec_lo, exec_lo, s26
	s_cbranch_execnz .LBB6_10353
.LBB6_9729:                             ;   in Loop: Header=BB6_9048 Depth=2
	s_or_b32 exec_lo, exec_lo, s26
	s_and_saveexec_b32 s25, s7
	s_cbranch_execz .LBB6_9731
.LBB6_9730:                             ;   in Loop: Header=BB6_9048 Depth=2
	v_lshrrev_b16 v161, 3, v98
	s_delay_alu instid0(VALU_DEP_1) | instskip(NEXT) | instid1(VALU_DEP_1)
	v_and_b32_e32 v161, 15, v161
	v_cmp_eq_u32_e32 vcc_lo, 0, v161
	v_and_b32_e32 v144, 7, v98
	s_delay_alu instid0(VALU_DEP_1) | instskip(NEXT) | instid1(VALU_DEP_1)
	v_clz_i32_u32_e32 v147, v144
	v_min_u32_e32 v147, 32, v147
	s_delay_alu instid0(VALU_DEP_1) | instskip(SKIP_1) | instid1(VALU_DEP_1)
	v_subrev_nc_u32_e32 v150, 28, v147
	v_sub_nc_u32_e32 v147, 29, v147
	v_dual_cndmask_b32 v147, v161, v147 :: v_dual_lshlrev_b32 v150, v150, v98
	v_lshlrev_b32_e32 v98, 24, v98
	s_delay_alu instid0(VALU_DEP_2) | instskip(NEXT) | instid1(VALU_DEP_3)
	v_and_b32_e32 v150, 7, v150
	v_lshl_add_u32 v147, v147, 23, 0x3b800000
	s_delay_alu instid0(VALU_DEP_3) | instskip(NEXT) | instid1(VALU_DEP_3)
	v_and_b32_e32 v98, 0x80000000, v98
	v_cndmask_b32_e32 v144, v144, v150, vcc_lo
	s_delay_alu instid0(VALU_DEP_1) | instskip(NEXT) | instid1(VALU_DEP_1)
	v_lshlrev_b32_e32 v144, 20, v144
	v_or3_b32 v147, v98, v147, v144
.LBB6_9731:                             ;   in Loop: Header=BB6_9048 Depth=2
	s_or_b32 exec_lo, exec_lo, s25
	s_waitcnt vmcnt(8) lgkmcnt(8)
	v_and_b32_e32 v144, 0xff, v97
	s_mov_b32 s7, 0
	s_mov_b32 s26, exec_lo
                                        ; implicit-def: $sgpr25
	s_delay_alu instid0(VALU_DEP_1)
	v_cmpx_lt_i16_e64 0x7f, v144
	s_xor_b32 s26, exec_lo, s26
	s_cbranch_execnz .LBB6_10354
; %bb.9732:                             ;   in Loop: Header=BB6_9048 Depth=2
	s_or_saveexec_b32 s26, s26
	v_mov_b32_e32 v98, s25
	s_xor_b32 exec_lo, exec_lo, s26
	s_cbranch_execnz .LBB6_10357
.LBB6_9733:                             ;   in Loop: Header=BB6_9048 Depth=2
	s_or_b32 exec_lo, exec_lo, s26
	s_and_saveexec_b32 s25, s7
	s_cbranch_execz .LBB6_9735
.LBB6_9734:                             ;   in Loop: Header=BB6_9048 Depth=2
	v_and_b32_e32 v98, 7, v97
	v_lshrrev_b16 v161, 3, v97
	s_delay_alu instid0(VALU_DEP_2) | instskip(NEXT) | instid1(VALU_DEP_1)
	v_clz_i32_u32_e32 v144, v98
	v_min_u32_e32 v144, 32, v144
	s_delay_alu instid0(VALU_DEP_1) | instskip(SKIP_1) | instid1(VALU_DEP_2)
	v_subrev_nc_u32_e32 v150, 28, v144
	v_sub_nc_u32_e32 v144, 29, v144
	v_lshlrev_b32_e32 v150, v150, v97
	s_delay_alu instid0(VALU_DEP_1) | instskip(SKIP_1) | instid1(VALU_DEP_1)
	v_and_b32_e32 v150, 7, v150
	v_and_b32_e32 v161, 15, v161
	v_cmp_eq_u32_e32 vcc_lo, 0, v161
	s_delay_alu instid0(VALU_DEP_3) | instskip(SKIP_1) | instid1(VALU_DEP_2)
	v_dual_cndmask_b32 v98, v98, v150 :: v_dual_lshlrev_b32 v97, 24, v97
	v_cndmask_b32_e32 v144, v161, v144, vcc_lo
	v_lshlrev_b32_e32 v98, 20, v98
	s_delay_alu instid0(VALU_DEP_3) | instskip(NEXT) | instid1(VALU_DEP_3)
	v_and_b32_e32 v97, 0x80000000, v97
	v_lshl_add_u32 v144, v144, 23, 0x3b800000
	s_delay_alu instid0(VALU_DEP_1)
	v_or3_b32 v98, v97, v144, v98
.LBB6_9735:                             ;   in Loop: Header=BB6_9048 Depth=2
	s_or_b32 exec_lo, exec_lo, s25
	s_delay_alu instid0(VALU_DEP_1) | instskip(NEXT) | instid1(VALU_DEP_1)
	v_dual_max_f32 v97, v98, v98 :: v_dual_max_f32 v98, v147, v147
	v_min_f32_e32 v147, v98, v97
.LBB6_9736:                             ;   in Loop: Header=BB6_9048 Depth=2
	s_waitcnt vmcnt(8) lgkmcnt(8)
	s_delay_alu instid0(VALU_DEP_1) | instskip(NEXT) | instid1(VALU_DEP_1)
	v_and_b32_e32 v97, 0x7f800000, v147
	v_cmp_ne_u32_e32 vcc_lo, 0x7f800000, v97
	v_mov_b32_e32 v97, 0x80
	s_and_saveexec_b32 s25, vcc_lo
	s_cbranch_execz .LBB6_9744
; %bb.9737:                             ;   in Loop: Header=BB6_9048 Depth=2
	v_mov_b32_e32 v97, 0
	s_mov_b32 s26, exec_lo
	v_cmpx_ne_u32_e32 0, v147
	s_cbranch_execz .LBB6_9743
; %bb.9738:                             ;   in Loop: Header=BB6_9048 Depth=2
	v_bfe_u32 v97, v147, 23, 8
	v_and_b32_e32 v98, 0x7fffff, v147
	s_delay_alu instid0(VALU_DEP_2) | instskip(SKIP_1) | instid1(VALU_DEP_3)
	v_sub_nc_u32_e32 v144, 0x78, v97
	v_cmp_gt_u32_e32 vcc_lo, 0x79, v97
	v_or_b32_e32 v150, 0x800000, v98
	s_delay_alu instid0(VALU_DEP_3) | instskip(SKIP_2) | instid1(VALU_DEP_3)
	v_cndmask_b32_e32 v144, 0, v144, vcc_lo
	v_cmp_eq_u32_e32 vcc_lo, 0, v97
	v_add_nc_u32_e32 v97, 0xffffff89, v97
	v_cndmask_b32_e64 v144, v144, 0x77, vcc_lo
	v_cndmask_b32_e32 v98, v150, v98, vcc_lo
	s_delay_alu instid0(VALU_DEP_3) | instskip(NEXT) | instid1(VALU_DEP_3)
	v_cndmask_b32_e64 v97, v97, 0xffffff8a, vcc_lo
	v_lshl_add_u32 v150, 0x100000, v144, -1
	s_delay_alu instid0(VALU_DEP_3) | instskip(SKIP_1) | instid1(VALU_DEP_4)
	v_lshrrev_b32_e32 v161, v144, v98
	v_lshlrev_b32_e64 v167, v144, 0x80000
	v_add_nc_u32_e32 v144, v144, v97
	s_delay_alu instid0(VALU_DEP_4) | instskip(NEXT) | instid1(VALU_DEP_4)
	v_and_b32_e32 v98, v150, v98
	v_bfe_u32 v164, v161, 20, 1
	s_delay_alu instid0(VALU_DEP_2) | instskip(NEXT) | instid1(VALU_DEP_2)
	v_cmp_eq_u32_e64 s7, v98, v167
	v_add_nc_u32_e32 v150, -1, v164
	s_delay_alu instid0(VALU_DEP_1) | instskip(SKIP_2) | instid1(VALU_DEP_2)
	v_cndmask_b32_e64 v98, 0, v150, s7
	v_lshrrev_b32_e32 v150, 23, v161
	s_mov_b32 s7, exec_lo
	v_add_nc_u32_e32 v98, v98, v161
	s_delay_alu instid0(VALU_DEP_2) | instskip(NEXT) | instid1(VALU_DEP_2)
	v_xor_b32_e32 v150, 1, v150
	v_and_b32_e32 v97, 0xfffff, v98
	s_delay_alu instid0(VALU_DEP_1) | instskip(NEXT) | instid1(VALU_DEP_3)
	v_add_nc_u32_e32 v98, v97, v161
                                        ; implicit-def: $vgpr97
	v_cmpx_ne_u32_e64 v144, v150
	s_xor_b32 s7, exec_lo, s7
; %bb.9739:                             ;   in Loop: Header=BB6_9048 Depth=2
	s_delay_alu instid0(VALU_DEP_2) | instskip(SKIP_2) | instid1(VALU_DEP_2)
	v_cmp_lt_u32_e32 vcc_lo, 0xffffff, v98
	v_sub_nc_u32_e32 v97, v144, v150
	v_cndmask_b32_e64 v144, 0, 1, vcc_lo
	v_add_co_ci_u32_e32 v97, vcc_lo, 0, v97, vcc_lo
	s_delay_alu instid0(VALU_DEP_2)
	v_lshrrev_b32_e32 v98, v144, v98
; %bb.9740:                             ;   in Loop: Header=BB6_9048 Depth=2
	s_and_not1_saveexec_b32 s7, s7
; %bb.9741:                             ;   in Loop: Header=BB6_9048 Depth=2
	s_delay_alu instid0(VALU_DEP_1)
	v_bfe_u32 v97, v98, 23, 1
; %bb.9742:                             ;   in Loop: Header=BB6_9048 Depth=2
	s_or_b32 exec_lo, exec_lo, s7
	v_lshrrev_b32_e32 v98, 20, v98
	s_delay_alu instid0(VALU_DEP_2) | instskip(SKIP_2) | instid1(VALU_DEP_1)
	v_cmp_gt_i32_e32 vcc_lo, 16, v97
	v_lshrrev_b32_e32 v144, 24, v147
	v_min_i32_e32 v147, 15, v97
	v_dual_cndmask_b32 v98, 7, v98 :: v_dual_lshlrev_b32 v147, 3, v147
	s_delay_alu instid0(VALU_DEP_1) | instskip(SKIP_1) | instid1(VALU_DEP_2)
	v_or_b32_e32 v97, v97, v98
	v_and_b32_e32 v150, 7, v98
	v_cmp_ne_u32_e32 vcc_lo, 0, v97
	v_and_b32_e32 v144, 0x80, v144
	s_delay_alu instid0(VALU_DEP_1) | instskip(NEXT) | instid1(VALU_DEP_1)
	v_or3_b32 v98, v147, v144, v150
	v_cndmask_b32_e32 v97, 0, v98, vcc_lo
.LBB6_9743:                             ;   in Loop: Header=BB6_9048 Depth=2
	s_or_b32 exec_lo, exec_lo, s26
.LBB6_9744:                             ;   in Loop: Header=BB6_9048 Depth=2
	s_delay_alu instid0(SALU_CYCLE_1) | instskip(SKIP_2) | instid1(VALU_DEP_1)
	s_or_b32 exec_lo, exec_lo, s25
	v_and_b32_e32 v98, 0xff, v86
	s_and_not1_b32 vcc_lo, exec_lo, s23
	v_cmp_lt_i16_e64 s7, 0x7f, v98
	s_cbranch_vccnz .LBB6_9754
; %bb.9745:                             ;   in Loop: Header=BB6_9048 Depth=2
	s_mov_b32 s25, 0
                                        ; implicit-def: $sgpr26
	s_delay_alu instid0(VALU_DEP_1) | instskip(NEXT) | instid1(SALU_CYCLE_1)
	s_and_saveexec_b32 s27, s7
	s_xor_b32 s7, exec_lo, s27
	s_cbranch_execnz .LBB6_10358
; %bb.9746:                             ;   in Loop: Header=BB6_9048 Depth=2
	s_or_saveexec_b32 s7, s7
	v_mov_b32_e32 v144, s26
	s_xor_b32 exec_lo, exec_lo, s7
	s_cbranch_execnz .LBB6_10361
.LBB6_9747:                             ;   in Loop: Header=BB6_9048 Depth=2
	s_or_b32 exec_lo, exec_lo, s7
	s_and_saveexec_b32 s7, s25
	s_cbranch_execz .LBB6_9749
.LBB6_9748:                             ;   in Loop: Header=BB6_9048 Depth=2
	v_lshrrev_b16 v161, 3, v86
	v_lshlrev_b32_e32 v164, 24, v86
	s_delay_alu instid0(VALU_DEP_2) | instskip(NEXT) | instid1(VALU_DEP_1)
	v_and_b32_e32 v161, 15, v161
	v_cmp_eq_u32_e32 vcc_lo, 0, v161
	v_and_b32_e32 v144, 7, v86
	s_delay_alu instid0(VALU_DEP_1) | instskip(NEXT) | instid1(VALU_DEP_1)
	v_clz_i32_u32_e32 v147, v144
	v_min_u32_e32 v147, 32, v147
	s_delay_alu instid0(VALU_DEP_1) | instskip(SKIP_1) | instid1(VALU_DEP_1)
	v_subrev_nc_u32_e32 v150, 28, v147
	v_sub_nc_u32_e32 v147, 29, v147
	v_dual_cndmask_b32 v147, v161, v147 :: v_dual_lshlrev_b32 v150, v150, v86
	s_delay_alu instid0(VALU_DEP_1) | instskip(NEXT) | instid1(VALU_DEP_2)
	v_and_b32_e32 v150, 7, v150
	v_lshl_add_u32 v147, v147, 23, 0x3b800000
	s_delay_alu instid0(VALU_DEP_2) | instskip(SKIP_1) | instid1(VALU_DEP_2)
	v_cndmask_b32_e32 v144, v144, v150, vcc_lo
	v_and_b32_e32 v150, 0x80000000, v164
	v_lshlrev_b32_e32 v144, 20, v144
	s_delay_alu instid0(VALU_DEP_1)
	v_or3_b32 v144, v150, v147, v144
.LBB6_9749:                             ;   in Loop: Header=BB6_9048 Depth=2
	s_or_b32 exec_lo, exec_lo, s7
	s_waitcnt vmcnt(7) lgkmcnt(7)
	v_and_b32_e32 v150, 0xff, v85
	s_mov_b32 s7, 0
	s_mov_b32 s26, exec_lo
                                        ; implicit-def: $sgpr25
	s_delay_alu instid0(VALU_DEP_1)
	v_cmpx_lt_i16_e64 0x7f, v150
	s_xor_b32 s26, exec_lo, s26
	s_cbranch_execnz .LBB6_10362
; %bb.9750:                             ;   in Loop: Header=BB6_9048 Depth=2
	s_or_saveexec_b32 s26, s26
	v_mov_b32_e32 v147, s25
	s_xor_b32 exec_lo, exec_lo, s26
	s_cbranch_execnz .LBB6_10365
.LBB6_9751:                             ;   in Loop: Header=BB6_9048 Depth=2
	s_or_b32 exec_lo, exec_lo, s26
	s_and_saveexec_b32 s25, s7
	s_cbranch_execz .LBB6_9753
.LBB6_9752:                             ;   in Loop: Header=BB6_9048 Depth=2
	v_lshrrev_b16 v164, 3, v85
	v_lshlrev_b32_e32 v167, 24, v85
	s_delay_alu instid0(VALU_DEP_2) | instskip(NEXT) | instid1(VALU_DEP_1)
	v_and_b32_e32 v164, 15, v164
	v_cmp_eq_u32_e32 vcc_lo, 0, v164
	v_and_b32_e32 v147, 7, v85
	s_delay_alu instid0(VALU_DEP_1) | instskip(NEXT) | instid1(VALU_DEP_1)
	v_clz_i32_u32_e32 v150, v147
	v_min_u32_e32 v150, 32, v150
	s_delay_alu instid0(VALU_DEP_1) | instskip(SKIP_1) | instid1(VALU_DEP_1)
	v_subrev_nc_u32_e32 v161, 28, v150
	v_sub_nc_u32_e32 v150, 29, v150
	v_dual_cndmask_b32 v150, v164, v150 :: v_dual_lshlrev_b32 v161, v161, v85
	s_delay_alu instid0(VALU_DEP_1) | instskip(NEXT) | instid1(VALU_DEP_2)
	v_and_b32_e32 v161, 7, v161
	v_lshl_add_u32 v150, v150, 23, 0x3b800000
	s_delay_alu instid0(VALU_DEP_2) | instskip(SKIP_1) | instid1(VALU_DEP_2)
	v_cndmask_b32_e32 v147, v147, v161, vcc_lo
	v_and_b32_e32 v161, 0x80000000, v167
	v_lshlrev_b32_e32 v147, 20, v147
	s_delay_alu instid0(VALU_DEP_1)
	v_or3_b32 v147, v161, v150, v147
.LBB6_9753:                             ;   in Loop: Header=BB6_9048 Depth=2
	s_or_b32 exec_lo, exec_lo, s25
	s_delay_alu instid0(VALU_DEP_1) | instskip(SKIP_1) | instid1(VALU_DEP_1)
	v_dual_max_f32 v147, v147, v147 :: v_dual_max_f32 v144, v144, v144
	s_mov_b32 s7, 0
	v_max_f32_e32 v144, v144, v147
	s_branch .LBB6_9755
.LBB6_9754:                             ;   in Loop: Header=BB6_9048 Depth=2
	s_mov_b32 s7, -1
                                        ; implicit-def: $vgpr144
.LBB6_9755:                             ;   in Loop: Header=BB6_9048 Depth=2
	s_delay_alu instid0(SALU_CYCLE_1)
	s_and_b32 vcc_lo, exec_lo, s7
	s_cbranch_vccz .LBB6_9765
; %bb.9756:                             ;   in Loop: Header=BB6_9048 Depth=2
	s_mov_b32 s7, 0
	s_mov_b32 s26, exec_lo
                                        ; implicit-def: $sgpr25
	v_cmpx_lt_i16_e32 0x7f, v98
	s_xor_b32 s26, exec_lo, s26
	s_cbranch_execnz .LBB6_10366
; %bb.9757:                             ;   in Loop: Header=BB6_9048 Depth=2
	s_or_saveexec_b32 s26, s26
	v_mov_b32_e32 v144, s25
	s_xor_b32 exec_lo, exec_lo, s26
	s_cbranch_execnz .LBB6_10369
.LBB6_9758:                             ;   in Loop: Header=BB6_9048 Depth=2
	s_or_b32 exec_lo, exec_lo, s26
	s_and_saveexec_b32 s25, s7
	s_cbranch_execz .LBB6_9760
.LBB6_9759:                             ;   in Loop: Header=BB6_9048 Depth=2
	v_and_b32_e32 v98, 7, v86
	v_lshrrev_b16 v150, 3, v86
	s_delay_alu instid0(VALU_DEP_2) | instskip(NEXT) | instid1(VALU_DEP_2)
	v_clz_i32_u32_e32 v144, v98
	v_and_b32_e32 v150, 15, v150
	s_delay_alu instid0(VALU_DEP_2) | instskip(NEXT) | instid1(VALU_DEP_2)
	v_min_u32_e32 v144, 32, v144
	v_cmp_eq_u32_e32 vcc_lo, 0, v150
	s_delay_alu instid0(VALU_DEP_2) | instskip(SKIP_1) | instid1(VALU_DEP_1)
	v_subrev_nc_u32_e32 v147, 28, v144
	v_sub_nc_u32_e32 v144, 29, v144
	v_dual_cndmask_b32 v144, v150, v144 :: v_dual_lshlrev_b32 v147, v147, v86
	v_lshlrev_b32_e32 v86, 24, v86
	s_delay_alu instid0(VALU_DEP_2) | instskip(NEXT) | instid1(VALU_DEP_3)
	v_and_b32_e32 v147, 7, v147
	v_lshl_add_u32 v144, v144, 23, 0x3b800000
	s_delay_alu instid0(VALU_DEP_3) | instskip(NEXT) | instid1(VALU_DEP_3)
	v_and_b32_e32 v86, 0x80000000, v86
	v_cndmask_b32_e32 v98, v98, v147, vcc_lo
	s_delay_alu instid0(VALU_DEP_1) | instskip(NEXT) | instid1(VALU_DEP_1)
	v_lshlrev_b32_e32 v98, 20, v98
	v_or3_b32 v144, v86, v144, v98
.LBB6_9760:                             ;   in Loop: Header=BB6_9048 Depth=2
	s_or_b32 exec_lo, exec_lo, s25
	s_waitcnt vmcnt(7) lgkmcnt(7)
	v_and_b32_e32 v98, 0xff, v85
	s_mov_b32 s7, 0
	s_mov_b32 s26, exec_lo
                                        ; implicit-def: $sgpr25
	s_delay_alu instid0(VALU_DEP_1)
	v_cmpx_lt_i16_e32 0x7f, v98
	s_xor_b32 s26, exec_lo, s26
	s_cbranch_execnz .LBB6_10370
; %bb.9761:                             ;   in Loop: Header=BB6_9048 Depth=2
	s_or_saveexec_b32 s26, s26
	v_mov_b32_e32 v86, s25
	s_xor_b32 exec_lo, exec_lo, s26
	s_cbranch_execnz .LBB6_10373
.LBB6_9762:                             ;   in Loop: Header=BB6_9048 Depth=2
	s_or_b32 exec_lo, exec_lo, s26
	s_and_saveexec_b32 s25, s7
	s_cbranch_execz .LBB6_9764
.LBB6_9763:                             ;   in Loop: Header=BB6_9048 Depth=2
	v_and_b32_e32 v86, 7, v85
	v_lshrrev_b16 v150, 3, v85
	s_delay_alu instid0(VALU_DEP_2) | instskip(NEXT) | instid1(VALU_DEP_2)
	v_clz_i32_u32_e32 v98, v86
	v_and_b32_e32 v150, 15, v150
	s_delay_alu instid0(VALU_DEP_2) | instskip(NEXT) | instid1(VALU_DEP_2)
	v_min_u32_e32 v98, 32, v98
	v_cmp_eq_u32_e32 vcc_lo, 0, v150
	s_delay_alu instid0(VALU_DEP_2) | instskip(SKIP_1) | instid1(VALU_DEP_1)
	v_subrev_nc_u32_e32 v147, 28, v98
	v_sub_nc_u32_e32 v98, 29, v98
	v_dual_cndmask_b32 v98, v150, v98 :: v_dual_lshlrev_b32 v147, v147, v85
	s_delay_alu instid0(VALU_DEP_1) | instskip(SKIP_1) | instid1(VALU_DEP_3)
	v_and_b32_e32 v147, 7, v147
	v_lshlrev_b32_e32 v85, 24, v85
	v_lshl_add_u32 v98, v98, 23, 0x3b800000
	s_delay_alu instid0(VALU_DEP_2) | instskip(NEXT) | instid1(VALU_DEP_1)
	v_dual_cndmask_b32 v86, v86, v147 :: v_dual_and_b32 v85, 0x80000000, v85
	v_lshlrev_b32_e32 v86, 20, v86
	s_delay_alu instid0(VALU_DEP_1)
	v_or3_b32 v86, v85, v98, v86
.LBB6_9764:                             ;   in Loop: Header=BB6_9048 Depth=2
	s_or_b32 exec_lo, exec_lo, s25
	s_delay_alu instid0(VALU_DEP_1) | instskip(NEXT) | instid1(VALU_DEP_1)
	v_dual_max_f32 v85, v86, v86 :: v_dual_max_f32 v86, v144, v144
	v_min_f32_e32 v144, v86, v85
.LBB6_9765:                             ;   in Loop: Header=BB6_9048 Depth=2
	s_waitcnt vmcnt(7) lgkmcnt(7)
	s_delay_alu instid0(VALU_DEP_1) | instskip(NEXT) | instid1(VALU_DEP_1)
	v_and_b32_e32 v85, 0x7f800000, v144
	v_cmp_ne_u32_e32 vcc_lo, 0x7f800000, v85
	v_mov_b32_e32 v85, 0x80
	s_and_saveexec_b32 s25, vcc_lo
	s_cbranch_execz .LBB6_9773
; %bb.9766:                             ;   in Loop: Header=BB6_9048 Depth=2
	v_mov_b32_e32 v85, 0
	s_mov_b32 s26, exec_lo
	v_cmpx_ne_u32_e32 0, v144
	s_cbranch_execz .LBB6_9772
; %bb.9767:                             ;   in Loop: Header=BB6_9048 Depth=2
	v_bfe_u32 v85, v144, 23, 8
	v_and_b32_e32 v86, 0x7fffff, v144
	s_delay_alu instid0(VALU_DEP_2) | instskip(SKIP_1) | instid1(VALU_DEP_3)
	v_sub_nc_u32_e32 v98, 0x78, v85
	v_cmp_gt_u32_e32 vcc_lo, 0x79, v85
	v_or_b32_e32 v147, 0x800000, v86
	s_delay_alu instid0(VALU_DEP_3) | instskip(SKIP_2) | instid1(VALU_DEP_3)
	v_cndmask_b32_e32 v98, 0, v98, vcc_lo
	v_cmp_eq_u32_e32 vcc_lo, 0, v85
	v_add_nc_u32_e32 v85, 0xffffff89, v85
	v_cndmask_b32_e64 v98, v98, 0x77, vcc_lo
	v_cndmask_b32_e32 v86, v147, v86, vcc_lo
	s_delay_alu instid0(VALU_DEP_3) | instskip(NEXT) | instid1(VALU_DEP_3)
	v_cndmask_b32_e64 v85, v85, 0xffffff8a, vcc_lo
	v_lshl_add_u32 v147, 0x100000, v98, -1
	s_delay_alu instid0(VALU_DEP_3) | instskip(SKIP_1) | instid1(VALU_DEP_4)
	v_lshrrev_b32_e32 v150, v98, v86
	v_lshlrev_b32_e64 v164, v98, 0x80000
	v_add_nc_u32_e32 v98, v98, v85
	s_delay_alu instid0(VALU_DEP_4) | instskip(NEXT) | instid1(VALU_DEP_4)
	v_and_b32_e32 v86, v147, v86
	v_bfe_u32 v161, v150, 20, 1
	s_delay_alu instid0(VALU_DEP_2) | instskip(NEXT) | instid1(VALU_DEP_2)
	v_cmp_eq_u32_e64 s7, v86, v164
	v_add_nc_u32_e32 v147, -1, v161
	s_delay_alu instid0(VALU_DEP_1) | instskip(SKIP_2) | instid1(VALU_DEP_2)
	v_cndmask_b32_e64 v86, 0, v147, s7
	v_lshrrev_b32_e32 v147, 23, v150
	s_mov_b32 s7, exec_lo
	v_add_nc_u32_e32 v86, v86, v150
	s_delay_alu instid0(VALU_DEP_2) | instskip(NEXT) | instid1(VALU_DEP_2)
	v_xor_b32_e32 v147, 1, v147
	v_and_b32_e32 v85, 0xfffff, v86
	s_delay_alu instid0(VALU_DEP_1) | instskip(NEXT) | instid1(VALU_DEP_3)
	v_add_nc_u32_e32 v86, v85, v150
                                        ; implicit-def: $vgpr85
	v_cmpx_ne_u32_e64 v98, v147
	s_xor_b32 s7, exec_lo, s7
; %bb.9768:                             ;   in Loop: Header=BB6_9048 Depth=2
	s_delay_alu instid0(VALU_DEP_2) | instskip(SKIP_2) | instid1(VALU_DEP_2)
	v_cmp_lt_u32_e32 vcc_lo, 0xffffff, v86
	v_sub_nc_u32_e32 v85, v98, v147
	v_cndmask_b32_e64 v98, 0, 1, vcc_lo
	v_add_co_ci_u32_e32 v85, vcc_lo, 0, v85, vcc_lo
	s_delay_alu instid0(VALU_DEP_2)
	v_lshrrev_b32_e32 v86, v98, v86
; %bb.9769:                             ;   in Loop: Header=BB6_9048 Depth=2
	s_and_not1_saveexec_b32 s7, s7
; %bb.9770:                             ;   in Loop: Header=BB6_9048 Depth=2
	s_delay_alu instid0(VALU_DEP_1)
	v_bfe_u32 v85, v86, 23, 1
; %bb.9771:                             ;   in Loop: Header=BB6_9048 Depth=2
	s_or_b32 exec_lo, exec_lo, s7
	v_lshrrev_b32_e32 v86, 20, v86
	s_delay_alu instid0(VALU_DEP_2) | instskip(SKIP_2) | instid1(VALU_DEP_4)
	v_cmp_gt_i32_e32 vcc_lo, 16, v85
	v_lshrrev_b32_e32 v98, 24, v144
	v_min_i32_e32 v144, 15, v85
	v_cndmask_b32_e32 v86, 7, v86, vcc_lo
	s_delay_alu instid0(VALU_DEP_3) | instskip(NEXT) | instid1(VALU_DEP_2)
	v_and_b32_e32 v98, 0x80, v98
	v_or_b32_e32 v85, v85, v86
	v_and_b32_e32 v147, 7, v86
	s_delay_alu instid0(VALU_DEP_2) | instskip(SKIP_1) | instid1(VALU_DEP_1)
	v_cmp_ne_u32_e32 vcc_lo, 0, v85
	v_lshlrev_b32_e32 v144, 3, v144
	v_or3_b32 v86, v144, v98, v147
	s_delay_alu instid0(VALU_DEP_1)
	v_cndmask_b32_e32 v85, 0, v86, vcc_lo
.LBB6_9772:                             ;   in Loop: Header=BB6_9048 Depth=2
	s_or_b32 exec_lo, exec_lo, s26
.LBB6_9773:                             ;   in Loop: Header=BB6_9048 Depth=2
	s_delay_alu instid0(SALU_CYCLE_1) | instskip(SKIP_2) | instid1(VALU_DEP_1)
	s_or_b32 exec_lo, exec_lo, s25
	v_and_b32_e32 v86, 0xff, v50
	s_and_not1_b32 vcc_lo, exec_lo, s23
	v_cmp_lt_i16_e64 s7, 0x7f, v86
	s_cbranch_vccnz .LBB6_9783
; %bb.9774:                             ;   in Loop: Header=BB6_9048 Depth=2
	s_mov_b32 s25, 0
                                        ; implicit-def: $sgpr26
	s_delay_alu instid0(VALU_DEP_1) | instskip(NEXT) | instid1(SALU_CYCLE_1)
	s_and_saveexec_b32 s27, s7
	s_xor_b32 s7, exec_lo, s27
	s_cbranch_execnz .LBB6_10374
; %bb.9775:                             ;   in Loop: Header=BB6_9048 Depth=2
	s_or_saveexec_b32 s7, s7
	v_mov_b32_e32 v98, s26
	s_xor_b32 exec_lo, exec_lo, s7
	s_cbranch_execnz .LBB6_10377
.LBB6_9776:                             ;   in Loop: Header=BB6_9048 Depth=2
	s_or_b32 exec_lo, exec_lo, s7
	s_and_saveexec_b32 s7, s25
	s_cbranch_execz .LBB6_9778
.LBB6_9777:                             ;   in Loop: Header=BB6_9048 Depth=2
	v_and_b32_e32 v98, 7, v50
	v_lshrrev_b16 v150, 3, v50
	s_delay_alu instid0(VALU_DEP_2) | instskip(NEXT) | instid1(VALU_DEP_2)
	v_clz_i32_u32_e32 v144, v98
	v_and_b32_e32 v150, 15, v150
	s_delay_alu instid0(VALU_DEP_2) | instskip(NEXT) | instid1(VALU_DEP_2)
	v_min_u32_e32 v144, 32, v144
	v_cmp_eq_u32_e32 vcc_lo, 0, v150
	s_delay_alu instid0(VALU_DEP_2) | instskip(SKIP_1) | instid1(VALU_DEP_1)
	v_subrev_nc_u32_e32 v147, 28, v144
	v_sub_nc_u32_e32 v144, 29, v144
	v_dual_cndmask_b32 v144, v150, v144 :: v_dual_lshlrev_b32 v147, v147, v50
	s_delay_alu instid0(VALU_DEP_1) | instskip(SKIP_1) | instid1(VALU_DEP_3)
	v_and_b32_e32 v147, 7, v147
	v_lshlrev_b32_e32 v161, 24, v50
	v_lshl_add_u32 v144, v144, 23, 0x3b800000
	s_delay_alu instid0(VALU_DEP_2) | instskip(NEXT) | instid1(VALU_DEP_1)
	v_dual_cndmask_b32 v98, v98, v147 :: v_dual_and_b32 v147, 0x80000000, v161
	v_lshlrev_b32_e32 v98, 20, v98
	s_delay_alu instid0(VALU_DEP_1)
	v_or3_b32 v98, v147, v144, v98
.LBB6_9778:                             ;   in Loop: Header=BB6_9048 Depth=2
	s_or_b32 exec_lo, exec_lo, s7
	s_waitcnt vmcnt(6) lgkmcnt(6)
	v_and_b32_e32 v147, 0xff, v49
	s_mov_b32 s7, 0
	s_mov_b32 s26, exec_lo
                                        ; implicit-def: $sgpr25
	s_delay_alu instid0(VALU_DEP_1)
	v_cmpx_lt_i16_e64 0x7f, v147
	s_xor_b32 s26, exec_lo, s26
	s_cbranch_execnz .LBB6_10378
; %bb.9779:                             ;   in Loop: Header=BB6_9048 Depth=2
	s_or_saveexec_b32 s26, s26
	v_mov_b32_e32 v144, s25
	s_xor_b32 exec_lo, exec_lo, s26
	s_cbranch_execnz .LBB6_10381
.LBB6_9780:                             ;   in Loop: Header=BB6_9048 Depth=2
	s_or_b32 exec_lo, exec_lo, s26
	s_and_saveexec_b32 s25, s7
	s_cbranch_execz .LBB6_9782
.LBB6_9781:                             ;   in Loop: Header=BB6_9048 Depth=2
	v_lshrrev_b16 v161, 3, v49
	v_lshlrev_b32_e32 v164, 24, v49
	s_delay_alu instid0(VALU_DEP_2) | instskip(NEXT) | instid1(VALU_DEP_1)
	v_and_b32_e32 v161, 15, v161
	v_cmp_eq_u32_e32 vcc_lo, 0, v161
	v_and_b32_e32 v144, 7, v49
	s_delay_alu instid0(VALU_DEP_1) | instskip(NEXT) | instid1(VALU_DEP_1)
	v_clz_i32_u32_e32 v147, v144
	v_min_u32_e32 v147, 32, v147
	s_delay_alu instid0(VALU_DEP_1) | instskip(SKIP_1) | instid1(VALU_DEP_1)
	v_subrev_nc_u32_e32 v150, 28, v147
	v_sub_nc_u32_e32 v147, 29, v147
	v_dual_cndmask_b32 v147, v161, v147 :: v_dual_lshlrev_b32 v150, v150, v49
	s_delay_alu instid0(VALU_DEP_1) | instskip(NEXT) | instid1(VALU_DEP_2)
	v_and_b32_e32 v150, 7, v150
	v_lshl_add_u32 v147, v147, 23, 0x3b800000
	s_delay_alu instid0(VALU_DEP_2) | instskip(SKIP_1) | instid1(VALU_DEP_2)
	v_cndmask_b32_e32 v144, v144, v150, vcc_lo
	v_and_b32_e32 v150, 0x80000000, v164
	v_lshlrev_b32_e32 v144, 20, v144
	s_delay_alu instid0(VALU_DEP_1)
	v_or3_b32 v144, v150, v147, v144
.LBB6_9782:                             ;   in Loop: Header=BB6_9048 Depth=2
	s_or_b32 exec_lo, exec_lo, s25
	s_delay_alu instid0(VALU_DEP_1) | instskip(SKIP_2) | instid1(VALU_DEP_1)
	v_max_f32_e32 v144, v144, v144
	v_max_f32_e32 v98, v98, v98
	s_mov_b32 s7, 0
	v_max_f32_e32 v98, v98, v144
	s_branch .LBB6_9784
.LBB6_9783:                             ;   in Loop: Header=BB6_9048 Depth=2
	s_mov_b32 s7, -1
                                        ; implicit-def: $vgpr98
.LBB6_9784:                             ;   in Loop: Header=BB6_9048 Depth=2
	s_delay_alu instid0(SALU_CYCLE_1)
	s_and_b32 vcc_lo, exec_lo, s7
	s_cbranch_vccz .LBB6_9794
; %bb.9785:                             ;   in Loop: Header=BB6_9048 Depth=2
	s_mov_b32 s7, 0
	s_mov_b32 s26, exec_lo
                                        ; implicit-def: $sgpr25
	v_cmpx_lt_i16_e32 0x7f, v86
	s_xor_b32 s26, exec_lo, s26
	s_cbranch_execnz .LBB6_10382
; %bb.9786:                             ;   in Loop: Header=BB6_9048 Depth=2
	s_or_saveexec_b32 s26, s26
	v_mov_b32_e32 v98, s25
	s_xor_b32 exec_lo, exec_lo, s26
	s_cbranch_execnz .LBB6_10385
.LBB6_9787:                             ;   in Loop: Header=BB6_9048 Depth=2
	s_or_b32 exec_lo, exec_lo, s26
	s_and_saveexec_b32 s25, s7
	s_cbranch_execz .LBB6_9789
.LBB6_9788:                             ;   in Loop: Header=BB6_9048 Depth=2
	v_and_b32_e32 v86, 7, v50
	v_lshrrev_b16 v147, 3, v50
	s_delay_alu instid0(VALU_DEP_2) | instskip(NEXT) | instid1(VALU_DEP_1)
	v_clz_i32_u32_e32 v98, v86
	v_min_u32_e32 v98, 32, v98
	s_delay_alu instid0(VALU_DEP_1) | instskip(SKIP_1) | instid1(VALU_DEP_2)
	v_subrev_nc_u32_e32 v144, 28, v98
	v_sub_nc_u32_e32 v98, 29, v98
	v_lshlrev_b32_e32 v144, v144, v50
	v_lshlrev_b32_e32 v50, 24, v50
	s_delay_alu instid0(VALU_DEP_2) | instskip(SKIP_1) | instid1(VALU_DEP_3)
	v_and_b32_e32 v144, 7, v144
	v_and_b32_e32 v147, 15, v147
	v_and_b32_e32 v50, 0x80000000, v50
	s_delay_alu instid0(VALU_DEP_2) | instskip(NEXT) | instid1(VALU_DEP_4)
	v_cmp_eq_u32_e32 vcc_lo, 0, v147
	v_cndmask_b32_e32 v86, v86, v144, vcc_lo
	v_cndmask_b32_e32 v98, v147, v98, vcc_lo
	s_delay_alu instid0(VALU_DEP_2) | instskip(NEXT) | instid1(VALU_DEP_2)
	v_lshlrev_b32_e32 v86, 20, v86
	v_lshl_add_u32 v98, v98, 23, 0x3b800000
	s_delay_alu instid0(VALU_DEP_1)
	v_or3_b32 v98, v50, v98, v86
.LBB6_9789:                             ;   in Loop: Header=BB6_9048 Depth=2
	s_or_b32 exec_lo, exec_lo, s25
	s_waitcnt vmcnt(6) lgkmcnt(6)
	v_and_b32_e32 v86, 0xff, v49
	s_mov_b32 s7, 0
	s_mov_b32 s26, exec_lo
                                        ; implicit-def: $sgpr25
	s_delay_alu instid0(VALU_DEP_1)
	v_cmpx_lt_i16_e32 0x7f, v86
	s_xor_b32 s26, exec_lo, s26
	s_cbranch_execnz .LBB6_10386
; %bb.9790:                             ;   in Loop: Header=BB6_9048 Depth=2
	s_or_saveexec_b32 s26, s26
	v_mov_b32_e32 v50, s25
	s_xor_b32 exec_lo, exec_lo, s26
	s_cbranch_execnz .LBB6_10389
.LBB6_9791:                             ;   in Loop: Header=BB6_9048 Depth=2
	s_or_b32 exec_lo, exec_lo, s26
	s_and_saveexec_b32 s25, s7
	s_cbranch_execz .LBB6_9793
.LBB6_9792:                             ;   in Loop: Header=BB6_9048 Depth=2
	v_and_b32_e32 v50, 7, v49
	v_lshrrev_b16 v147, 3, v49
	s_delay_alu instid0(VALU_DEP_2) | instskip(NEXT) | instid1(VALU_DEP_1)
	v_clz_i32_u32_e32 v86, v50
	v_min_u32_e32 v86, 32, v86
	s_delay_alu instid0(VALU_DEP_1) | instskip(SKIP_1) | instid1(VALU_DEP_2)
	v_subrev_nc_u32_e32 v144, 28, v86
	v_sub_nc_u32_e32 v86, 29, v86
	v_lshlrev_b32_e32 v144, v144, v49
	s_delay_alu instid0(VALU_DEP_1) | instskip(SKIP_1) | instid1(VALU_DEP_1)
	v_and_b32_e32 v144, 7, v144
	v_and_b32_e32 v147, 15, v147
	v_cmp_eq_u32_e32 vcc_lo, 0, v147
	s_delay_alu instid0(VALU_DEP_3) | instskip(SKIP_1) | instid1(VALU_DEP_2)
	v_dual_cndmask_b32 v50, v50, v144 :: v_dual_lshlrev_b32 v49, 24, v49
	v_cndmask_b32_e32 v86, v147, v86, vcc_lo
	v_lshlrev_b32_e32 v50, 20, v50
	s_delay_alu instid0(VALU_DEP_3) | instskip(NEXT) | instid1(VALU_DEP_3)
	v_and_b32_e32 v49, 0x80000000, v49
	v_lshl_add_u32 v86, v86, 23, 0x3b800000
	s_delay_alu instid0(VALU_DEP_1)
	v_or3_b32 v50, v49, v86, v50
.LBB6_9793:                             ;   in Loop: Header=BB6_9048 Depth=2
	s_or_b32 exec_lo, exec_lo, s25
	s_delay_alu instid0(VALU_DEP_1) | instskip(SKIP_1) | instid1(VALU_DEP_1)
	v_max_f32_e32 v49, v50, v50
	v_max_f32_e32 v50, v98, v98
	v_min_f32_e32 v98, v50, v49
.LBB6_9794:                             ;   in Loop: Header=BB6_9048 Depth=2
	s_waitcnt vmcnt(6) lgkmcnt(6)
	s_delay_alu instid0(VALU_DEP_1) | instskip(NEXT) | instid1(VALU_DEP_1)
	v_and_b32_e32 v49, 0x7f800000, v98
	v_cmp_ne_u32_e32 vcc_lo, 0x7f800000, v49
	v_mov_b32_e32 v49, 0x80
	s_and_saveexec_b32 s25, vcc_lo
	s_cbranch_execz .LBB6_9802
; %bb.9795:                             ;   in Loop: Header=BB6_9048 Depth=2
	v_mov_b32_e32 v49, 0
	s_mov_b32 s26, exec_lo
	v_cmpx_ne_u32_e32 0, v98
	s_cbranch_execz .LBB6_9801
; %bb.9796:                             ;   in Loop: Header=BB6_9048 Depth=2
	v_bfe_u32 v49, v98, 23, 8
	v_and_b32_e32 v50, 0x7fffff, v98
	s_delay_alu instid0(VALU_DEP_2) | instskip(SKIP_1) | instid1(VALU_DEP_3)
	v_sub_nc_u32_e32 v86, 0x78, v49
	v_cmp_gt_u32_e32 vcc_lo, 0x79, v49
	v_or_b32_e32 v144, 0x800000, v50
	s_delay_alu instid0(VALU_DEP_3) | instskip(SKIP_2) | instid1(VALU_DEP_3)
	v_cndmask_b32_e32 v86, 0, v86, vcc_lo
	v_cmp_eq_u32_e32 vcc_lo, 0, v49
	v_add_nc_u32_e32 v49, 0xffffff89, v49
	v_cndmask_b32_e64 v86, v86, 0x77, vcc_lo
	v_cndmask_b32_e32 v50, v144, v50, vcc_lo
	s_delay_alu instid0(VALU_DEP_3) | instskip(NEXT) | instid1(VALU_DEP_3)
	v_cndmask_b32_e64 v49, v49, 0xffffff8a, vcc_lo
	v_lshl_add_u32 v144, 0x100000, v86, -1
	s_delay_alu instid0(VALU_DEP_3) | instskip(SKIP_1) | instid1(VALU_DEP_4)
	v_lshrrev_b32_e32 v147, v86, v50
	v_lshlrev_b32_e64 v161, v86, 0x80000
	v_add_nc_u32_e32 v86, v86, v49
	s_delay_alu instid0(VALU_DEP_4) | instskip(NEXT) | instid1(VALU_DEP_4)
	v_and_b32_e32 v50, v144, v50
	v_bfe_u32 v150, v147, 20, 1
	s_delay_alu instid0(VALU_DEP_2) | instskip(NEXT) | instid1(VALU_DEP_2)
	v_cmp_eq_u32_e64 s7, v50, v161
	v_add_nc_u32_e32 v144, -1, v150
	s_delay_alu instid0(VALU_DEP_1) | instskip(SKIP_2) | instid1(VALU_DEP_2)
	v_cndmask_b32_e64 v50, 0, v144, s7
	v_lshrrev_b32_e32 v144, 23, v147
	s_mov_b32 s7, exec_lo
	v_add_nc_u32_e32 v50, v50, v147
	s_delay_alu instid0(VALU_DEP_2) | instskip(NEXT) | instid1(VALU_DEP_2)
	v_xor_b32_e32 v144, 1, v144
	v_and_b32_e32 v49, 0xfffff, v50
	s_delay_alu instid0(VALU_DEP_1) | instskip(NEXT) | instid1(VALU_DEP_3)
	v_add_nc_u32_e32 v50, v49, v147
                                        ; implicit-def: $vgpr49
	v_cmpx_ne_u32_e64 v86, v144
	s_xor_b32 s7, exec_lo, s7
; %bb.9797:                             ;   in Loop: Header=BB6_9048 Depth=2
	s_delay_alu instid0(VALU_DEP_2) | instskip(SKIP_2) | instid1(VALU_DEP_2)
	v_cmp_lt_u32_e32 vcc_lo, 0xffffff, v50
	v_sub_nc_u32_e32 v49, v86, v144
	v_cndmask_b32_e64 v86, 0, 1, vcc_lo
	v_add_co_ci_u32_e32 v49, vcc_lo, 0, v49, vcc_lo
	s_delay_alu instid0(VALU_DEP_2)
	v_lshrrev_b32_e32 v50, v86, v50
; %bb.9798:                             ;   in Loop: Header=BB6_9048 Depth=2
	s_and_not1_saveexec_b32 s7, s7
; %bb.9799:                             ;   in Loop: Header=BB6_9048 Depth=2
	s_delay_alu instid0(VALU_DEP_1)
	v_bfe_u32 v49, v50, 23, 1
; %bb.9800:                             ;   in Loop: Header=BB6_9048 Depth=2
	s_or_b32 exec_lo, exec_lo, s7
	v_lshrrev_b32_e32 v50, 20, v50
	s_delay_alu instid0(VALU_DEP_2) | instskip(SKIP_2) | instid1(VALU_DEP_4)
	v_cmp_gt_i32_e32 vcc_lo, 16, v49
	v_lshrrev_b32_e32 v86, 24, v98
	v_min_i32_e32 v98, 15, v49
	v_cndmask_b32_e32 v50, 7, v50, vcc_lo
	s_delay_alu instid0(VALU_DEP_3) | instskip(NEXT) | instid1(VALU_DEP_3)
	v_and_b32_e32 v86, 0x80, v86
	v_lshlrev_b32_e32 v98, 3, v98
	s_delay_alu instid0(VALU_DEP_3) | instskip(SKIP_1) | instid1(VALU_DEP_2)
	v_and_b32_e32 v144, 7, v50
	v_or_b32_e32 v49, v49, v50
	v_or3_b32 v50, v98, v86, v144
	s_delay_alu instid0(VALU_DEP_2) | instskip(NEXT) | instid1(VALU_DEP_2)
	v_cmp_ne_u32_e32 vcc_lo, 0, v49
	v_cndmask_b32_e32 v49, 0, v50, vcc_lo
.LBB6_9801:                             ;   in Loop: Header=BB6_9048 Depth=2
	s_or_b32 exec_lo, exec_lo, s26
.LBB6_9802:                             ;   in Loop: Header=BB6_9048 Depth=2
	s_delay_alu instid0(SALU_CYCLE_1) | instskip(SKIP_2) | instid1(VALU_DEP_1)
	s_or_b32 exec_lo, exec_lo, s25
	v_and_b32_e32 v50, 0xff, v39
	s_and_not1_b32 vcc_lo, exec_lo, s23
	v_cmp_lt_i16_e64 s7, 0x7f, v50
	s_cbranch_vccnz .LBB6_9812
; %bb.9803:                             ;   in Loop: Header=BB6_9048 Depth=2
	s_mov_b32 s25, 0
                                        ; implicit-def: $sgpr26
	s_delay_alu instid0(VALU_DEP_1) | instskip(NEXT) | instid1(SALU_CYCLE_1)
	s_and_saveexec_b32 s27, s7
	s_xor_b32 s7, exec_lo, s27
	s_cbranch_execnz .LBB6_10390
; %bb.9804:                             ;   in Loop: Header=BB6_9048 Depth=2
	s_or_saveexec_b32 s7, s7
	v_mov_b32_e32 v86, s26
	s_xor_b32 exec_lo, exec_lo, s7
	s_cbranch_execnz .LBB6_10393
.LBB6_9805:                             ;   in Loop: Header=BB6_9048 Depth=2
	s_or_b32 exec_lo, exec_lo, s7
	s_and_saveexec_b32 s7, s25
	s_cbranch_execz .LBB6_9807
.LBB6_9806:                             ;   in Loop: Header=BB6_9048 Depth=2
	v_and_b32_e32 v86, 7, v39
	v_lshrrev_b16 v147, 3, v39
	v_lshlrev_b32_e32 v150, 24, v39
	s_delay_alu instid0(VALU_DEP_3) | instskip(NEXT) | instid1(VALU_DEP_1)
	v_clz_i32_u32_e32 v98, v86
	v_min_u32_e32 v98, 32, v98
	s_delay_alu instid0(VALU_DEP_1) | instskip(SKIP_1) | instid1(VALU_DEP_2)
	v_subrev_nc_u32_e32 v144, 28, v98
	v_sub_nc_u32_e32 v98, 29, v98
	v_lshlrev_b32_e32 v144, v144, v39
	s_delay_alu instid0(VALU_DEP_1) | instskip(SKIP_1) | instid1(VALU_DEP_1)
	v_and_b32_e32 v144, 7, v144
	v_and_b32_e32 v147, 15, v147
	v_cmp_eq_u32_e32 vcc_lo, 0, v147
	s_delay_alu instid0(VALU_DEP_3) | instskip(SKIP_2) | instid1(VALU_DEP_3)
	v_cndmask_b32_e32 v86, v86, v144, vcc_lo
	v_cndmask_b32_e32 v98, v147, v98, vcc_lo
	v_and_b32_e32 v144, 0x80000000, v150
	v_lshlrev_b32_e32 v86, 20, v86
	s_delay_alu instid0(VALU_DEP_3) | instskip(NEXT) | instid1(VALU_DEP_1)
	v_lshl_add_u32 v98, v98, 23, 0x3b800000
	v_or3_b32 v86, v144, v98, v86
.LBB6_9807:                             ;   in Loop: Header=BB6_9048 Depth=2
	s_or_b32 exec_lo, exec_lo, s7
	s_waitcnt vmcnt(5) lgkmcnt(5)
	v_and_b32_e32 v144, 0xff, v38
	s_mov_b32 s7, 0
	s_mov_b32 s26, exec_lo
                                        ; implicit-def: $sgpr25
	s_delay_alu instid0(VALU_DEP_1)
	v_cmpx_lt_i16_e64 0x7f, v144
	s_xor_b32 s26, exec_lo, s26
	s_cbranch_execnz .LBB6_10394
; %bb.9808:                             ;   in Loop: Header=BB6_9048 Depth=2
	s_or_saveexec_b32 s26, s26
	v_mov_b32_e32 v98, s25
	s_xor_b32 exec_lo, exec_lo, s26
	s_cbranch_execnz .LBB6_10397
.LBB6_9809:                             ;   in Loop: Header=BB6_9048 Depth=2
	s_or_b32 exec_lo, exec_lo, s26
	s_and_saveexec_b32 s25, s7
	s_cbranch_execz .LBB6_9811
.LBB6_9810:                             ;   in Loop: Header=BB6_9048 Depth=2
	v_and_b32_e32 v98, 7, v38
	v_lshrrev_b16 v150, 3, v38
	s_delay_alu instid0(VALU_DEP_2) | instskip(NEXT) | instid1(VALU_DEP_2)
	v_clz_i32_u32_e32 v144, v98
	v_and_b32_e32 v150, 15, v150
	s_delay_alu instid0(VALU_DEP_2) | instskip(NEXT) | instid1(VALU_DEP_2)
	v_min_u32_e32 v144, 32, v144
	v_cmp_eq_u32_e32 vcc_lo, 0, v150
	s_delay_alu instid0(VALU_DEP_2) | instskip(SKIP_1) | instid1(VALU_DEP_1)
	v_subrev_nc_u32_e32 v147, 28, v144
	v_sub_nc_u32_e32 v144, 29, v144
	v_dual_cndmask_b32 v144, v150, v144 :: v_dual_lshlrev_b32 v147, v147, v38
	s_delay_alu instid0(VALU_DEP_1) | instskip(SKIP_1) | instid1(VALU_DEP_3)
	v_and_b32_e32 v147, 7, v147
	v_lshlrev_b32_e32 v161, 24, v38
	v_lshl_add_u32 v144, v144, 23, 0x3b800000
	s_delay_alu instid0(VALU_DEP_2) | instskip(NEXT) | instid1(VALU_DEP_1)
	v_dual_cndmask_b32 v98, v98, v147 :: v_dual_and_b32 v147, 0x80000000, v161
	v_lshlrev_b32_e32 v98, 20, v98
	s_delay_alu instid0(VALU_DEP_1)
	v_or3_b32 v98, v147, v144, v98
.LBB6_9811:                             ;   in Loop: Header=BB6_9048 Depth=2
	s_or_b32 exec_lo, exec_lo, s25
	s_delay_alu instid0(VALU_DEP_1) | instskip(SKIP_2) | instid1(VALU_DEP_1)
	v_max_f32_e32 v98, v98, v98
	v_max_f32_e32 v86, v86, v86
	s_mov_b32 s7, 0
	v_max_f32_e32 v86, v86, v98
	s_branch .LBB6_9813
.LBB6_9812:                             ;   in Loop: Header=BB6_9048 Depth=2
	s_mov_b32 s7, -1
                                        ; implicit-def: $vgpr86
.LBB6_9813:                             ;   in Loop: Header=BB6_9048 Depth=2
	s_delay_alu instid0(SALU_CYCLE_1)
	s_and_b32 vcc_lo, exec_lo, s7
	s_cbranch_vccz .LBB6_9823
; %bb.9814:                             ;   in Loop: Header=BB6_9048 Depth=2
	s_mov_b32 s7, 0
	s_mov_b32 s26, exec_lo
                                        ; implicit-def: $sgpr25
	v_cmpx_lt_i16_e32 0x7f, v50
	s_xor_b32 s26, exec_lo, s26
	s_cbranch_execnz .LBB6_10398
; %bb.9815:                             ;   in Loop: Header=BB6_9048 Depth=2
	s_or_saveexec_b32 s26, s26
	v_mov_b32_e32 v86, s25
	s_xor_b32 exec_lo, exec_lo, s26
	s_cbranch_execnz .LBB6_10401
.LBB6_9816:                             ;   in Loop: Header=BB6_9048 Depth=2
	s_or_b32 exec_lo, exec_lo, s26
	s_and_saveexec_b32 s25, s7
	s_cbranch_execz .LBB6_9818
.LBB6_9817:                             ;   in Loop: Header=BB6_9048 Depth=2
	v_and_b32_e32 v50, 7, v39
	v_lshrrev_b16 v144, 3, v39
	s_delay_alu instid0(VALU_DEP_2) | instskip(NEXT) | instid1(VALU_DEP_2)
	v_clz_i32_u32_e32 v86, v50
	v_and_b32_e32 v144, 15, v144
	s_delay_alu instid0(VALU_DEP_2) | instskip(NEXT) | instid1(VALU_DEP_2)
	v_min_u32_e32 v86, 32, v86
	v_cmp_eq_u32_e32 vcc_lo, 0, v144
	s_delay_alu instid0(VALU_DEP_2) | instskip(SKIP_1) | instid1(VALU_DEP_2)
	v_subrev_nc_u32_e32 v98, 28, v86
	v_sub_nc_u32_e32 v86, 29, v86
	v_lshlrev_b32_e32 v98, v98, v39
	s_delay_alu instid0(VALU_DEP_2) | instskip(NEXT) | instid1(VALU_DEP_2)
	v_dual_cndmask_b32 v86, v144, v86 :: v_dual_lshlrev_b32 v39, 24, v39
	v_and_b32_e32 v98, 7, v98
	s_delay_alu instid0(VALU_DEP_2) | instskip(NEXT) | instid1(VALU_DEP_3)
	v_and_b32_e32 v39, 0x80000000, v39
	v_lshl_add_u32 v86, v86, 23, 0x3b800000
	s_delay_alu instid0(VALU_DEP_3) | instskip(NEXT) | instid1(VALU_DEP_1)
	v_cndmask_b32_e32 v50, v50, v98, vcc_lo
	v_lshlrev_b32_e32 v50, 20, v50
	s_delay_alu instid0(VALU_DEP_1)
	v_or3_b32 v86, v39, v86, v50
.LBB6_9818:                             ;   in Loop: Header=BB6_9048 Depth=2
	s_or_b32 exec_lo, exec_lo, s25
	s_waitcnt vmcnt(5) lgkmcnt(5)
	v_and_b32_e32 v50, 0xff, v38
	s_mov_b32 s7, 0
	s_mov_b32 s26, exec_lo
                                        ; implicit-def: $sgpr25
	s_delay_alu instid0(VALU_DEP_1)
	v_cmpx_lt_i16_e32 0x7f, v50
	s_xor_b32 s26, exec_lo, s26
	s_cbranch_execnz .LBB6_10402
; %bb.9819:                             ;   in Loop: Header=BB6_9048 Depth=2
	s_or_saveexec_b32 s26, s26
	v_mov_b32_e32 v39, s25
	s_xor_b32 exec_lo, exec_lo, s26
	s_cbranch_execnz .LBB6_10405
.LBB6_9820:                             ;   in Loop: Header=BB6_9048 Depth=2
	s_or_b32 exec_lo, exec_lo, s26
	s_and_saveexec_b32 s25, s7
	s_cbranch_execz .LBB6_9822
.LBB6_9821:                             ;   in Loop: Header=BB6_9048 Depth=2
	v_and_b32_e32 v39, 7, v38
	v_lshrrev_b16 v144, 3, v38
	s_delay_alu instid0(VALU_DEP_2) | instskip(NEXT) | instid1(VALU_DEP_1)
	v_clz_i32_u32_e32 v50, v39
	v_min_u32_e32 v50, 32, v50
	s_delay_alu instid0(VALU_DEP_1) | instskip(SKIP_1) | instid1(VALU_DEP_2)
	v_subrev_nc_u32_e32 v98, 28, v50
	v_sub_nc_u32_e32 v50, 29, v50
	v_lshlrev_b32_e32 v98, v98, v38
	v_lshlrev_b32_e32 v38, 24, v38
	s_delay_alu instid0(VALU_DEP_2) | instskip(SKIP_1) | instid1(VALU_DEP_3)
	v_and_b32_e32 v98, 7, v98
	v_and_b32_e32 v144, 15, v144
	;; [unrolled: 1-line block ×3, first 2 shown]
	s_delay_alu instid0(VALU_DEP_2) | instskip(NEXT) | instid1(VALU_DEP_4)
	v_cmp_eq_u32_e32 vcc_lo, 0, v144
	v_cndmask_b32_e32 v39, v39, v98, vcc_lo
	s_delay_alu instid0(VALU_DEP_1) | instskip(NEXT) | instid1(VALU_DEP_1)
	v_dual_cndmask_b32 v50, v144, v50 :: v_dual_lshlrev_b32 v39, 20, v39
	v_lshl_add_u32 v50, v50, 23, 0x3b800000
	s_delay_alu instid0(VALU_DEP_1)
	v_or3_b32 v39, v38, v50, v39
.LBB6_9822:                             ;   in Loop: Header=BB6_9048 Depth=2
	s_or_b32 exec_lo, exec_lo, s25
	s_delay_alu instid0(VALU_DEP_1) | instskip(NEXT) | instid1(VALU_DEP_1)
	v_dual_max_f32 v38, v39, v39 :: v_dual_max_f32 v39, v86, v86
	v_min_f32_e32 v86, v39, v38
.LBB6_9823:                             ;   in Loop: Header=BB6_9048 Depth=2
	s_waitcnt vmcnt(5) lgkmcnt(5)
	s_delay_alu instid0(VALU_DEP_1) | instskip(NEXT) | instid1(VALU_DEP_1)
	v_and_b32_e32 v38, 0x7f800000, v86
	v_cmp_ne_u32_e32 vcc_lo, 0x7f800000, v38
	v_mov_b32_e32 v38, 0x80
	s_and_saveexec_b32 s25, vcc_lo
	s_cbranch_execz .LBB6_9831
; %bb.9824:                             ;   in Loop: Header=BB6_9048 Depth=2
	v_mov_b32_e32 v38, 0
	s_mov_b32 s26, exec_lo
	v_cmpx_ne_u32_e32 0, v86
	s_cbranch_execz .LBB6_9830
; %bb.9825:                             ;   in Loop: Header=BB6_9048 Depth=2
	v_bfe_u32 v38, v86, 23, 8
	v_and_b32_e32 v39, 0x7fffff, v86
	s_delay_alu instid0(VALU_DEP_2) | instskip(SKIP_1) | instid1(VALU_DEP_3)
	v_sub_nc_u32_e32 v50, 0x78, v38
	v_cmp_gt_u32_e32 vcc_lo, 0x79, v38
	v_or_b32_e32 v98, 0x800000, v39
	s_delay_alu instid0(VALU_DEP_3) | instskip(SKIP_1) | instid1(VALU_DEP_3)
	v_cndmask_b32_e32 v50, 0, v50, vcc_lo
	v_cmp_eq_u32_e32 vcc_lo, 0, v38
	v_dual_cndmask_b32 v39, v98, v39 :: v_dual_add_nc_u32 v38, 0xffffff89, v38
	s_delay_alu instid0(VALU_DEP_3) | instskip(NEXT) | instid1(VALU_DEP_2)
	v_cndmask_b32_e64 v50, v50, 0x77, vcc_lo
	v_cndmask_b32_e64 v38, v38, 0xffffff8a, vcc_lo
	s_delay_alu instid0(VALU_DEP_2) | instskip(SKIP_2) | instid1(VALU_DEP_4)
	v_lshrrev_b32_e32 v144, v50, v39
	v_lshl_add_u32 v98, 0x100000, v50, -1
	v_lshlrev_b32_e64 v150, v50, 0x80000
	v_add_nc_u32_e32 v50, v50, v38
	s_delay_alu instid0(VALU_DEP_4) | instskip(NEXT) | instid1(VALU_DEP_4)
	v_bfe_u32 v147, v144, 20, 1
	v_and_b32_e32 v39, v98, v39
	s_delay_alu instid0(VALU_DEP_2) | instskip(NEXT) | instid1(VALU_DEP_2)
	v_add_nc_u32_e32 v98, -1, v147
	v_cmp_eq_u32_e64 s7, v39, v150
	s_delay_alu instid0(VALU_DEP_1) | instskip(SKIP_2) | instid1(VALU_DEP_2)
	v_cndmask_b32_e64 v39, 0, v98, s7
	v_lshrrev_b32_e32 v98, 23, v144
	s_mov_b32 s7, exec_lo
	v_add_nc_u32_e32 v39, v39, v144
	s_delay_alu instid0(VALU_DEP_2) | instskip(NEXT) | instid1(VALU_DEP_2)
	v_xor_b32_e32 v98, 1, v98
	v_and_b32_e32 v38, 0xfffff, v39
	s_delay_alu instid0(VALU_DEP_1) | instskip(NEXT) | instid1(VALU_DEP_3)
	v_add_nc_u32_e32 v39, v38, v144
                                        ; implicit-def: $vgpr38
	v_cmpx_ne_u32_e64 v50, v98
	s_xor_b32 s7, exec_lo, s7
; %bb.9826:                             ;   in Loop: Header=BB6_9048 Depth=2
	s_delay_alu instid0(VALU_DEP_2) | instskip(SKIP_2) | instid1(VALU_DEP_2)
	v_cmp_lt_u32_e32 vcc_lo, 0xffffff, v39
	v_sub_nc_u32_e32 v38, v50, v98
	v_cndmask_b32_e64 v50, 0, 1, vcc_lo
	v_add_co_ci_u32_e32 v38, vcc_lo, 0, v38, vcc_lo
	s_delay_alu instid0(VALU_DEP_2)
	v_lshrrev_b32_e32 v39, v50, v39
; %bb.9827:                             ;   in Loop: Header=BB6_9048 Depth=2
	s_and_not1_saveexec_b32 s7, s7
; %bb.9828:                             ;   in Loop: Header=BB6_9048 Depth=2
	s_delay_alu instid0(VALU_DEP_1)
	v_bfe_u32 v38, v39, 23, 1
; %bb.9829:                             ;   in Loop: Header=BB6_9048 Depth=2
	s_or_b32 exec_lo, exec_lo, s7
	v_lshrrev_b32_e32 v39, 20, v39
	s_delay_alu instid0(VALU_DEP_2) | instskip(SKIP_2) | instid1(VALU_DEP_2)
	v_cmp_gt_i32_e32 vcc_lo, 16, v38
	v_lshrrev_b32_e32 v50, 24, v86
	v_min_i32_e32 v86, 15, v38
	v_dual_cndmask_b32 v39, 7, v39 :: v_dual_and_b32 v50, 0x80, v50
	s_delay_alu instid0(VALU_DEP_2) | instskip(NEXT) | instid1(VALU_DEP_2)
	v_lshlrev_b32_e32 v86, 3, v86
	v_and_b32_e32 v98, 7, v39
	v_or_b32_e32 v38, v38, v39
	s_delay_alu instid0(VALU_DEP_2) | instskip(NEXT) | instid1(VALU_DEP_2)
	v_or3_b32 v39, v86, v50, v98
	v_cmp_ne_u32_e32 vcc_lo, 0, v38
	s_delay_alu instid0(VALU_DEP_2)
	v_cndmask_b32_e32 v38, 0, v39, vcc_lo
.LBB6_9830:                             ;   in Loop: Header=BB6_9048 Depth=2
	s_or_b32 exec_lo, exec_lo, s26
.LBB6_9831:                             ;   in Loop: Header=BB6_9048 Depth=2
	s_delay_alu instid0(SALU_CYCLE_1) | instskip(SKIP_2) | instid1(VALU_DEP_1)
	s_or_b32 exec_lo, exec_lo, s25
	v_and_b32_e32 v39, 0xff, v36
	s_and_not1_b32 vcc_lo, exec_lo, s23
	v_cmp_lt_i16_e64 s7, 0x7f, v39
	s_cbranch_vccnz .LBB6_9841
; %bb.9832:                             ;   in Loop: Header=BB6_9048 Depth=2
	s_mov_b32 s25, 0
                                        ; implicit-def: $sgpr26
	s_delay_alu instid0(VALU_DEP_1) | instskip(NEXT) | instid1(SALU_CYCLE_1)
	s_and_saveexec_b32 s27, s7
	s_xor_b32 s7, exec_lo, s27
	s_cbranch_execnz .LBB6_10406
; %bb.9833:                             ;   in Loop: Header=BB6_9048 Depth=2
	s_or_saveexec_b32 s7, s7
	v_mov_b32_e32 v50, s26
	s_xor_b32 exec_lo, exec_lo, s7
	s_cbranch_execnz .LBB6_10409
.LBB6_9834:                             ;   in Loop: Header=BB6_9048 Depth=2
	s_or_b32 exec_lo, exec_lo, s7
	s_and_saveexec_b32 s7, s25
	s_cbranch_execz .LBB6_9836
.LBB6_9835:                             ;   in Loop: Header=BB6_9048 Depth=2
	v_and_b32_e32 v50, 7, v36
	v_lshrrev_b16 v144, 3, v36
	s_delay_alu instid0(VALU_DEP_2) | instskip(NEXT) | instid1(VALU_DEP_2)
	v_clz_i32_u32_e32 v86, v50
	v_and_b32_e32 v144, 15, v144
	s_delay_alu instid0(VALU_DEP_2) | instskip(NEXT) | instid1(VALU_DEP_2)
	v_min_u32_e32 v86, 32, v86
	v_cmp_eq_u32_e32 vcc_lo, 0, v144
	s_delay_alu instid0(VALU_DEP_2) | instskip(SKIP_2) | instid1(VALU_DEP_3)
	v_subrev_nc_u32_e32 v98, 28, v86
	v_sub_nc_u32_e32 v86, 29, v86
	v_lshlrev_b32_e32 v147, 24, v36
	v_lshlrev_b32_e32 v98, v98, v36
	s_delay_alu instid0(VALU_DEP_3) | instskip(NEXT) | instid1(VALU_DEP_2)
	v_cndmask_b32_e32 v86, v144, v86, vcc_lo
	v_and_b32_e32 v98, 7, v98
	s_delay_alu instid0(VALU_DEP_2) | instskip(NEXT) | instid1(VALU_DEP_2)
	v_lshl_add_u32 v86, v86, 23, 0x3b800000
	v_cndmask_b32_e32 v50, v50, v98, vcc_lo
	v_and_b32_e32 v98, 0x80000000, v147
	s_delay_alu instid0(VALU_DEP_2) | instskip(NEXT) | instid1(VALU_DEP_1)
	v_lshlrev_b32_e32 v50, 20, v50
	v_or3_b32 v50, v98, v86, v50
.LBB6_9836:                             ;   in Loop: Header=BB6_9048 Depth=2
	s_or_b32 exec_lo, exec_lo, s7
	s_waitcnt vmcnt(4) lgkmcnt(4)
	v_and_b32_e32 v98, 0xff, v35
	s_mov_b32 s7, 0
	s_mov_b32 s26, exec_lo
                                        ; implicit-def: $sgpr25
	s_delay_alu instid0(VALU_DEP_1)
	v_cmpx_lt_i16_e32 0x7f, v98
	s_xor_b32 s26, exec_lo, s26
	s_cbranch_execnz .LBB6_10410
; %bb.9837:                             ;   in Loop: Header=BB6_9048 Depth=2
	s_or_saveexec_b32 s26, s26
	v_mov_b32_e32 v86, s25
	s_xor_b32 exec_lo, exec_lo, s26
	s_cbranch_execnz .LBB6_10413
.LBB6_9838:                             ;   in Loop: Header=BB6_9048 Depth=2
	s_or_b32 exec_lo, exec_lo, s26
	s_and_saveexec_b32 s25, s7
	s_cbranch_execz .LBB6_9840
.LBB6_9839:                             ;   in Loop: Header=BB6_9048 Depth=2
	v_and_b32_e32 v86, 7, v35
	v_lshrrev_b16 v147, 3, v35
	v_lshlrev_b32_e32 v150, 24, v35
	s_delay_alu instid0(VALU_DEP_3) | instskip(NEXT) | instid1(VALU_DEP_1)
	v_clz_i32_u32_e32 v98, v86
	v_min_u32_e32 v98, 32, v98
	s_delay_alu instid0(VALU_DEP_1) | instskip(SKIP_1) | instid1(VALU_DEP_2)
	v_subrev_nc_u32_e32 v144, 28, v98
	v_sub_nc_u32_e32 v98, 29, v98
	v_lshlrev_b32_e32 v144, v144, v35
	s_delay_alu instid0(VALU_DEP_1) | instskip(SKIP_1) | instid1(VALU_DEP_1)
	v_and_b32_e32 v144, 7, v144
	v_and_b32_e32 v147, 15, v147
	v_cmp_eq_u32_e32 vcc_lo, 0, v147
	s_delay_alu instid0(VALU_DEP_3) | instskip(SKIP_2) | instid1(VALU_DEP_3)
	v_cndmask_b32_e32 v86, v86, v144, vcc_lo
	v_cndmask_b32_e32 v98, v147, v98, vcc_lo
	v_and_b32_e32 v144, 0x80000000, v150
	v_lshlrev_b32_e32 v86, 20, v86
	s_delay_alu instid0(VALU_DEP_3) | instskip(NEXT) | instid1(VALU_DEP_1)
	v_lshl_add_u32 v98, v98, 23, 0x3b800000
	v_or3_b32 v86, v144, v98, v86
.LBB6_9840:                             ;   in Loop: Header=BB6_9048 Depth=2
	s_or_b32 exec_lo, exec_lo, s25
	s_delay_alu instid0(VALU_DEP_1) | instskip(SKIP_2) | instid1(VALU_DEP_1)
	v_max_f32_e32 v86, v86, v86
	v_max_f32_e32 v50, v50, v50
	s_mov_b32 s7, 0
	v_max_f32_e32 v50, v50, v86
	s_branch .LBB6_9842
.LBB6_9841:                             ;   in Loop: Header=BB6_9048 Depth=2
	s_mov_b32 s7, -1
                                        ; implicit-def: $vgpr50
.LBB6_9842:                             ;   in Loop: Header=BB6_9048 Depth=2
	s_delay_alu instid0(SALU_CYCLE_1)
	s_and_b32 vcc_lo, exec_lo, s7
	s_cbranch_vccz .LBB6_9852
; %bb.9843:                             ;   in Loop: Header=BB6_9048 Depth=2
	s_mov_b32 s7, 0
	s_mov_b32 s26, exec_lo
                                        ; implicit-def: $sgpr25
	v_cmpx_lt_i16_e32 0x7f, v39
	s_xor_b32 s26, exec_lo, s26
	s_cbranch_execnz .LBB6_10414
; %bb.9844:                             ;   in Loop: Header=BB6_9048 Depth=2
	s_or_saveexec_b32 s26, s26
	v_mov_b32_e32 v50, s25
	s_xor_b32 exec_lo, exec_lo, s26
	s_cbranch_execnz .LBB6_10417
.LBB6_9845:                             ;   in Loop: Header=BB6_9048 Depth=2
	s_or_b32 exec_lo, exec_lo, s26
	s_and_saveexec_b32 s25, s7
	s_cbranch_execz .LBB6_9847
.LBB6_9846:                             ;   in Loop: Header=BB6_9048 Depth=2
	v_lshrrev_b16 v98, 3, v36
	s_delay_alu instid0(VALU_DEP_1) | instskip(NEXT) | instid1(VALU_DEP_1)
	v_and_b32_e32 v98, 15, v98
	v_cmp_eq_u32_e32 vcc_lo, 0, v98
	v_and_b32_e32 v39, 7, v36
	s_delay_alu instid0(VALU_DEP_1) | instskip(NEXT) | instid1(VALU_DEP_1)
	v_clz_i32_u32_e32 v50, v39
	v_min_u32_e32 v50, 32, v50
	s_delay_alu instid0(VALU_DEP_1) | instskip(SKIP_1) | instid1(VALU_DEP_2)
	v_subrev_nc_u32_e32 v86, 28, v50
	v_sub_nc_u32_e32 v50, 29, v50
	v_lshlrev_b32_e32 v86, v86, v36
	s_delay_alu instid0(VALU_DEP_2) | instskip(NEXT) | instid1(VALU_DEP_2)
	v_cndmask_b32_e32 v50, v98, v50, vcc_lo
	v_and_b32_e32 v86, 7, v86
	v_lshlrev_b32_e32 v36, 24, v36
	s_delay_alu instid0(VALU_DEP_3) | instskip(NEXT) | instid1(VALU_DEP_2)
	v_lshl_add_u32 v50, v50, 23, 0x3b800000
	v_dual_cndmask_b32 v39, v39, v86 :: v_dual_and_b32 v36, 0x80000000, v36
	s_delay_alu instid0(VALU_DEP_1) | instskip(NEXT) | instid1(VALU_DEP_1)
	v_lshlrev_b32_e32 v39, 20, v39
	v_or3_b32 v50, v36, v50, v39
.LBB6_9847:                             ;   in Loop: Header=BB6_9048 Depth=2
	s_or_b32 exec_lo, exec_lo, s25
	s_waitcnt vmcnt(4) lgkmcnt(4)
	v_and_b32_e32 v39, 0xff, v35
	s_mov_b32 s7, 0
	s_mov_b32 s26, exec_lo
                                        ; implicit-def: $sgpr25
	s_delay_alu instid0(VALU_DEP_1)
	v_cmpx_lt_i16_e32 0x7f, v39
	s_xor_b32 s26, exec_lo, s26
	s_cbranch_execnz .LBB6_10418
; %bb.9848:                             ;   in Loop: Header=BB6_9048 Depth=2
	s_or_saveexec_b32 s26, s26
	v_mov_b32_e32 v36, s25
	s_xor_b32 exec_lo, exec_lo, s26
	s_cbranch_execnz .LBB6_10421
.LBB6_9849:                             ;   in Loop: Header=BB6_9048 Depth=2
	s_or_b32 exec_lo, exec_lo, s26
	s_and_saveexec_b32 s25, s7
	s_cbranch_execz .LBB6_9851
.LBB6_9850:                             ;   in Loop: Header=BB6_9048 Depth=2
	v_and_b32_e32 v36, 7, v35
	v_lshrrev_b16 v98, 3, v35
	s_delay_alu instid0(VALU_DEP_2) | instskip(NEXT) | instid1(VALU_DEP_2)
	v_clz_i32_u32_e32 v39, v36
	v_and_b32_e32 v98, 15, v98
	s_delay_alu instid0(VALU_DEP_2) | instskip(NEXT) | instid1(VALU_DEP_2)
	v_min_u32_e32 v39, 32, v39
	v_cmp_eq_u32_e32 vcc_lo, 0, v98
	s_delay_alu instid0(VALU_DEP_2) | instskip(SKIP_1) | instid1(VALU_DEP_2)
	v_subrev_nc_u32_e32 v86, 28, v39
	v_sub_nc_u32_e32 v39, 29, v39
	v_lshlrev_b32_e32 v86, v86, v35
	s_delay_alu instid0(VALU_DEP_1) | instskip(SKIP_1) | instid1(VALU_DEP_2)
	v_dual_cndmask_b32 v39, v98, v39 :: v_dual_and_b32 v86, 7, v86
	v_lshlrev_b32_e32 v35, 24, v35
	v_lshl_add_u32 v39, v39, 23, 0x3b800000
	s_delay_alu instid0(VALU_DEP_2) | instskip(NEXT) | instid1(VALU_DEP_1)
	v_dual_cndmask_b32 v36, v36, v86 :: v_dual_and_b32 v35, 0x80000000, v35
	v_lshlrev_b32_e32 v36, 20, v36
	s_delay_alu instid0(VALU_DEP_1)
	v_or3_b32 v36, v35, v39, v36
.LBB6_9851:                             ;   in Loop: Header=BB6_9048 Depth=2
	s_or_b32 exec_lo, exec_lo, s25
	s_delay_alu instid0(VALU_DEP_1) | instskip(NEXT) | instid1(VALU_DEP_1)
	v_dual_max_f32 v35, v36, v36 :: v_dual_max_f32 v36, v50, v50
	v_min_f32_e32 v50, v36, v35
.LBB6_9852:                             ;   in Loop: Header=BB6_9048 Depth=2
	s_waitcnt vmcnt(4) lgkmcnt(4)
	s_delay_alu instid0(VALU_DEP_1) | instskip(NEXT) | instid1(VALU_DEP_1)
	v_and_b32_e32 v35, 0x7f800000, v50
	v_cmp_ne_u32_e32 vcc_lo, 0x7f800000, v35
	v_mov_b32_e32 v35, 0x80
	s_and_saveexec_b32 s25, vcc_lo
	s_cbranch_execz .LBB6_9860
; %bb.9853:                             ;   in Loop: Header=BB6_9048 Depth=2
	v_mov_b32_e32 v35, 0
	s_mov_b32 s26, exec_lo
	v_cmpx_ne_u32_e32 0, v50
	s_cbranch_execz .LBB6_9859
; %bb.9854:                             ;   in Loop: Header=BB6_9048 Depth=2
	v_bfe_u32 v35, v50, 23, 8
	s_delay_alu instid0(VALU_DEP_1) | instskip(SKIP_1) | instid1(VALU_DEP_2)
	v_sub_nc_u32_e32 v39, 0x78, v35
	v_cmp_gt_u32_e32 vcc_lo, 0x79, v35
	v_dual_cndmask_b32 v39, 0, v39 :: v_dual_and_b32 v36, 0x7fffff, v50
	s_delay_alu instid0(VALU_DEP_1) | instskip(SKIP_2) | instid1(VALU_DEP_4)
	v_or_b32_e32 v86, 0x800000, v36
	v_cmp_eq_u32_e32 vcc_lo, 0, v35
	v_add_nc_u32_e32 v35, 0xffffff89, v35
	v_cndmask_b32_e64 v39, v39, 0x77, vcc_lo
	s_delay_alu instid0(VALU_DEP_4) | instskip(NEXT) | instid1(VALU_DEP_3)
	v_cndmask_b32_e32 v36, v86, v36, vcc_lo
	v_cndmask_b32_e64 v35, v35, 0xffffff8a, vcc_lo
	s_delay_alu instid0(VALU_DEP_3) | instskip(NEXT) | instid1(VALU_DEP_3)
	v_lshl_add_u32 v86, 0x100000, v39, -1
	v_lshrrev_b32_e32 v98, v39, v36
	v_lshlrev_b32_e64 v147, v39, 0x80000
	s_delay_alu instid0(VALU_DEP_4) | instskip(NEXT) | instid1(VALU_DEP_4)
	v_add_nc_u32_e32 v39, v39, v35
	v_and_b32_e32 v36, v86, v36
	s_delay_alu instid0(VALU_DEP_4) | instskip(NEXT) | instid1(VALU_DEP_2)
	v_bfe_u32 v144, v98, 20, 1
	v_cmp_eq_u32_e64 s7, v36, v147
	s_delay_alu instid0(VALU_DEP_2) | instskip(NEXT) | instid1(VALU_DEP_1)
	v_add_nc_u32_e32 v86, -1, v144
	v_cndmask_b32_e64 v36, 0, v86, s7
	v_lshrrev_b32_e32 v86, 23, v98
	s_mov_b32 s7, exec_lo
	s_delay_alu instid0(VALU_DEP_2) | instskip(NEXT) | instid1(VALU_DEP_2)
	v_add_nc_u32_e32 v36, v36, v98
	v_xor_b32_e32 v86, 1, v86
	s_delay_alu instid0(VALU_DEP_2) | instskip(NEXT) | instid1(VALU_DEP_1)
	v_and_b32_e32 v35, 0xfffff, v36
	v_add_nc_u32_e32 v36, v35, v98
                                        ; implicit-def: $vgpr35
	s_delay_alu instid0(VALU_DEP_3)
	v_cmpx_ne_u32_e64 v39, v86
	s_xor_b32 s7, exec_lo, s7
; %bb.9855:                             ;   in Loop: Header=BB6_9048 Depth=2
	s_delay_alu instid0(VALU_DEP_2) | instskip(SKIP_2) | instid1(VALU_DEP_2)
	v_cmp_lt_u32_e32 vcc_lo, 0xffffff, v36
	v_sub_nc_u32_e32 v35, v39, v86
	v_cndmask_b32_e64 v39, 0, 1, vcc_lo
	v_add_co_ci_u32_e32 v35, vcc_lo, 0, v35, vcc_lo
	s_delay_alu instid0(VALU_DEP_2)
	v_lshrrev_b32_e32 v36, v39, v36
; %bb.9856:                             ;   in Loop: Header=BB6_9048 Depth=2
	s_and_not1_saveexec_b32 s7, s7
; %bb.9857:                             ;   in Loop: Header=BB6_9048 Depth=2
	s_delay_alu instid0(VALU_DEP_1)
	v_bfe_u32 v35, v36, 23, 1
; %bb.9858:                             ;   in Loop: Header=BB6_9048 Depth=2
	s_or_b32 exec_lo, exec_lo, s7
	v_lshrrev_b32_e32 v36, 20, v36
	s_delay_alu instid0(VALU_DEP_2) | instskip(SKIP_2) | instid1(VALU_DEP_2)
	v_cmp_gt_i32_e32 vcc_lo, 16, v35
	v_lshrrev_b32_e32 v39, 24, v50
	v_min_i32_e32 v50, 15, v35
	v_dual_cndmask_b32 v36, 7, v36 :: v_dual_and_b32 v39, 0x80, v39
	s_delay_alu instid0(VALU_DEP_1) | instskip(SKIP_1) | instid1(VALU_DEP_2)
	v_or_b32_e32 v35, v35, v36
	v_and_b32_e32 v86, 7, v36
	v_cmp_ne_u32_e32 vcc_lo, 0, v35
	v_lshlrev_b32_e32 v50, 3, v50
	s_delay_alu instid0(VALU_DEP_1) | instskip(NEXT) | instid1(VALU_DEP_1)
	v_or3_b32 v36, v50, v39, v86
	v_cndmask_b32_e32 v35, 0, v36, vcc_lo
.LBB6_9859:                             ;   in Loop: Header=BB6_9048 Depth=2
	s_or_b32 exec_lo, exec_lo, s26
.LBB6_9860:                             ;   in Loop: Header=BB6_9048 Depth=2
	s_delay_alu instid0(SALU_CYCLE_1) | instskip(SKIP_2) | instid1(VALU_DEP_1)
	s_or_b32 exec_lo, exec_lo, s25
	v_and_b32_e32 v36, 0xff, v33
	s_and_not1_b32 vcc_lo, exec_lo, s23
	v_cmp_lt_i16_e64 s7, 0x7f, v36
	s_cbranch_vccnz .LBB6_9870
; %bb.9861:                             ;   in Loop: Header=BB6_9048 Depth=2
	s_mov_b32 s25, 0
                                        ; implicit-def: $sgpr26
	s_delay_alu instid0(VALU_DEP_1) | instskip(NEXT) | instid1(SALU_CYCLE_1)
	s_and_saveexec_b32 s27, s7
	s_xor_b32 s7, exec_lo, s27
	s_cbranch_execnz .LBB6_10422
; %bb.9862:                             ;   in Loop: Header=BB6_9048 Depth=2
	s_or_saveexec_b32 s7, s7
	v_mov_b32_e32 v39, s26
	s_xor_b32 exec_lo, exec_lo, s7
	s_cbranch_execnz .LBB6_10425
.LBB6_9863:                             ;   in Loop: Header=BB6_9048 Depth=2
	s_or_b32 exec_lo, exec_lo, s7
	s_and_saveexec_b32 s7, s25
	s_cbranch_execz .LBB6_9865
.LBB6_9864:                             ;   in Loop: Header=BB6_9048 Depth=2
	v_lshrrev_b16 v98, 3, v33
	s_delay_alu instid0(VALU_DEP_1) | instskip(NEXT) | instid1(VALU_DEP_1)
	v_and_b32_e32 v98, 15, v98
	v_cmp_eq_u32_e32 vcc_lo, 0, v98
	v_and_b32_e32 v39, 7, v33
	s_delay_alu instid0(VALU_DEP_1) | instskip(NEXT) | instid1(VALU_DEP_1)
	v_clz_i32_u32_e32 v50, v39
	v_min_u32_e32 v50, 32, v50
	s_delay_alu instid0(VALU_DEP_1) | instskip(SKIP_1) | instid1(VALU_DEP_2)
	v_subrev_nc_u32_e32 v86, 28, v50
	v_sub_nc_u32_e32 v50, 29, v50
	v_lshlrev_b32_e32 v86, v86, v33
	s_delay_alu instid0(VALU_DEP_2) | instskip(NEXT) | instid1(VALU_DEP_2)
	v_cndmask_b32_e32 v50, v98, v50, vcc_lo
	v_and_b32_e32 v86, 7, v86
	v_lshlrev_b32_e32 v144, 24, v33
	s_delay_alu instid0(VALU_DEP_3) | instskip(NEXT) | instid1(VALU_DEP_2)
	v_lshl_add_u32 v50, v50, 23, 0x3b800000
	v_dual_cndmask_b32 v39, v39, v86 :: v_dual_and_b32 v86, 0x80000000, v144
	s_delay_alu instid0(VALU_DEP_1) | instskip(NEXT) | instid1(VALU_DEP_1)
	v_lshlrev_b32_e32 v39, 20, v39
	v_or3_b32 v39, v86, v50, v39
.LBB6_9865:                             ;   in Loop: Header=BB6_9048 Depth=2
	s_or_b32 exec_lo, exec_lo, s7
	s_waitcnt vmcnt(3) lgkmcnt(3)
	v_and_b32_e32 v86, 0xff, v32
	s_mov_b32 s7, 0
	s_mov_b32 s26, exec_lo
                                        ; implicit-def: $sgpr25
	s_delay_alu instid0(VALU_DEP_1)
	v_cmpx_lt_i16_e32 0x7f, v86
	s_xor_b32 s26, exec_lo, s26
	s_cbranch_execnz .LBB6_10426
; %bb.9866:                             ;   in Loop: Header=BB6_9048 Depth=2
	s_or_saveexec_b32 s26, s26
	v_mov_b32_e32 v50, s25
	s_xor_b32 exec_lo, exec_lo, s26
	s_cbranch_execnz .LBB6_10429
.LBB6_9867:                             ;   in Loop: Header=BB6_9048 Depth=2
	s_or_b32 exec_lo, exec_lo, s26
	s_and_saveexec_b32 s25, s7
	s_cbranch_execz .LBB6_9869
.LBB6_9868:                             ;   in Loop: Header=BB6_9048 Depth=2
	v_and_b32_e32 v50, 7, v32
	v_lshrrev_b16 v144, 3, v32
	s_delay_alu instid0(VALU_DEP_2) | instskip(NEXT) | instid1(VALU_DEP_2)
	v_clz_i32_u32_e32 v86, v50
	v_and_b32_e32 v144, 15, v144
	s_delay_alu instid0(VALU_DEP_2) | instskip(NEXT) | instid1(VALU_DEP_2)
	v_min_u32_e32 v86, 32, v86
	v_cmp_eq_u32_e32 vcc_lo, 0, v144
	s_delay_alu instid0(VALU_DEP_2) | instskip(SKIP_2) | instid1(VALU_DEP_3)
	v_subrev_nc_u32_e32 v98, 28, v86
	v_sub_nc_u32_e32 v86, 29, v86
	v_lshlrev_b32_e32 v147, 24, v32
	v_lshlrev_b32_e32 v98, v98, v32
	s_delay_alu instid0(VALU_DEP_3) | instskip(NEXT) | instid1(VALU_DEP_2)
	v_cndmask_b32_e32 v86, v144, v86, vcc_lo
	v_and_b32_e32 v98, 7, v98
	s_delay_alu instid0(VALU_DEP_2) | instskip(NEXT) | instid1(VALU_DEP_2)
	v_lshl_add_u32 v86, v86, 23, 0x3b800000
	v_cndmask_b32_e32 v50, v50, v98, vcc_lo
	v_and_b32_e32 v98, 0x80000000, v147
	s_delay_alu instid0(VALU_DEP_2) | instskip(NEXT) | instid1(VALU_DEP_1)
	v_lshlrev_b32_e32 v50, 20, v50
	v_or3_b32 v50, v98, v86, v50
.LBB6_9869:                             ;   in Loop: Header=BB6_9048 Depth=2
	s_or_b32 exec_lo, exec_lo, s25
	s_delay_alu instid0(VALU_DEP_1) | instskip(SKIP_1) | instid1(VALU_DEP_1)
	v_dual_max_f32 v50, v50, v50 :: v_dual_max_f32 v39, v39, v39
	s_mov_b32 s7, 0
	v_max_f32_e32 v39, v39, v50
	s_branch .LBB6_9871
.LBB6_9870:                             ;   in Loop: Header=BB6_9048 Depth=2
	s_mov_b32 s7, -1
                                        ; implicit-def: $vgpr39
.LBB6_9871:                             ;   in Loop: Header=BB6_9048 Depth=2
	s_delay_alu instid0(SALU_CYCLE_1)
	s_and_b32 vcc_lo, exec_lo, s7
	s_cbranch_vccz .LBB6_9881
; %bb.9872:                             ;   in Loop: Header=BB6_9048 Depth=2
	s_mov_b32 s7, 0
	s_mov_b32 s26, exec_lo
                                        ; implicit-def: $sgpr25
	v_cmpx_lt_i16_e32 0x7f, v36
	s_xor_b32 s26, exec_lo, s26
	s_cbranch_execnz .LBB6_10430
; %bb.9873:                             ;   in Loop: Header=BB6_9048 Depth=2
	s_or_saveexec_b32 s26, s26
	v_mov_b32_e32 v39, s25
	s_xor_b32 exec_lo, exec_lo, s26
	s_cbranch_execnz .LBB6_10433
.LBB6_9874:                             ;   in Loop: Header=BB6_9048 Depth=2
	s_or_b32 exec_lo, exec_lo, s26
	s_and_saveexec_b32 s25, s7
	s_cbranch_execz .LBB6_9876
.LBB6_9875:                             ;   in Loop: Header=BB6_9048 Depth=2
	v_lshrrev_b16 v86, 3, v33
	s_delay_alu instid0(VALU_DEP_1) | instskip(NEXT) | instid1(VALU_DEP_1)
	v_and_b32_e32 v86, 15, v86
	v_cmp_eq_u32_e32 vcc_lo, 0, v86
	v_and_b32_e32 v36, 7, v33
	s_delay_alu instid0(VALU_DEP_1) | instskip(NEXT) | instid1(VALU_DEP_1)
	v_clz_i32_u32_e32 v39, v36
	v_min_u32_e32 v39, 32, v39
	s_delay_alu instid0(VALU_DEP_1) | instskip(SKIP_1) | instid1(VALU_DEP_2)
	v_subrev_nc_u32_e32 v50, 28, v39
	v_sub_nc_u32_e32 v39, 29, v39
	v_lshlrev_b32_e32 v50, v50, v33
	s_delay_alu instid0(VALU_DEP_1) | instskip(SKIP_1) | instid1(VALU_DEP_2)
	v_dual_cndmask_b32 v39, v86, v39 :: v_dual_and_b32 v50, 7, v50
	v_lshlrev_b32_e32 v33, 24, v33
	v_lshl_add_u32 v39, v39, 23, 0x3b800000
	s_delay_alu instid0(VALU_DEP_2) | instskip(NEXT) | instid1(VALU_DEP_1)
	v_dual_cndmask_b32 v36, v36, v50 :: v_dual_and_b32 v33, 0x80000000, v33
	v_lshlrev_b32_e32 v36, 20, v36
	s_delay_alu instid0(VALU_DEP_1)
	v_or3_b32 v39, v33, v39, v36
.LBB6_9876:                             ;   in Loop: Header=BB6_9048 Depth=2
	s_or_b32 exec_lo, exec_lo, s25
	s_waitcnt vmcnt(3) lgkmcnt(3)
	v_and_b32_e32 v36, 0xff, v32
	s_mov_b32 s7, 0
	s_mov_b32 s26, exec_lo
                                        ; implicit-def: $sgpr25
	s_delay_alu instid0(VALU_DEP_1)
	v_cmpx_lt_i16_e32 0x7f, v36
	s_xor_b32 s26, exec_lo, s26
	s_cbranch_execnz .LBB6_10434
; %bb.9877:                             ;   in Loop: Header=BB6_9048 Depth=2
	s_or_saveexec_b32 s26, s26
	v_mov_b32_e32 v33, s25
	s_xor_b32 exec_lo, exec_lo, s26
	s_cbranch_execnz .LBB6_10437
.LBB6_9878:                             ;   in Loop: Header=BB6_9048 Depth=2
	s_or_b32 exec_lo, exec_lo, s26
	s_and_saveexec_b32 s25, s7
	s_cbranch_execz .LBB6_9880
.LBB6_9879:                             ;   in Loop: Header=BB6_9048 Depth=2
	v_and_b32_e32 v33, 7, v32
	v_lshrrev_b16 v86, 3, v32
	s_delay_alu instid0(VALU_DEP_2) | instskip(NEXT) | instid1(VALU_DEP_2)
	v_clz_i32_u32_e32 v36, v33
	v_and_b32_e32 v86, 15, v86
	s_delay_alu instid0(VALU_DEP_2) | instskip(NEXT) | instid1(VALU_DEP_2)
	v_min_u32_e32 v36, 32, v36
	v_cmp_eq_u32_e32 vcc_lo, 0, v86
	s_delay_alu instid0(VALU_DEP_2) | instskip(SKIP_1) | instid1(VALU_DEP_2)
	v_subrev_nc_u32_e32 v50, 28, v36
	v_sub_nc_u32_e32 v36, 29, v36
	v_lshlrev_b32_e32 v50, v50, v32
	s_delay_alu instid0(VALU_DEP_1) | instskip(NEXT) | instid1(VALU_DEP_1)
	v_and_b32_e32 v50, 7, v50
	v_dual_cndmask_b32 v33, v33, v50 :: v_dual_lshlrev_b32 v32, 24, v32
	s_delay_alu instid0(VALU_DEP_4) | instskip(NEXT) | instid1(VALU_DEP_2)
	v_cndmask_b32_e32 v36, v86, v36, vcc_lo
	v_and_b32_e32 v32, 0x80000000, v32
	s_delay_alu instid0(VALU_DEP_3) | instskip(NEXT) | instid1(VALU_DEP_3)
	v_lshlrev_b32_e32 v33, 20, v33
	v_lshl_add_u32 v36, v36, 23, 0x3b800000
	s_delay_alu instid0(VALU_DEP_1)
	v_or3_b32 v33, v32, v36, v33
.LBB6_9880:                             ;   in Loop: Header=BB6_9048 Depth=2
	s_or_b32 exec_lo, exec_lo, s25
	s_delay_alu instid0(VALU_DEP_1) | instskip(NEXT) | instid1(VALU_DEP_1)
	v_dual_max_f32 v32, v33, v33 :: v_dual_max_f32 v33, v39, v39
	v_min_f32_e32 v39, v33, v32
.LBB6_9881:                             ;   in Loop: Header=BB6_9048 Depth=2
	s_waitcnt vmcnt(3) lgkmcnt(3)
	s_delay_alu instid0(VALU_DEP_1) | instskip(NEXT) | instid1(VALU_DEP_1)
	v_and_b32_e32 v32, 0x7f800000, v39
	v_cmp_ne_u32_e32 vcc_lo, 0x7f800000, v32
	v_mov_b32_e32 v32, 0x80
	s_and_saveexec_b32 s25, vcc_lo
	s_cbranch_execz .LBB6_9889
; %bb.9882:                             ;   in Loop: Header=BB6_9048 Depth=2
	v_mov_b32_e32 v32, 0
	s_mov_b32 s26, exec_lo
	v_cmpx_ne_u32_e32 0, v39
	s_cbranch_execz .LBB6_9888
; %bb.9883:                             ;   in Loop: Header=BB6_9048 Depth=2
	v_bfe_u32 v32, v39, 23, 8
	s_delay_alu instid0(VALU_DEP_1) | instskip(SKIP_1) | instid1(VALU_DEP_2)
	v_sub_nc_u32_e32 v36, 0x78, v32
	v_cmp_gt_u32_e32 vcc_lo, 0x79, v32
	v_dual_cndmask_b32 v36, 0, v36 :: v_dual_and_b32 v33, 0x7fffff, v39
	s_delay_alu instid0(VALU_DEP_1) | instskip(SKIP_2) | instid1(VALU_DEP_4)
	v_or_b32_e32 v50, 0x800000, v33
	v_cmp_eq_u32_e32 vcc_lo, 0, v32
	v_add_nc_u32_e32 v32, 0xffffff89, v32
	v_cndmask_b32_e64 v36, v36, 0x77, vcc_lo
	s_delay_alu instid0(VALU_DEP_4) | instskip(NEXT) | instid1(VALU_DEP_3)
	v_cndmask_b32_e32 v33, v50, v33, vcc_lo
	v_cndmask_b32_e64 v32, v32, 0xffffff8a, vcc_lo
	s_delay_alu instid0(VALU_DEP_3) | instskip(NEXT) | instid1(VALU_DEP_3)
	v_lshl_add_u32 v50, 0x100000, v36, -1
	v_lshrrev_b32_e32 v86, v36, v33
	v_lshlrev_b32_e64 v144, v36, 0x80000
	s_delay_alu instid0(VALU_DEP_4) | instskip(NEXT) | instid1(VALU_DEP_4)
	v_add_nc_u32_e32 v36, v36, v32
	v_and_b32_e32 v33, v50, v33
	s_delay_alu instid0(VALU_DEP_4) | instskip(NEXT) | instid1(VALU_DEP_2)
	v_bfe_u32 v98, v86, 20, 1
	v_cmp_eq_u32_e64 s7, v33, v144
	s_delay_alu instid0(VALU_DEP_2) | instskip(NEXT) | instid1(VALU_DEP_1)
	v_add_nc_u32_e32 v50, -1, v98
	v_cndmask_b32_e64 v33, 0, v50, s7
	v_lshrrev_b32_e32 v50, 23, v86
	s_mov_b32 s7, exec_lo
	s_delay_alu instid0(VALU_DEP_2) | instskip(NEXT) | instid1(VALU_DEP_2)
	v_add_nc_u32_e32 v33, v33, v86
	v_xor_b32_e32 v50, 1, v50
	s_delay_alu instid0(VALU_DEP_2) | instskip(NEXT) | instid1(VALU_DEP_1)
	v_and_b32_e32 v32, 0xfffff, v33
	v_add_nc_u32_e32 v33, v32, v86
                                        ; implicit-def: $vgpr32
	s_delay_alu instid0(VALU_DEP_3)
	v_cmpx_ne_u32_e64 v36, v50
	s_xor_b32 s7, exec_lo, s7
; %bb.9884:                             ;   in Loop: Header=BB6_9048 Depth=2
	s_delay_alu instid0(VALU_DEP_2) | instskip(SKIP_2) | instid1(VALU_DEP_2)
	v_cmp_lt_u32_e32 vcc_lo, 0xffffff, v33
	v_sub_nc_u32_e32 v32, v36, v50
	v_cndmask_b32_e64 v36, 0, 1, vcc_lo
	v_add_co_ci_u32_e32 v32, vcc_lo, 0, v32, vcc_lo
	s_delay_alu instid0(VALU_DEP_2)
	v_lshrrev_b32_e32 v33, v36, v33
; %bb.9885:                             ;   in Loop: Header=BB6_9048 Depth=2
	s_and_not1_saveexec_b32 s7, s7
; %bb.9886:                             ;   in Loop: Header=BB6_9048 Depth=2
	s_delay_alu instid0(VALU_DEP_1)
	v_bfe_u32 v32, v33, 23, 1
; %bb.9887:                             ;   in Loop: Header=BB6_9048 Depth=2
	s_or_b32 exec_lo, exec_lo, s7
	v_lshrrev_b32_e32 v33, 20, v33
	s_delay_alu instid0(VALU_DEP_2) | instskip(SKIP_2) | instid1(VALU_DEP_2)
	v_cmp_gt_i32_e32 vcc_lo, 16, v32
	v_lshrrev_b32_e32 v36, 24, v39
	v_min_i32_e32 v39, 15, v32
	v_dual_cndmask_b32 v33, 7, v33 :: v_dual_and_b32 v36, 0x80, v36
	s_delay_alu instid0(VALU_DEP_1) | instskip(SKIP_1) | instid1(VALU_DEP_2)
	v_or_b32_e32 v32, v32, v33
	v_and_b32_e32 v50, 7, v33
	v_cmp_ne_u32_e32 vcc_lo, 0, v32
	v_lshlrev_b32_e32 v39, 3, v39
	s_delay_alu instid0(VALU_DEP_1) | instskip(NEXT) | instid1(VALU_DEP_1)
	v_or3_b32 v33, v39, v36, v50
	v_cndmask_b32_e32 v32, 0, v33, vcc_lo
.LBB6_9888:                             ;   in Loop: Header=BB6_9048 Depth=2
	s_or_b32 exec_lo, exec_lo, s26
.LBB6_9889:                             ;   in Loop: Header=BB6_9048 Depth=2
	s_delay_alu instid0(SALU_CYCLE_1) | instskip(SKIP_2) | instid1(VALU_DEP_1)
	s_or_b32 exec_lo, exec_lo, s25
	v_and_b32_e32 v33, 0xff, v28
	s_and_not1_b32 vcc_lo, exec_lo, s23
	v_cmp_lt_i16_e64 s7, 0x7f, v33
	s_cbranch_vccnz .LBB6_9899
; %bb.9890:                             ;   in Loop: Header=BB6_9048 Depth=2
	s_mov_b32 s25, 0
                                        ; implicit-def: $sgpr26
	s_delay_alu instid0(VALU_DEP_1) | instskip(NEXT) | instid1(SALU_CYCLE_1)
	s_and_saveexec_b32 s27, s7
	s_xor_b32 s7, exec_lo, s27
	s_cbranch_execnz .LBB6_10438
; %bb.9891:                             ;   in Loop: Header=BB6_9048 Depth=2
	s_or_saveexec_b32 s7, s7
	v_mov_b32_e32 v36, s26
	s_xor_b32 exec_lo, exec_lo, s7
	s_cbranch_execnz .LBB6_10441
.LBB6_9892:                             ;   in Loop: Header=BB6_9048 Depth=2
	s_or_b32 exec_lo, exec_lo, s7
	s_and_saveexec_b32 s7, s25
	s_cbranch_execz .LBB6_9894
.LBB6_9893:                             ;   in Loop: Header=BB6_9048 Depth=2
	v_lshrrev_b16 v86, 3, v28
	v_lshlrev_b32_e32 v98, 24, v28
	s_delay_alu instid0(VALU_DEP_2) | instskip(NEXT) | instid1(VALU_DEP_1)
	v_and_b32_e32 v86, 15, v86
	v_cmp_eq_u32_e32 vcc_lo, 0, v86
	v_and_b32_e32 v36, 7, v28
	s_delay_alu instid0(VALU_DEP_1) | instskip(NEXT) | instid1(VALU_DEP_1)
	v_clz_i32_u32_e32 v39, v36
	v_min_u32_e32 v39, 32, v39
	s_delay_alu instid0(VALU_DEP_1) | instskip(SKIP_1) | instid1(VALU_DEP_2)
	v_subrev_nc_u32_e32 v50, 28, v39
	v_sub_nc_u32_e32 v39, 29, v39
	v_lshlrev_b32_e32 v50, v50, v28
	s_delay_alu instid0(VALU_DEP_1) | instskip(NEXT) | instid1(VALU_DEP_1)
	v_dual_cndmask_b32 v39, v86, v39 :: v_dual_and_b32 v50, 7, v50
	v_lshl_add_u32 v39, v39, 23, 0x3b800000
	s_delay_alu instid0(VALU_DEP_2) | instskip(SKIP_1) | instid1(VALU_DEP_2)
	v_cndmask_b32_e32 v36, v36, v50, vcc_lo
	v_and_b32_e32 v50, 0x80000000, v98
	v_lshlrev_b32_e32 v36, 20, v36
	s_delay_alu instid0(VALU_DEP_1)
	v_or3_b32 v36, v50, v39, v36
.LBB6_9894:                             ;   in Loop: Header=BB6_9048 Depth=2
	s_or_b32 exec_lo, exec_lo, s7
	s_waitcnt vmcnt(2) lgkmcnt(2)
	v_and_b32_e32 v50, 0xff, v27
	s_mov_b32 s7, 0
	s_mov_b32 s26, exec_lo
                                        ; implicit-def: $sgpr25
	s_delay_alu instid0(VALU_DEP_1)
	v_cmpx_lt_i16_e32 0x7f, v50
	s_xor_b32 s26, exec_lo, s26
	s_cbranch_execnz .LBB6_10442
; %bb.9895:                             ;   in Loop: Header=BB6_9048 Depth=2
	s_or_saveexec_b32 s26, s26
	v_mov_b32_e32 v39, s25
	s_xor_b32 exec_lo, exec_lo, s26
	s_cbranch_execnz .LBB6_10445
.LBB6_9896:                             ;   in Loop: Header=BB6_9048 Depth=2
	s_or_b32 exec_lo, exec_lo, s26
	s_and_saveexec_b32 s25, s7
	s_cbranch_execz .LBB6_9898
.LBB6_9897:                             ;   in Loop: Header=BB6_9048 Depth=2
	v_lshrrev_b16 v98, 3, v27
	s_delay_alu instid0(VALU_DEP_1) | instskip(NEXT) | instid1(VALU_DEP_1)
	v_and_b32_e32 v98, 15, v98
	v_cmp_eq_u32_e32 vcc_lo, 0, v98
	v_and_b32_e32 v39, 7, v27
	s_delay_alu instid0(VALU_DEP_1) | instskip(NEXT) | instid1(VALU_DEP_1)
	v_clz_i32_u32_e32 v50, v39
	v_min_u32_e32 v50, 32, v50
	s_delay_alu instid0(VALU_DEP_1) | instskip(SKIP_1) | instid1(VALU_DEP_2)
	v_subrev_nc_u32_e32 v86, 28, v50
	v_sub_nc_u32_e32 v50, 29, v50
	v_lshlrev_b32_e32 v86, v86, v27
	s_delay_alu instid0(VALU_DEP_2) | instskip(NEXT) | instid1(VALU_DEP_2)
	v_cndmask_b32_e32 v50, v98, v50, vcc_lo
	v_and_b32_e32 v86, 7, v86
	v_lshlrev_b32_e32 v144, 24, v27
	s_delay_alu instid0(VALU_DEP_3) | instskip(NEXT) | instid1(VALU_DEP_2)
	v_lshl_add_u32 v50, v50, 23, 0x3b800000
	v_dual_cndmask_b32 v39, v39, v86 :: v_dual_and_b32 v86, 0x80000000, v144
	s_delay_alu instid0(VALU_DEP_1) | instskip(NEXT) | instid1(VALU_DEP_1)
	v_lshlrev_b32_e32 v39, 20, v39
	v_or3_b32 v39, v86, v50, v39
.LBB6_9898:                             ;   in Loop: Header=BB6_9048 Depth=2
	s_or_b32 exec_lo, exec_lo, s25
	s_delay_alu instid0(VALU_DEP_1) | instskip(SKIP_1) | instid1(VALU_DEP_1)
	v_dual_max_f32 v39, v39, v39 :: v_dual_max_f32 v36, v36, v36
	s_mov_b32 s7, 0
	v_max_f32_e32 v36, v36, v39
	s_branch .LBB6_9900
.LBB6_9899:                             ;   in Loop: Header=BB6_9048 Depth=2
	s_mov_b32 s7, -1
                                        ; implicit-def: $vgpr36
.LBB6_9900:                             ;   in Loop: Header=BB6_9048 Depth=2
	s_delay_alu instid0(SALU_CYCLE_1)
	s_and_b32 vcc_lo, exec_lo, s7
	s_cbranch_vccz .LBB6_9910
; %bb.9901:                             ;   in Loop: Header=BB6_9048 Depth=2
	s_mov_b32 s7, 0
	s_mov_b32 s26, exec_lo
                                        ; implicit-def: $sgpr25
	v_cmpx_lt_i16_e32 0x7f, v33
	s_xor_b32 s26, exec_lo, s26
	s_cbranch_execnz .LBB6_10446
; %bb.9902:                             ;   in Loop: Header=BB6_9048 Depth=2
	s_or_saveexec_b32 s26, s26
	v_mov_b32_e32 v36, s25
	s_xor_b32 exec_lo, exec_lo, s26
	s_cbranch_execnz .LBB6_10449
.LBB6_9903:                             ;   in Loop: Header=BB6_9048 Depth=2
	s_or_b32 exec_lo, exec_lo, s26
	s_and_saveexec_b32 s25, s7
	s_cbranch_execz .LBB6_9905
.LBB6_9904:                             ;   in Loop: Header=BB6_9048 Depth=2
	v_and_b32_e32 v33, 7, v28
	v_lshrrev_b16 v50, 3, v28
	s_delay_alu instid0(VALU_DEP_2) | instskip(NEXT) | instid1(VALU_DEP_1)
	v_clz_i32_u32_e32 v36, v33
	v_min_u32_e32 v36, 32, v36
	s_delay_alu instid0(VALU_DEP_1) | instskip(SKIP_1) | instid1(VALU_DEP_2)
	v_subrev_nc_u32_e32 v39, 28, v36
	v_sub_nc_u32_e32 v36, 29, v36
	v_lshlrev_b32_e32 v39, v39, v28
	v_lshlrev_b32_e32 v28, 24, v28
	s_delay_alu instid0(VALU_DEP_2) | instskip(SKIP_1) | instid1(VALU_DEP_3)
	v_and_b32_e32 v39, 7, v39
	v_and_b32_e32 v50, 15, v50
	;; [unrolled: 1-line block ×3, first 2 shown]
	s_delay_alu instid0(VALU_DEP_2) | instskip(NEXT) | instid1(VALU_DEP_4)
	v_cmp_eq_u32_e32 vcc_lo, 0, v50
	v_dual_cndmask_b32 v33, v33, v39 :: v_dual_cndmask_b32 v36, v50, v36
	s_delay_alu instid0(VALU_DEP_1) | instskip(NEXT) | instid1(VALU_DEP_2)
	v_lshlrev_b32_e32 v33, 20, v33
	v_lshl_add_u32 v36, v36, 23, 0x3b800000
	s_delay_alu instid0(VALU_DEP_1)
	v_or3_b32 v36, v28, v36, v33
.LBB6_9905:                             ;   in Loop: Header=BB6_9048 Depth=2
	s_or_b32 exec_lo, exec_lo, s25
	s_waitcnt vmcnt(2) lgkmcnt(2)
	v_and_b32_e32 v33, 0xff, v27
	s_mov_b32 s7, 0
	s_mov_b32 s26, exec_lo
                                        ; implicit-def: $sgpr25
	s_delay_alu instid0(VALU_DEP_1)
	v_cmpx_lt_i16_e32 0x7f, v33
	s_xor_b32 s26, exec_lo, s26
	s_cbranch_execnz .LBB6_10450
; %bb.9906:                             ;   in Loop: Header=BB6_9048 Depth=2
	s_or_saveexec_b32 s26, s26
	v_mov_b32_e32 v28, s25
	s_xor_b32 exec_lo, exec_lo, s26
	s_cbranch_execnz .LBB6_10453
.LBB6_9907:                             ;   in Loop: Header=BB6_9048 Depth=2
	s_or_b32 exec_lo, exec_lo, s26
	s_and_saveexec_b32 s25, s7
	s_cbranch_execz .LBB6_9909
.LBB6_9908:                             ;   in Loop: Header=BB6_9048 Depth=2
	v_lshrrev_b16 v50, 3, v27
	s_delay_alu instid0(VALU_DEP_1) | instskip(NEXT) | instid1(VALU_DEP_1)
	v_and_b32_e32 v50, 15, v50
	v_cmp_eq_u32_e32 vcc_lo, 0, v50
	v_and_b32_e32 v28, 7, v27
	s_delay_alu instid0(VALU_DEP_1) | instskip(NEXT) | instid1(VALU_DEP_1)
	v_clz_i32_u32_e32 v33, v28
	v_min_u32_e32 v33, 32, v33
	s_delay_alu instid0(VALU_DEP_1) | instskip(SKIP_1) | instid1(VALU_DEP_2)
	v_subrev_nc_u32_e32 v39, 28, v33
	v_sub_nc_u32_e32 v33, 29, v33
	v_lshlrev_b32_e32 v39, v39, v27
	s_delay_alu instid0(VALU_DEP_2) | instskip(SKIP_1) | instid1(VALU_DEP_3)
	v_cndmask_b32_e32 v33, v50, v33, vcc_lo
	v_lshlrev_b32_e32 v27, 24, v27
	v_and_b32_e32 v39, 7, v39
	s_delay_alu instid0(VALU_DEP_3) | instskip(NEXT) | instid1(VALU_DEP_3)
	v_lshl_add_u32 v33, v33, 23, 0x3b800000
	v_and_b32_e32 v27, 0x80000000, v27
	s_delay_alu instid0(VALU_DEP_3) | instskip(NEXT) | instid1(VALU_DEP_1)
	v_cndmask_b32_e32 v28, v28, v39, vcc_lo
	v_lshlrev_b32_e32 v28, 20, v28
	s_delay_alu instid0(VALU_DEP_1)
	v_or3_b32 v28, v27, v33, v28
.LBB6_9909:                             ;   in Loop: Header=BB6_9048 Depth=2
	s_or_b32 exec_lo, exec_lo, s25
	s_delay_alu instid0(VALU_DEP_1) | instskip(SKIP_1) | instid1(VALU_DEP_1)
	v_max_f32_e32 v27, v28, v28
	v_max_f32_e32 v28, v36, v36
	v_min_f32_e32 v36, v28, v27
.LBB6_9910:                             ;   in Loop: Header=BB6_9048 Depth=2
	s_waitcnt vmcnt(2) lgkmcnt(2)
	s_delay_alu instid0(VALU_DEP_1) | instskip(NEXT) | instid1(VALU_DEP_1)
	v_and_b32_e32 v27, 0x7f800000, v36
	v_cmp_ne_u32_e32 vcc_lo, 0x7f800000, v27
	v_mov_b32_e32 v27, 0x80
	s_and_saveexec_b32 s25, vcc_lo
	s_cbranch_execz .LBB6_9918
; %bb.9911:                             ;   in Loop: Header=BB6_9048 Depth=2
	v_mov_b32_e32 v27, 0
	s_mov_b32 s26, exec_lo
	v_cmpx_ne_u32_e32 0, v36
	s_cbranch_execz .LBB6_9917
; %bb.9912:                             ;   in Loop: Header=BB6_9048 Depth=2
	v_bfe_u32 v27, v36, 23, 8
	s_delay_alu instid0(VALU_DEP_1) | instskip(SKIP_1) | instid1(VALU_DEP_2)
	v_sub_nc_u32_e32 v33, 0x78, v27
	v_cmp_gt_u32_e32 vcc_lo, 0x79, v27
	v_dual_cndmask_b32 v33, 0, v33 :: v_dual_and_b32 v28, 0x7fffff, v36
	s_delay_alu instid0(VALU_DEP_1) | instskip(SKIP_2) | instid1(VALU_DEP_4)
	v_or_b32_e32 v39, 0x800000, v28
	v_cmp_eq_u32_e32 vcc_lo, 0, v27
	v_add_nc_u32_e32 v27, 0xffffff89, v27
	v_cndmask_b32_e64 v33, v33, 0x77, vcc_lo
	s_delay_alu instid0(VALU_DEP_4) | instskip(NEXT) | instid1(VALU_DEP_3)
	v_cndmask_b32_e32 v28, v39, v28, vcc_lo
	v_cndmask_b32_e64 v27, v27, 0xffffff8a, vcc_lo
	s_delay_alu instid0(VALU_DEP_3) | instskip(NEXT) | instid1(VALU_DEP_3)
	v_lshl_add_u32 v39, 0x100000, v33, -1
	v_lshrrev_b32_e32 v50, v33, v28
	v_lshlrev_b32_e64 v98, v33, 0x80000
	s_delay_alu instid0(VALU_DEP_4) | instskip(NEXT) | instid1(VALU_DEP_4)
	v_add_nc_u32_e32 v33, v33, v27
	v_and_b32_e32 v28, v39, v28
	s_delay_alu instid0(VALU_DEP_4) | instskip(NEXT) | instid1(VALU_DEP_2)
	v_bfe_u32 v86, v50, 20, 1
	v_cmp_eq_u32_e64 s7, v28, v98
	s_delay_alu instid0(VALU_DEP_2) | instskip(NEXT) | instid1(VALU_DEP_1)
	v_add_nc_u32_e32 v39, -1, v86
	v_cndmask_b32_e64 v28, 0, v39, s7
	v_lshrrev_b32_e32 v39, 23, v50
	s_mov_b32 s7, exec_lo
	s_delay_alu instid0(VALU_DEP_2) | instskip(NEXT) | instid1(VALU_DEP_2)
	v_add_nc_u32_e32 v28, v28, v50
	v_xor_b32_e32 v39, 1, v39
	s_delay_alu instid0(VALU_DEP_2) | instskip(NEXT) | instid1(VALU_DEP_1)
	v_and_b32_e32 v27, 0xfffff, v28
	v_add_nc_u32_e32 v28, v27, v50
                                        ; implicit-def: $vgpr27
	s_delay_alu instid0(VALU_DEP_3)
	v_cmpx_ne_u32_e64 v33, v39
	s_xor_b32 s7, exec_lo, s7
; %bb.9913:                             ;   in Loop: Header=BB6_9048 Depth=2
	s_delay_alu instid0(VALU_DEP_2) | instskip(SKIP_2) | instid1(VALU_DEP_2)
	v_cmp_lt_u32_e32 vcc_lo, 0xffffff, v28
	v_sub_nc_u32_e32 v27, v33, v39
	v_cndmask_b32_e64 v33, 0, 1, vcc_lo
	v_add_co_ci_u32_e32 v27, vcc_lo, 0, v27, vcc_lo
	s_delay_alu instid0(VALU_DEP_2)
	v_lshrrev_b32_e32 v28, v33, v28
; %bb.9914:                             ;   in Loop: Header=BB6_9048 Depth=2
	s_and_not1_saveexec_b32 s7, s7
; %bb.9915:                             ;   in Loop: Header=BB6_9048 Depth=2
	s_delay_alu instid0(VALU_DEP_1)
	v_bfe_u32 v27, v28, 23, 1
; %bb.9916:                             ;   in Loop: Header=BB6_9048 Depth=2
	s_or_b32 exec_lo, exec_lo, s7
	v_lshrrev_b32_e32 v28, 20, v28
	s_delay_alu instid0(VALU_DEP_2) | instskip(SKIP_2) | instid1(VALU_DEP_2)
	v_cmp_gt_i32_e32 vcc_lo, 16, v27
	v_lshrrev_b32_e32 v33, 24, v36
	v_min_i32_e32 v36, 15, v27
	v_dual_cndmask_b32 v28, 7, v28 :: v_dual_and_b32 v33, 0x80, v33
	s_delay_alu instid0(VALU_DEP_2) | instskip(NEXT) | instid1(VALU_DEP_2)
	v_lshlrev_b32_e32 v36, 3, v36
	v_and_b32_e32 v39, 7, v28
	v_or_b32_e32 v27, v27, v28
	s_delay_alu instid0(VALU_DEP_2) | instskip(NEXT) | instid1(VALU_DEP_2)
	v_or3_b32 v28, v36, v33, v39
	v_cmp_ne_u32_e32 vcc_lo, 0, v27
	s_delay_alu instid0(VALU_DEP_2)
	v_cndmask_b32_e32 v27, 0, v28, vcc_lo
.LBB6_9917:                             ;   in Loop: Header=BB6_9048 Depth=2
	s_or_b32 exec_lo, exec_lo, s26
.LBB6_9918:                             ;   in Loop: Header=BB6_9048 Depth=2
	s_delay_alu instid0(SALU_CYCLE_1) | instskip(SKIP_2) | instid1(VALU_DEP_1)
	s_or_b32 exec_lo, exec_lo, s25
	v_and_b32_e32 v28, 0xff, v25
	s_and_not1_b32 vcc_lo, exec_lo, s23
	v_cmp_lt_i16_e64 s7, 0x7f, v28
	s_cbranch_vccnz .LBB6_9928
; %bb.9919:                             ;   in Loop: Header=BB6_9048 Depth=2
	s_mov_b32 s25, 0
                                        ; implicit-def: $sgpr26
	s_delay_alu instid0(VALU_DEP_1) | instskip(NEXT) | instid1(SALU_CYCLE_1)
	s_and_saveexec_b32 s27, s7
	s_xor_b32 s7, exec_lo, s27
	s_cbranch_execnz .LBB6_10454
; %bb.9920:                             ;   in Loop: Header=BB6_9048 Depth=2
	s_or_saveexec_b32 s7, s7
	v_mov_b32_e32 v33, s26
	s_xor_b32 exec_lo, exec_lo, s7
	s_cbranch_execnz .LBB6_10457
.LBB6_9921:                             ;   in Loop: Header=BB6_9048 Depth=2
	s_or_b32 exec_lo, exec_lo, s7
	s_and_saveexec_b32 s7, s25
	s_cbranch_execz .LBB6_9923
.LBB6_9922:                             ;   in Loop: Header=BB6_9048 Depth=2
	v_lshrrev_b16 v50, 3, v25
	v_lshlrev_b32_e32 v86, 24, v25
	s_delay_alu instid0(VALU_DEP_2) | instskip(NEXT) | instid1(VALU_DEP_1)
	v_and_b32_e32 v50, 15, v50
	v_cmp_eq_u32_e32 vcc_lo, 0, v50
	v_and_b32_e32 v33, 7, v25
	s_delay_alu instid0(VALU_DEP_1) | instskip(NEXT) | instid1(VALU_DEP_1)
	v_clz_i32_u32_e32 v36, v33
	v_min_u32_e32 v36, 32, v36
	s_delay_alu instid0(VALU_DEP_1) | instskip(SKIP_1) | instid1(VALU_DEP_1)
	v_subrev_nc_u32_e32 v39, 28, v36
	v_sub_nc_u32_e32 v36, 29, v36
	v_dual_cndmask_b32 v36, v50, v36 :: v_dual_lshlrev_b32 v39, v39, v25
	s_delay_alu instid0(VALU_DEP_1) | instskip(NEXT) | instid1(VALU_DEP_2)
	v_and_b32_e32 v39, 7, v39
	v_lshl_add_u32 v36, v36, 23, 0x3b800000
	s_delay_alu instid0(VALU_DEP_2) | instskip(SKIP_1) | instid1(VALU_DEP_2)
	v_cndmask_b32_e32 v33, v33, v39, vcc_lo
	v_and_b32_e32 v39, 0x80000000, v86
	v_lshlrev_b32_e32 v33, 20, v33
	s_delay_alu instid0(VALU_DEP_1)
	v_or3_b32 v33, v39, v36, v33
.LBB6_9923:                             ;   in Loop: Header=BB6_9048 Depth=2
	s_or_b32 exec_lo, exec_lo, s7
	s_waitcnt vmcnt(1) lgkmcnt(1)
	v_and_b32_e32 v39, 0xff, v24
	s_mov_b32 s7, 0
	s_mov_b32 s26, exec_lo
                                        ; implicit-def: $sgpr25
	s_delay_alu instid0(VALU_DEP_1)
	v_cmpx_lt_i16_e32 0x7f, v39
	s_xor_b32 s26, exec_lo, s26
	s_cbranch_execnz .LBB6_10458
; %bb.9924:                             ;   in Loop: Header=BB6_9048 Depth=2
	s_or_saveexec_b32 s26, s26
	v_mov_b32_e32 v36, s25
	s_xor_b32 exec_lo, exec_lo, s26
	s_cbranch_execnz .LBB6_10461
.LBB6_9925:                             ;   in Loop: Header=BB6_9048 Depth=2
	s_or_b32 exec_lo, exec_lo, s26
	s_and_saveexec_b32 s25, s7
	s_cbranch_execz .LBB6_9927
.LBB6_9926:                             ;   in Loop: Header=BB6_9048 Depth=2
	v_lshrrev_b16 v86, 3, v24
	v_lshlrev_b32_e32 v98, 24, v24
	s_delay_alu instid0(VALU_DEP_2) | instskip(NEXT) | instid1(VALU_DEP_1)
	v_and_b32_e32 v86, 15, v86
	v_cmp_eq_u32_e32 vcc_lo, 0, v86
	v_and_b32_e32 v36, 7, v24
	s_delay_alu instid0(VALU_DEP_1) | instskip(NEXT) | instid1(VALU_DEP_1)
	v_clz_i32_u32_e32 v39, v36
	v_min_u32_e32 v39, 32, v39
	s_delay_alu instid0(VALU_DEP_1) | instskip(SKIP_1) | instid1(VALU_DEP_2)
	v_subrev_nc_u32_e32 v50, 28, v39
	v_sub_nc_u32_e32 v39, 29, v39
	v_lshlrev_b32_e32 v50, v50, v24
	s_delay_alu instid0(VALU_DEP_1) | instskip(NEXT) | instid1(VALU_DEP_1)
	v_dual_cndmask_b32 v39, v86, v39 :: v_dual_and_b32 v50, 7, v50
	v_lshl_add_u32 v39, v39, 23, 0x3b800000
	s_delay_alu instid0(VALU_DEP_2) | instskip(SKIP_1) | instid1(VALU_DEP_2)
	v_cndmask_b32_e32 v36, v36, v50, vcc_lo
	v_and_b32_e32 v50, 0x80000000, v98
	v_lshlrev_b32_e32 v36, 20, v36
	s_delay_alu instid0(VALU_DEP_1)
	v_or3_b32 v36, v50, v39, v36
.LBB6_9927:                             ;   in Loop: Header=BB6_9048 Depth=2
	s_or_b32 exec_lo, exec_lo, s25
	s_delay_alu instid0(VALU_DEP_1) | instskip(SKIP_1) | instid1(VALU_DEP_1)
	v_dual_max_f32 v36, v36, v36 :: v_dual_max_f32 v33, v33, v33
	s_mov_b32 s7, 0
	v_max_f32_e32 v33, v33, v36
	s_branch .LBB6_9929
.LBB6_9928:                             ;   in Loop: Header=BB6_9048 Depth=2
	s_mov_b32 s7, -1
                                        ; implicit-def: $vgpr33
.LBB6_9929:                             ;   in Loop: Header=BB6_9048 Depth=2
	s_delay_alu instid0(SALU_CYCLE_1)
	s_and_b32 vcc_lo, exec_lo, s7
	s_cbranch_vccz .LBB6_9939
; %bb.9930:                             ;   in Loop: Header=BB6_9048 Depth=2
	s_mov_b32 s7, 0
	s_mov_b32 s26, exec_lo
                                        ; implicit-def: $sgpr25
	v_cmpx_lt_i16_e32 0x7f, v28
	s_xor_b32 s26, exec_lo, s26
	s_cbranch_execnz .LBB6_10462
; %bb.9931:                             ;   in Loop: Header=BB6_9048 Depth=2
	s_or_saveexec_b32 s26, s26
	v_mov_b32_e32 v33, s25
	s_xor_b32 exec_lo, exec_lo, s26
	s_cbranch_execnz .LBB6_10465
.LBB6_9932:                             ;   in Loop: Header=BB6_9048 Depth=2
	s_or_b32 exec_lo, exec_lo, s26
	s_and_saveexec_b32 s25, s7
	s_cbranch_execz .LBB6_9934
.LBB6_9933:                             ;   in Loop: Header=BB6_9048 Depth=2
	v_and_b32_e32 v28, 7, v25
	v_lshrrev_b16 v39, 3, v25
	s_delay_alu instid0(VALU_DEP_2) | instskip(NEXT) | instid1(VALU_DEP_1)
	v_clz_i32_u32_e32 v33, v28
	v_min_u32_e32 v33, 32, v33
	s_delay_alu instid0(VALU_DEP_1) | instskip(SKIP_1) | instid1(VALU_DEP_2)
	v_subrev_nc_u32_e32 v36, 28, v33
	v_sub_nc_u32_e32 v33, 29, v33
	v_lshlrev_b32_e32 v36, v36, v25
	v_lshlrev_b32_e32 v25, 24, v25
	s_delay_alu instid0(VALU_DEP_2) | instskip(SKIP_1) | instid1(VALU_DEP_3)
	v_and_b32_e32 v36, 7, v36
	v_and_b32_e32 v39, 15, v39
	;; [unrolled: 1-line block ×3, first 2 shown]
	s_delay_alu instid0(VALU_DEP_2) | instskip(NEXT) | instid1(VALU_DEP_4)
	v_cmp_eq_u32_e32 vcc_lo, 0, v39
	v_dual_cndmask_b32 v28, v28, v36 :: v_dual_cndmask_b32 v33, v39, v33
	s_delay_alu instid0(VALU_DEP_1) | instskip(NEXT) | instid1(VALU_DEP_2)
	v_lshlrev_b32_e32 v28, 20, v28
	v_lshl_add_u32 v33, v33, 23, 0x3b800000
	s_delay_alu instid0(VALU_DEP_1)
	v_or3_b32 v33, v25, v33, v28
.LBB6_9934:                             ;   in Loop: Header=BB6_9048 Depth=2
	s_or_b32 exec_lo, exec_lo, s25
	s_waitcnt vmcnt(1) lgkmcnt(1)
	v_and_b32_e32 v28, 0xff, v24
	s_mov_b32 s7, 0
	s_mov_b32 s26, exec_lo
                                        ; implicit-def: $sgpr25
	s_delay_alu instid0(VALU_DEP_1)
	v_cmpx_lt_i16_e32 0x7f, v28
	s_xor_b32 s26, exec_lo, s26
	s_cbranch_execnz .LBB6_10466
; %bb.9935:                             ;   in Loop: Header=BB6_9048 Depth=2
	s_or_saveexec_b32 s26, s26
	v_mov_b32_e32 v25, s25
	s_xor_b32 exec_lo, exec_lo, s26
	s_cbranch_execnz .LBB6_10469
.LBB6_9936:                             ;   in Loop: Header=BB6_9048 Depth=2
	s_or_b32 exec_lo, exec_lo, s26
	s_and_saveexec_b32 s25, s7
	s_cbranch_execz .LBB6_9938
.LBB6_9937:                             ;   in Loop: Header=BB6_9048 Depth=2
	v_and_b32_e32 v25, 7, v24
	v_lshrrev_b16 v39, 3, v24
	s_delay_alu instid0(VALU_DEP_2) | instskip(NEXT) | instid1(VALU_DEP_2)
	v_clz_i32_u32_e32 v28, v25
	v_and_b32_e32 v39, 15, v39
	s_delay_alu instid0(VALU_DEP_2) | instskip(NEXT) | instid1(VALU_DEP_2)
	v_min_u32_e32 v28, 32, v28
	v_cmp_eq_u32_e32 vcc_lo, 0, v39
	s_delay_alu instid0(VALU_DEP_2) | instskip(SKIP_1) | instid1(VALU_DEP_2)
	v_subrev_nc_u32_e32 v36, 28, v28
	v_sub_nc_u32_e32 v28, 29, v28
	v_lshlrev_b32_e32 v36, v36, v24
	v_lshlrev_b32_e32 v24, 24, v24
	s_delay_alu instid0(VALU_DEP_2) | instskip(NEXT) | instid1(VALU_DEP_2)
	v_and_b32_e32 v36, 7, v36
	v_and_b32_e32 v24, 0x80000000, v24
	s_delay_alu instid0(VALU_DEP_2) | instskip(NEXT) | instid1(VALU_DEP_1)
	v_cndmask_b32_e32 v25, v25, v36, vcc_lo
	v_dual_cndmask_b32 v28, v39, v28 :: v_dual_lshlrev_b32 v25, 20, v25
	s_delay_alu instid0(VALU_DEP_1) | instskip(NEXT) | instid1(VALU_DEP_1)
	v_lshl_add_u32 v28, v28, 23, 0x3b800000
	v_or3_b32 v25, v24, v28, v25
.LBB6_9938:                             ;   in Loop: Header=BB6_9048 Depth=2
	s_or_b32 exec_lo, exec_lo, s25
	s_delay_alu instid0(VALU_DEP_1) | instskip(SKIP_1) | instid1(VALU_DEP_1)
	v_max_f32_e32 v24, v25, v25
	v_max_f32_e32 v25, v33, v33
	v_min_f32_e32 v33, v25, v24
.LBB6_9939:                             ;   in Loop: Header=BB6_9048 Depth=2
	s_waitcnt vmcnt(1) lgkmcnt(1)
	s_delay_alu instid0(VALU_DEP_1) | instskip(NEXT) | instid1(VALU_DEP_1)
	v_and_b32_e32 v24, 0x7f800000, v33
	v_cmp_ne_u32_e32 vcc_lo, 0x7f800000, v24
	v_mov_b32_e32 v24, 0x80
	s_and_saveexec_b32 s25, vcc_lo
	s_cbranch_execz .LBB6_9947
; %bb.9940:                             ;   in Loop: Header=BB6_9048 Depth=2
	v_mov_b32_e32 v24, 0
	s_mov_b32 s26, exec_lo
	v_cmpx_ne_u32_e32 0, v33
	s_cbranch_execz .LBB6_9946
; %bb.9941:                             ;   in Loop: Header=BB6_9048 Depth=2
	v_bfe_u32 v24, v33, 23, 8
	s_delay_alu instid0(VALU_DEP_1) | instskip(SKIP_1) | instid1(VALU_DEP_2)
	v_sub_nc_u32_e32 v28, 0x78, v24
	v_cmp_gt_u32_e32 vcc_lo, 0x79, v24
	v_dual_cndmask_b32 v28, 0, v28 :: v_dual_and_b32 v25, 0x7fffff, v33
	s_delay_alu instid0(VALU_DEP_1) | instskip(SKIP_2) | instid1(VALU_DEP_4)
	v_or_b32_e32 v36, 0x800000, v25
	v_cmp_eq_u32_e32 vcc_lo, 0, v24
	v_add_nc_u32_e32 v24, 0xffffff89, v24
	v_cndmask_b32_e64 v28, v28, 0x77, vcc_lo
	s_delay_alu instid0(VALU_DEP_4) | instskip(NEXT) | instid1(VALU_DEP_3)
	v_cndmask_b32_e32 v25, v36, v25, vcc_lo
	v_cndmask_b32_e64 v24, v24, 0xffffff8a, vcc_lo
	s_delay_alu instid0(VALU_DEP_3) | instskip(NEXT) | instid1(VALU_DEP_3)
	v_lshl_add_u32 v36, 0x100000, v28, -1
	v_lshrrev_b32_e32 v39, v28, v25
	v_lshlrev_b32_e64 v86, v28, 0x80000
	s_delay_alu instid0(VALU_DEP_4) | instskip(NEXT) | instid1(VALU_DEP_4)
	v_add_nc_u32_e32 v28, v28, v24
	v_and_b32_e32 v25, v36, v25
	s_delay_alu instid0(VALU_DEP_4) | instskip(NEXT) | instid1(VALU_DEP_2)
	v_bfe_u32 v50, v39, 20, 1
	v_cmp_eq_u32_e64 s7, v25, v86
	s_delay_alu instid0(VALU_DEP_2) | instskip(NEXT) | instid1(VALU_DEP_1)
	v_add_nc_u32_e32 v36, -1, v50
	v_cndmask_b32_e64 v25, 0, v36, s7
	v_lshrrev_b32_e32 v36, 23, v39
	s_mov_b32 s7, exec_lo
	s_delay_alu instid0(VALU_DEP_2) | instskip(NEXT) | instid1(VALU_DEP_2)
	v_add_nc_u32_e32 v25, v25, v39
	v_xor_b32_e32 v36, 1, v36
	s_delay_alu instid0(VALU_DEP_2) | instskip(NEXT) | instid1(VALU_DEP_1)
	v_and_b32_e32 v24, 0xfffff, v25
	v_add_nc_u32_e32 v25, v24, v39
                                        ; implicit-def: $vgpr24
	s_delay_alu instid0(VALU_DEP_3)
	v_cmpx_ne_u32_e64 v28, v36
	s_xor_b32 s7, exec_lo, s7
; %bb.9942:                             ;   in Loop: Header=BB6_9048 Depth=2
	s_delay_alu instid0(VALU_DEP_2) | instskip(SKIP_2) | instid1(VALU_DEP_2)
	v_cmp_lt_u32_e32 vcc_lo, 0xffffff, v25
	v_sub_nc_u32_e32 v24, v28, v36
	v_cndmask_b32_e64 v28, 0, 1, vcc_lo
	v_add_co_ci_u32_e32 v24, vcc_lo, 0, v24, vcc_lo
	s_delay_alu instid0(VALU_DEP_2)
	v_lshrrev_b32_e32 v25, v28, v25
; %bb.9943:                             ;   in Loop: Header=BB6_9048 Depth=2
	s_and_not1_saveexec_b32 s7, s7
; %bb.9944:                             ;   in Loop: Header=BB6_9048 Depth=2
	s_delay_alu instid0(VALU_DEP_1)
	v_bfe_u32 v24, v25, 23, 1
; %bb.9945:                             ;   in Loop: Header=BB6_9048 Depth=2
	s_or_b32 exec_lo, exec_lo, s7
	v_lshrrev_b32_e32 v25, 20, v25
	s_delay_alu instid0(VALU_DEP_2) | instskip(SKIP_2) | instid1(VALU_DEP_2)
	v_cmp_gt_i32_e32 vcc_lo, 16, v24
	v_lshrrev_b32_e32 v28, 24, v33
	v_min_i32_e32 v33, 15, v24
	v_dual_cndmask_b32 v25, 7, v25 :: v_dual_and_b32 v28, 0x80, v28
	s_delay_alu instid0(VALU_DEP_2) | instskip(NEXT) | instid1(VALU_DEP_2)
	v_lshlrev_b32_e32 v33, 3, v33
	v_and_b32_e32 v36, 7, v25
	v_or_b32_e32 v24, v24, v25
	s_delay_alu instid0(VALU_DEP_2) | instskip(NEXT) | instid1(VALU_DEP_2)
	v_or3_b32 v25, v33, v28, v36
	v_cmp_ne_u32_e32 vcc_lo, 0, v24
	s_delay_alu instid0(VALU_DEP_2)
	v_cndmask_b32_e32 v24, 0, v25, vcc_lo
.LBB6_9946:                             ;   in Loop: Header=BB6_9048 Depth=2
	s_or_b32 exec_lo, exec_lo, s26
.LBB6_9947:                             ;   in Loop: Header=BB6_9048 Depth=2
	s_delay_alu instid0(SALU_CYCLE_1) | instskip(SKIP_2) | instid1(VALU_DEP_1)
	s_or_b32 exec_lo, exec_lo, s25
	v_and_b32_e32 v25, 0xff, v22
	s_and_not1_b32 vcc_lo, exec_lo, s23
	v_cmp_lt_i16_e64 s7, 0x7f, v25
	s_cbranch_vccnz .LBB6_9957
; %bb.9948:                             ;   in Loop: Header=BB6_9048 Depth=2
	s_mov_b32 s25, 0
                                        ; implicit-def: $sgpr26
	s_delay_alu instid0(VALU_DEP_1) | instskip(NEXT) | instid1(SALU_CYCLE_1)
	s_and_saveexec_b32 s27, s7
	s_xor_b32 s7, exec_lo, s27
	s_cbranch_execnz .LBB6_10470
; %bb.9949:                             ;   in Loop: Header=BB6_9048 Depth=2
	s_or_saveexec_b32 s7, s7
	v_mov_b32_e32 v28, s26
	s_xor_b32 exec_lo, exec_lo, s7
	s_cbranch_execnz .LBB6_10473
.LBB6_9950:                             ;   in Loop: Header=BB6_9048 Depth=2
	s_or_b32 exec_lo, exec_lo, s7
	s_and_saveexec_b32 s7, s25
	s_cbranch_execz .LBB6_9952
.LBB6_9951:                             ;   in Loop: Header=BB6_9048 Depth=2
	v_lshrrev_b16 v39, 3, v22
	v_lshlrev_b32_e32 v50, 24, v22
	s_delay_alu instid0(VALU_DEP_2) | instskip(NEXT) | instid1(VALU_DEP_1)
	v_and_b32_e32 v39, 15, v39
	v_cmp_eq_u32_e32 vcc_lo, 0, v39
	v_and_b32_e32 v28, 7, v22
	s_delay_alu instid0(VALU_DEP_1) | instskip(NEXT) | instid1(VALU_DEP_1)
	v_clz_i32_u32_e32 v33, v28
	v_min_u32_e32 v33, 32, v33
	s_delay_alu instid0(VALU_DEP_1) | instskip(SKIP_1) | instid1(VALU_DEP_1)
	v_subrev_nc_u32_e32 v36, 28, v33
	v_sub_nc_u32_e32 v33, 29, v33
	v_dual_cndmask_b32 v33, v39, v33 :: v_dual_lshlrev_b32 v36, v36, v22
	s_delay_alu instid0(VALU_DEP_1) | instskip(NEXT) | instid1(VALU_DEP_2)
	v_and_b32_e32 v36, 7, v36
	v_lshl_add_u32 v33, v33, 23, 0x3b800000
	s_delay_alu instid0(VALU_DEP_2) | instskip(SKIP_1) | instid1(VALU_DEP_2)
	v_cndmask_b32_e32 v28, v28, v36, vcc_lo
	v_and_b32_e32 v36, 0x80000000, v50
	v_lshlrev_b32_e32 v28, 20, v28
	s_delay_alu instid0(VALU_DEP_1)
	v_or3_b32 v28, v36, v33, v28
.LBB6_9952:                             ;   in Loop: Header=BB6_9048 Depth=2
	s_or_b32 exec_lo, exec_lo, s7
	s_waitcnt vmcnt(0) lgkmcnt(0)
	v_and_b32_e32 v36, 0xff, v21
	s_mov_b32 s7, 0
	s_mov_b32 s26, exec_lo
                                        ; implicit-def: $sgpr25
	s_delay_alu instid0(VALU_DEP_1)
	v_cmpx_lt_i16_e32 0x7f, v36
	s_xor_b32 s26, exec_lo, s26
	s_cbranch_execnz .LBB6_10474
; %bb.9953:                             ;   in Loop: Header=BB6_9048 Depth=2
	s_or_saveexec_b32 s26, s26
	v_mov_b32_e32 v33, s25
	s_xor_b32 exec_lo, exec_lo, s26
	s_cbranch_execnz .LBB6_10477
.LBB6_9954:                             ;   in Loop: Header=BB6_9048 Depth=2
	s_or_b32 exec_lo, exec_lo, s26
	s_and_saveexec_b32 s25, s7
	s_cbranch_execz .LBB6_9956
.LBB6_9955:                             ;   in Loop: Header=BB6_9048 Depth=2
	v_lshrrev_b16 v50, 3, v21
	v_lshlrev_b32_e32 v86, 24, v21
	s_delay_alu instid0(VALU_DEP_2) | instskip(NEXT) | instid1(VALU_DEP_1)
	v_and_b32_e32 v50, 15, v50
	v_cmp_eq_u32_e32 vcc_lo, 0, v50
	v_and_b32_e32 v33, 7, v21
	s_delay_alu instid0(VALU_DEP_1) | instskip(NEXT) | instid1(VALU_DEP_1)
	v_clz_i32_u32_e32 v36, v33
	v_min_u32_e32 v36, 32, v36
	s_delay_alu instid0(VALU_DEP_1) | instskip(SKIP_1) | instid1(VALU_DEP_1)
	v_subrev_nc_u32_e32 v39, 28, v36
	v_sub_nc_u32_e32 v36, 29, v36
	v_dual_cndmask_b32 v36, v50, v36 :: v_dual_lshlrev_b32 v39, v39, v21
	s_delay_alu instid0(VALU_DEP_1) | instskip(NEXT) | instid1(VALU_DEP_2)
	v_and_b32_e32 v39, 7, v39
	v_lshl_add_u32 v36, v36, 23, 0x3b800000
	s_delay_alu instid0(VALU_DEP_2) | instskip(SKIP_1) | instid1(VALU_DEP_2)
	v_cndmask_b32_e32 v33, v33, v39, vcc_lo
	v_and_b32_e32 v39, 0x80000000, v86
	v_lshlrev_b32_e32 v33, 20, v33
	s_delay_alu instid0(VALU_DEP_1)
	v_or3_b32 v33, v39, v36, v33
.LBB6_9956:                             ;   in Loop: Header=BB6_9048 Depth=2
	s_or_b32 exec_lo, exec_lo, s25
	s_delay_alu instid0(VALU_DEP_1) | instskip(SKIP_1) | instid1(VALU_DEP_1)
	v_dual_max_f32 v33, v33, v33 :: v_dual_max_f32 v28, v28, v28
	s_mov_b32 s7, 0
	v_max_f32_e32 v28, v28, v33
	s_branch .LBB6_9958
.LBB6_9957:                             ;   in Loop: Header=BB6_9048 Depth=2
	s_mov_b32 s7, -1
                                        ; implicit-def: $vgpr28
.LBB6_9958:                             ;   in Loop: Header=BB6_9048 Depth=2
	s_delay_alu instid0(SALU_CYCLE_1)
	s_and_b32 vcc_lo, exec_lo, s7
	s_cbranch_vccz .LBB6_9968
; %bb.9959:                             ;   in Loop: Header=BB6_9048 Depth=2
	s_mov_b32 s7, 0
	s_mov_b32 s26, exec_lo
                                        ; implicit-def: $sgpr25
	v_cmpx_lt_i16_e32 0x7f, v25
	s_xor_b32 s26, exec_lo, s26
	s_cbranch_execnz .LBB6_10478
; %bb.9960:                             ;   in Loop: Header=BB6_9048 Depth=2
	s_or_saveexec_b32 s26, s26
	v_mov_b32_e32 v28, s25
	s_xor_b32 exec_lo, exec_lo, s26
	s_cbranch_execnz .LBB6_10481
.LBB6_9961:                             ;   in Loop: Header=BB6_9048 Depth=2
	s_or_b32 exec_lo, exec_lo, s26
	s_and_saveexec_b32 s25, s7
	s_cbranch_execz .LBB6_9963
.LBB6_9962:                             ;   in Loop: Header=BB6_9048 Depth=2
	v_lshrrev_b16 v36, 3, v22
	s_delay_alu instid0(VALU_DEP_1) | instskip(NEXT) | instid1(VALU_DEP_1)
	v_and_b32_e32 v36, 15, v36
	v_cmp_eq_u32_e32 vcc_lo, 0, v36
	v_and_b32_e32 v25, 7, v22
	s_delay_alu instid0(VALU_DEP_1) | instskip(NEXT) | instid1(VALU_DEP_1)
	v_clz_i32_u32_e32 v28, v25
	v_min_u32_e32 v28, 32, v28
	s_delay_alu instid0(VALU_DEP_1) | instskip(SKIP_1) | instid1(VALU_DEP_1)
	v_subrev_nc_u32_e32 v33, 28, v28
	v_sub_nc_u32_e32 v28, 29, v28
	v_dual_cndmask_b32 v28, v36, v28 :: v_dual_lshlrev_b32 v33, v33, v22
	v_lshlrev_b32_e32 v22, 24, v22
	s_delay_alu instid0(VALU_DEP_2) | instskip(NEXT) | instid1(VALU_DEP_3)
	v_and_b32_e32 v33, 7, v33
	v_lshl_add_u32 v28, v28, 23, 0x3b800000
	s_delay_alu instid0(VALU_DEP_2) | instskip(NEXT) | instid1(VALU_DEP_1)
	v_dual_cndmask_b32 v25, v25, v33 :: v_dual_and_b32 v22, 0x80000000, v22
	v_lshlrev_b32_e32 v25, 20, v25
	s_delay_alu instid0(VALU_DEP_1)
	v_or3_b32 v28, v22, v28, v25
.LBB6_9963:                             ;   in Loop: Header=BB6_9048 Depth=2
	s_or_b32 exec_lo, exec_lo, s25
	s_waitcnt vmcnt(0) lgkmcnt(0)
	v_and_b32_e32 v25, 0xff, v21
	s_mov_b32 s7, 0
	s_mov_b32 s26, exec_lo
                                        ; implicit-def: $sgpr25
	s_delay_alu instid0(VALU_DEP_1)
	v_cmpx_lt_i16_e32 0x7f, v25
	s_xor_b32 s26, exec_lo, s26
	s_cbranch_execnz .LBB6_10482
; %bb.9964:                             ;   in Loop: Header=BB6_9048 Depth=2
	s_or_saveexec_b32 s26, s26
	v_mov_b32_e32 v22, s25
	s_xor_b32 exec_lo, exec_lo, s26
	s_cbranch_execnz .LBB6_10485
.LBB6_9965:                             ;   in Loop: Header=BB6_9048 Depth=2
	s_or_b32 exec_lo, exec_lo, s26
	s_and_saveexec_b32 s25, s7
	s_cbranch_execz .LBB6_9967
.LBB6_9966:                             ;   in Loop: Header=BB6_9048 Depth=2
	v_and_b32_e32 v22, 7, v21
	v_lshrrev_b16 v36, 3, v21
	s_delay_alu instid0(VALU_DEP_2) | instskip(NEXT) | instid1(VALU_DEP_2)
	v_clz_i32_u32_e32 v25, v22
	v_and_b32_e32 v36, 15, v36
	s_delay_alu instid0(VALU_DEP_2) | instskip(NEXT) | instid1(VALU_DEP_2)
	v_min_u32_e32 v25, 32, v25
	v_cmp_eq_u32_e32 vcc_lo, 0, v36
	s_delay_alu instid0(VALU_DEP_2) | instskip(SKIP_1) | instid1(VALU_DEP_2)
	v_subrev_nc_u32_e32 v33, 28, v25
	v_sub_nc_u32_e32 v25, 29, v25
	v_lshlrev_b32_e32 v33, v33, v21
	v_lshlrev_b32_e32 v21, 24, v21
	s_delay_alu instid0(VALU_DEP_2) | instskip(NEXT) | instid1(VALU_DEP_2)
	v_and_b32_e32 v33, 7, v33
	v_and_b32_e32 v21, 0x80000000, v21
	s_delay_alu instid0(VALU_DEP_2) | instskip(NEXT) | instid1(VALU_DEP_1)
	v_cndmask_b32_e32 v22, v22, v33, vcc_lo
	v_dual_cndmask_b32 v25, v36, v25 :: v_dual_lshlrev_b32 v22, 20, v22
	s_delay_alu instid0(VALU_DEP_1) | instskip(NEXT) | instid1(VALU_DEP_1)
	v_lshl_add_u32 v25, v25, 23, 0x3b800000
	v_or3_b32 v22, v21, v25, v22
.LBB6_9967:                             ;   in Loop: Header=BB6_9048 Depth=2
	s_or_b32 exec_lo, exec_lo, s25
	s_delay_alu instid0(VALU_DEP_1) | instskip(NEXT) | instid1(VALU_DEP_1)
	v_dual_max_f32 v21, v22, v22 :: v_dual_max_f32 v22, v28, v28
	v_min_f32_e32 v28, v22, v21
.LBB6_9968:                             ;   in Loop: Header=BB6_9048 Depth=2
	s_waitcnt vmcnt(0) lgkmcnt(0)
	s_delay_alu instid0(VALU_DEP_1) | instskip(NEXT) | instid1(VALU_DEP_1)
	v_and_b32_e32 v21, 0x7f800000, v28
	v_cmp_ne_u32_e32 vcc_lo, 0x7f800000, v21
	v_mov_b32_e32 v21, 0x80
	s_and_saveexec_b32 s25, vcc_lo
	s_cbranch_execz .LBB6_9047
; %bb.9969:                             ;   in Loop: Header=BB6_9048 Depth=2
	v_mov_b32_e32 v21, 0
	s_mov_b32 s26, exec_lo
	v_cmpx_ne_u32_e32 0, v28
	s_cbranch_execz .LBB6_9046
; %bb.9970:                             ;   in Loop: Header=BB6_9048 Depth=2
	v_bfe_u32 v21, v28, 23, 8
	s_delay_alu instid0(VALU_DEP_1) | instskip(SKIP_1) | instid1(VALU_DEP_2)
	v_sub_nc_u32_e32 v25, 0x78, v21
	v_cmp_gt_u32_e32 vcc_lo, 0x79, v21
	v_dual_cndmask_b32 v25, 0, v25 :: v_dual_and_b32 v22, 0x7fffff, v28
	s_delay_alu instid0(VALU_DEP_1) | instskip(SKIP_2) | instid1(VALU_DEP_4)
	v_or_b32_e32 v33, 0x800000, v22
	v_cmp_eq_u32_e32 vcc_lo, 0, v21
	v_add_nc_u32_e32 v21, 0xffffff89, v21
	v_cndmask_b32_e64 v25, v25, 0x77, vcc_lo
	s_delay_alu instid0(VALU_DEP_4) | instskip(NEXT) | instid1(VALU_DEP_3)
	v_cndmask_b32_e32 v22, v33, v22, vcc_lo
	v_cndmask_b32_e64 v21, v21, 0xffffff8a, vcc_lo
	s_delay_alu instid0(VALU_DEP_3) | instskip(NEXT) | instid1(VALU_DEP_3)
	v_lshl_add_u32 v33, 0x100000, v25, -1
	v_lshrrev_b32_e32 v36, v25, v22
	v_lshlrev_b32_e64 v50, v25, 0x80000
	s_delay_alu instid0(VALU_DEP_4) | instskip(NEXT) | instid1(VALU_DEP_4)
	v_add_nc_u32_e32 v25, v25, v21
	v_and_b32_e32 v22, v33, v22
	s_delay_alu instid0(VALU_DEP_4) | instskip(NEXT) | instid1(VALU_DEP_2)
	v_bfe_u32 v39, v36, 20, 1
	v_cmp_eq_u32_e64 s7, v22, v50
	s_delay_alu instid0(VALU_DEP_2) | instskip(NEXT) | instid1(VALU_DEP_1)
	v_add_nc_u32_e32 v33, -1, v39
	v_cndmask_b32_e64 v22, 0, v33, s7
	v_lshrrev_b32_e32 v33, 23, v36
	s_mov_b32 s7, exec_lo
	s_delay_alu instid0(VALU_DEP_2) | instskip(NEXT) | instid1(VALU_DEP_2)
	v_add_nc_u32_e32 v22, v22, v36
	v_xor_b32_e32 v33, 1, v33
	s_delay_alu instid0(VALU_DEP_2) | instskip(NEXT) | instid1(VALU_DEP_1)
	v_and_b32_e32 v21, 0xfffff, v22
	v_add_nc_u32_e32 v22, v21, v36
                                        ; implicit-def: $vgpr21
	s_delay_alu instid0(VALU_DEP_3)
	v_cmpx_ne_u32_e64 v25, v33
	s_xor_b32 s7, exec_lo, s7
; %bb.9971:                             ;   in Loop: Header=BB6_9048 Depth=2
	s_delay_alu instid0(VALU_DEP_2) | instskip(SKIP_2) | instid1(VALU_DEP_2)
	v_cmp_lt_u32_e32 vcc_lo, 0xffffff, v22
	v_sub_nc_u32_e32 v21, v25, v33
	v_cndmask_b32_e64 v25, 0, 1, vcc_lo
	v_add_co_ci_u32_e32 v21, vcc_lo, 0, v21, vcc_lo
	s_delay_alu instid0(VALU_DEP_2)
	v_lshrrev_b32_e32 v22, v25, v22
; %bb.9972:                             ;   in Loop: Header=BB6_9048 Depth=2
	s_and_not1_saveexec_b32 s7, s7
	s_cbranch_execz .LBB6_9045
; %bb.9973:                             ;   in Loop: Header=BB6_9048 Depth=2
	s_delay_alu instid0(VALU_DEP_1)
	v_bfe_u32 v21, v22, 23, 1
	s_branch .LBB6_9045
.LBB6_9974:                             ;   in Loop: Header=BB6_9048 Depth=2
	s_mov_b32 s25, -1
	s_mov_b32 s27, exec_lo
                                        ; implicit-def: $sgpr26
	v_cmpx_eq_u16_e32 0x80, v60
; %bb.9975:                             ;   in Loop: Header=BB6_9048 Depth=2
	s_mov_b32 s26, 0x7f800001
	s_xor_b32 s25, exec_lo, -1
; %bb.9976:                             ;   in Loop: Header=BB6_9048 Depth=2
	s_or_b32 exec_lo, exec_lo, s27
	s_delay_alu instid0(SALU_CYCLE_1)
	s_and_b32 s25, s25, exec_lo
	s_or_saveexec_b32 s7, s7
	v_mov_b32_e32 v61, s26
	s_xor_b32 exec_lo, exec_lo, s7
	s_cbranch_execz .LBB6_9051
.LBB6_9977:                             ;   in Loop: Header=BB6_9048 Depth=2
	v_cmp_ne_u16_e32 vcc_lo, 0, v60
	v_mov_b32_e32 v61, 0
	s_and_not1_b32 s25, s25, exec_lo
	s_and_b32 s26, vcc_lo, exec_lo
	s_delay_alu instid0(SALU_CYCLE_1)
	s_or_b32 s25, s25, s26
	s_or_b32 exec_lo, exec_lo, s7
	s_and_saveexec_b32 s7, s25
	s_cbranch_execnz .LBB6_9052
	s_branch .LBB6_9053
.LBB6_9978:                             ;   in Loop: Header=BB6_9048 Depth=2
	s_mov_b32 s7, -1
	s_mov_b32 s27, exec_lo
                                        ; implicit-def: $sgpr25
	v_cmpx_eq_u16_e32 0x80, v63
; %bb.9979:                             ;   in Loop: Header=BB6_9048 Depth=2
	s_mov_b32 s25, 0x7f800001
	s_xor_b32 s7, exec_lo, -1
; %bb.9980:                             ;   in Loop: Header=BB6_9048 Depth=2
	s_or_b32 exec_lo, exec_lo, s27
	s_delay_alu instid0(SALU_CYCLE_1)
	s_and_b32 s7, s7, exec_lo
                                        ; implicit-def: $vgpr63
	s_or_saveexec_b32 s26, s26
	v_mov_b32_e32 v62, s25
	s_xor_b32 exec_lo, exec_lo, s26
	s_cbranch_execz .LBB6_9055
.LBB6_9981:                             ;   in Loop: Header=BB6_9048 Depth=2
	v_cmp_ne_u16_e32 vcc_lo, 0, v63
	v_mov_b32_e32 v62, 0
	s_and_not1_b32 s7, s7, exec_lo
	s_and_b32 s25, vcc_lo, exec_lo
	s_delay_alu instid0(SALU_CYCLE_1)
	s_or_b32 s7, s7, s25
	s_or_b32 exec_lo, exec_lo, s26
	s_and_saveexec_b32 s25, s7
	s_cbranch_execnz .LBB6_9056
	s_branch .LBB6_9057
.LBB6_9982:                             ;   in Loop: Header=BB6_9048 Depth=2
	s_mov_b32 s7, -1
	s_mov_b32 s27, exec_lo
                                        ; implicit-def: $sgpr25
	v_cmpx_eq_u16_e32 0x80, v60
; %bb.9983:                             ;   in Loop: Header=BB6_9048 Depth=2
	s_mov_b32 s25, 0x7f800001
	s_xor_b32 s7, exec_lo, -1
; %bb.9984:                             ;   in Loop: Header=BB6_9048 Depth=2
	s_or_b32 exec_lo, exec_lo, s27
	s_delay_alu instid0(SALU_CYCLE_1)
	s_and_b32 s7, s7, exec_lo
                                        ; implicit-def: $vgpr60
	s_or_saveexec_b32 s26, s26
	v_mov_b32_e32 v61, s25
	s_xor_b32 exec_lo, exec_lo, s26
	s_cbranch_execz .LBB6_9062
.LBB6_9985:                             ;   in Loop: Header=BB6_9048 Depth=2
	v_cmp_ne_u16_e32 vcc_lo, 0, v60
	v_mov_b32_e32 v61, 0
	s_and_not1_b32 s7, s7, exec_lo
	s_and_b32 s25, vcc_lo, exec_lo
	s_delay_alu instid0(SALU_CYCLE_1)
	s_or_b32 s7, s7, s25
	s_or_b32 exec_lo, exec_lo, s26
	s_and_saveexec_b32 s25, s7
	s_cbranch_execnz .LBB6_9063
	s_branch .LBB6_9064
.LBB6_9986:                             ;   in Loop: Header=BB6_9048 Depth=2
	s_mov_b32 s7, -1
	s_mov_b32 s27, exec_lo
                                        ; implicit-def: $sgpr25
	v_cmpx_eq_u16_e32 0x80, v60
; %bb.9987:                             ;   in Loop: Header=BB6_9048 Depth=2
	s_mov_b32 s25, 0x7f800001
	s_xor_b32 s7, exec_lo, -1
; %bb.9988:                             ;   in Loop: Header=BB6_9048 Depth=2
	s_or_b32 exec_lo, exec_lo, s27
	s_delay_alu instid0(SALU_CYCLE_1)
	s_and_b32 s7, s7, exec_lo
                                        ; implicit-def: $vgpr60
	s_or_saveexec_b32 s26, s26
	v_mov_b32_e32 v59, s25
	s_xor_b32 exec_lo, exec_lo, s26
	s_cbranch_execz .LBB6_9066
.LBB6_9989:                             ;   in Loop: Header=BB6_9048 Depth=2
	v_cmp_ne_u16_e32 vcc_lo, 0, v60
	v_mov_b32_e32 v59, 0
	s_and_not1_b32 s7, s7, exec_lo
	s_and_b32 s25, vcc_lo, exec_lo
	s_delay_alu instid0(SALU_CYCLE_1)
	s_or_b32 s7, s7, s25
	s_or_b32 exec_lo, exec_lo, s26
	s_and_saveexec_b32 s25, s7
	s_cbranch_execnz .LBB6_9067
	s_branch .LBB6_9068
.LBB6_9990:                             ;   in Loop: Header=BB6_9048 Depth=2
	s_mov_b32 s25, -1
	s_mov_b32 s27, exec_lo
                                        ; implicit-def: $sgpr26
	v_cmpx_eq_u16_e32 0x80, v59
; %bb.9991:                             ;   in Loop: Header=BB6_9048 Depth=2
	s_mov_b32 s26, 0x7f800001
	s_xor_b32 s25, exec_lo, -1
; %bb.9992:                             ;   in Loop: Header=BB6_9048 Depth=2
	s_or_b32 exec_lo, exec_lo, s27
	s_delay_alu instid0(SALU_CYCLE_1)
	s_and_b32 s25, s25, exec_lo
	s_or_saveexec_b32 s7, s7
	v_mov_b32_e32 v60, s26
	s_xor_b32 exec_lo, exec_lo, s7
	s_cbranch_execz .LBB6_9080
.LBB6_9993:                             ;   in Loop: Header=BB6_9048 Depth=2
	v_cmp_ne_u16_e32 vcc_lo, 0, v59
	v_mov_b32_e32 v60, 0
	s_and_not1_b32 s25, s25, exec_lo
	s_and_b32 s26, vcc_lo, exec_lo
	s_delay_alu instid0(SALU_CYCLE_1)
	s_or_b32 s25, s25, s26
	s_or_b32 exec_lo, exec_lo, s7
	s_and_saveexec_b32 s7, s25
	s_cbranch_execnz .LBB6_9081
	s_branch .LBB6_9082
.LBB6_9994:                             ;   in Loop: Header=BB6_9048 Depth=2
	s_mov_b32 s7, -1
	s_mov_b32 s27, exec_lo
                                        ; implicit-def: $sgpr25
	v_cmpx_eq_u16_e32 0x80, v62
; %bb.9995:                             ;   in Loop: Header=BB6_9048 Depth=2
	s_mov_b32 s25, 0x7f800001
	s_xor_b32 s7, exec_lo, -1
; %bb.9996:                             ;   in Loop: Header=BB6_9048 Depth=2
	s_or_b32 exec_lo, exec_lo, s27
	s_delay_alu instid0(SALU_CYCLE_1)
	s_and_b32 s7, s7, exec_lo
                                        ; implicit-def: $vgpr62
	s_or_saveexec_b32 s26, s26
	v_mov_b32_e32 v61, s25
	s_xor_b32 exec_lo, exec_lo, s26
	s_cbranch_execz .LBB6_9084
.LBB6_9997:                             ;   in Loop: Header=BB6_9048 Depth=2
	v_cmp_ne_u16_e32 vcc_lo, 0, v62
	v_mov_b32_e32 v61, 0
	s_and_not1_b32 s7, s7, exec_lo
	s_and_b32 s25, vcc_lo, exec_lo
	s_delay_alu instid0(SALU_CYCLE_1)
	s_or_b32 s7, s7, s25
	s_or_b32 exec_lo, exec_lo, s26
	s_and_saveexec_b32 s25, s7
	s_cbranch_execnz .LBB6_9085
	s_branch .LBB6_9086
.LBB6_9998:                             ;   in Loop: Header=BB6_9048 Depth=2
	s_mov_b32 s7, -1
	s_mov_b32 s27, exec_lo
                                        ; implicit-def: $sgpr25
	v_cmpx_eq_u16_e32 0x80, v59
; %bb.9999:                             ;   in Loop: Header=BB6_9048 Depth=2
	s_mov_b32 s25, 0x7f800001
	s_xor_b32 s7, exec_lo, -1
; %bb.10000:                            ;   in Loop: Header=BB6_9048 Depth=2
	s_or_b32 exec_lo, exec_lo, s27
	s_delay_alu instid0(SALU_CYCLE_1)
	s_and_b32 s7, s7, exec_lo
                                        ; implicit-def: $vgpr59
	s_or_saveexec_b32 s26, s26
	v_mov_b32_e32 v60, s25
	s_xor_b32 exec_lo, exec_lo, s26
	s_cbranch_execz .LBB6_9091
.LBB6_10001:                            ;   in Loop: Header=BB6_9048 Depth=2
	v_cmp_ne_u16_e32 vcc_lo, 0, v59
	v_mov_b32_e32 v60, 0
	s_and_not1_b32 s7, s7, exec_lo
	s_and_b32 s25, vcc_lo, exec_lo
	s_delay_alu instid0(SALU_CYCLE_1)
	s_or_b32 s7, s7, s25
	s_or_b32 exec_lo, exec_lo, s26
	s_and_saveexec_b32 s25, s7
	s_cbranch_execnz .LBB6_9092
	s_branch .LBB6_9093
.LBB6_10002:                            ;   in Loop: Header=BB6_9048 Depth=2
	s_mov_b32 s7, -1
	s_mov_b32 s27, exec_lo
                                        ; implicit-def: $sgpr25
	v_cmpx_eq_u16_e32 0x80, v59
; %bb.10003:                            ;   in Loop: Header=BB6_9048 Depth=2
	s_mov_b32 s25, 0x7f800001
	s_xor_b32 s7, exec_lo, -1
; %bb.10004:                            ;   in Loop: Header=BB6_9048 Depth=2
	s_or_b32 exec_lo, exec_lo, s27
	s_delay_alu instid0(SALU_CYCLE_1)
	s_and_b32 s7, s7, exec_lo
                                        ; implicit-def: $vgpr59
	s_or_saveexec_b32 s26, s26
	v_mov_b32_e32 v58, s25
	s_xor_b32 exec_lo, exec_lo, s26
	s_cbranch_execz .LBB6_9095
.LBB6_10005:                            ;   in Loop: Header=BB6_9048 Depth=2
	v_cmp_ne_u16_e32 vcc_lo, 0, v59
	v_mov_b32_e32 v58, 0
	s_and_not1_b32 s7, s7, exec_lo
	s_and_b32 s25, vcc_lo, exec_lo
	s_delay_alu instid0(SALU_CYCLE_1)
	s_or_b32 s7, s7, s25
	s_or_b32 exec_lo, exec_lo, s26
	s_and_saveexec_b32 s25, s7
	s_cbranch_execnz .LBB6_9096
	s_branch .LBB6_9097
.LBB6_10006:                            ;   in Loop: Header=BB6_9048 Depth=2
	s_mov_b32 s25, -1
	s_mov_b32 s27, exec_lo
                                        ; implicit-def: $sgpr26
	v_cmpx_eq_u16_e32 0x80, v58
; %bb.10007:                            ;   in Loop: Header=BB6_9048 Depth=2
	s_mov_b32 s26, 0x7f800001
	s_xor_b32 s25, exec_lo, -1
; %bb.10008:                            ;   in Loop: Header=BB6_9048 Depth=2
	s_or_b32 exec_lo, exec_lo, s27
	s_delay_alu instid0(SALU_CYCLE_1)
	s_and_b32 s25, s25, exec_lo
	s_or_saveexec_b32 s7, s7
	v_mov_b32_e32 v59, s26
	s_xor_b32 exec_lo, exec_lo, s7
	s_cbranch_execz .LBB6_9109
.LBB6_10009:                            ;   in Loop: Header=BB6_9048 Depth=2
	v_cmp_ne_u16_e32 vcc_lo, 0, v58
	v_mov_b32_e32 v59, 0
	s_and_not1_b32 s25, s25, exec_lo
	s_and_b32 s26, vcc_lo, exec_lo
	s_delay_alu instid0(SALU_CYCLE_1)
	s_or_b32 s25, s25, s26
	s_or_b32 exec_lo, exec_lo, s7
	s_and_saveexec_b32 s7, s25
	s_cbranch_execnz .LBB6_9110
	s_branch .LBB6_9111
.LBB6_10010:                            ;   in Loop: Header=BB6_9048 Depth=2
	s_mov_b32 s7, -1
	s_mov_b32 s27, exec_lo
                                        ; implicit-def: $sgpr25
	v_cmpx_eq_u16_e32 0x80, v61
; %bb.10011:                            ;   in Loop: Header=BB6_9048 Depth=2
	s_mov_b32 s25, 0x7f800001
	s_xor_b32 s7, exec_lo, -1
; %bb.10012:                            ;   in Loop: Header=BB6_9048 Depth=2
	s_or_b32 exec_lo, exec_lo, s27
	s_delay_alu instid0(SALU_CYCLE_1)
	s_and_b32 s7, s7, exec_lo
                                        ; implicit-def: $vgpr61
	s_or_saveexec_b32 s26, s26
	v_mov_b32_e32 v60, s25
	s_xor_b32 exec_lo, exec_lo, s26
	s_cbranch_execz .LBB6_9113
.LBB6_10013:                            ;   in Loop: Header=BB6_9048 Depth=2
	v_cmp_ne_u16_e32 vcc_lo, 0, v61
	v_mov_b32_e32 v60, 0
	s_and_not1_b32 s7, s7, exec_lo
	s_and_b32 s25, vcc_lo, exec_lo
	s_delay_alu instid0(SALU_CYCLE_1)
	s_or_b32 s7, s7, s25
	s_or_b32 exec_lo, exec_lo, s26
	s_and_saveexec_b32 s25, s7
	s_cbranch_execnz .LBB6_9114
	s_branch .LBB6_9115
.LBB6_10014:                            ;   in Loop: Header=BB6_9048 Depth=2
	s_mov_b32 s7, -1
	s_mov_b32 s27, exec_lo
                                        ; implicit-def: $sgpr25
	v_cmpx_eq_u16_e32 0x80, v58
; %bb.10015:                            ;   in Loop: Header=BB6_9048 Depth=2
	s_mov_b32 s25, 0x7f800001
	s_xor_b32 s7, exec_lo, -1
; %bb.10016:                            ;   in Loop: Header=BB6_9048 Depth=2
	s_or_b32 exec_lo, exec_lo, s27
	s_delay_alu instid0(SALU_CYCLE_1)
	s_and_b32 s7, s7, exec_lo
                                        ; implicit-def: $vgpr58
	s_or_saveexec_b32 s26, s26
	v_mov_b32_e32 v59, s25
	s_xor_b32 exec_lo, exec_lo, s26
	s_cbranch_execz .LBB6_9120
.LBB6_10017:                            ;   in Loop: Header=BB6_9048 Depth=2
	v_cmp_ne_u16_e32 vcc_lo, 0, v58
	v_mov_b32_e32 v59, 0
	s_and_not1_b32 s7, s7, exec_lo
	s_and_b32 s25, vcc_lo, exec_lo
	s_delay_alu instid0(SALU_CYCLE_1)
	s_or_b32 s7, s7, s25
	s_or_b32 exec_lo, exec_lo, s26
	s_and_saveexec_b32 s25, s7
	s_cbranch_execnz .LBB6_9121
	s_branch .LBB6_9122
.LBB6_10018:                            ;   in Loop: Header=BB6_9048 Depth=2
	s_mov_b32 s7, -1
	s_mov_b32 s27, exec_lo
                                        ; implicit-def: $sgpr25
	v_cmpx_eq_u16_e32 0x80, v58
; %bb.10019:                            ;   in Loop: Header=BB6_9048 Depth=2
	s_mov_b32 s25, 0x7f800001
	s_xor_b32 s7, exec_lo, -1
; %bb.10020:                            ;   in Loop: Header=BB6_9048 Depth=2
	s_or_b32 exec_lo, exec_lo, s27
	s_delay_alu instid0(SALU_CYCLE_1)
	s_and_b32 s7, s7, exec_lo
                                        ; implicit-def: $vgpr58
	s_or_saveexec_b32 s26, s26
	v_mov_b32_e32 v57, s25
	s_xor_b32 exec_lo, exec_lo, s26
	s_cbranch_execz .LBB6_9124
.LBB6_10021:                            ;   in Loop: Header=BB6_9048 Depth=2
	v_cmp_ne_u16_e32 vcc_lo, 0, v58
	v_mov_b32_e32 v57, 0
	s_and_not1_b32 s7, s7, exec_lo
	s_and_b32 s25, vcc_lo, exec_lo
	s_delay_alu instid0(SALU_CYCLE_1)
	s_or_b32 s7, s7, s25
	s_or_b32 exec_lo, exec_lo, s26
	s_and_saveexec_b32 s25, s7
	s_cbranch_execnz .LBB6_9125
	s_branch .LBB6_9126
.LBB6_10022:                            ;   in Loop: Header=BB6_9048 Depth=2
	s_mov_b32 s25, -1
	s_mov_b32 s27, exec_lo
                                        ; implicit-def: $sgpr26
	v_cmpx_eq_u16_e32 0x80, v57
; %bb.10023:                            ;   in Loop: Header=BB6_9048 Depth=2
	s_mov_b32 s26, 0x7f800001
	s_xor_b32 s25, exec_lo, -1
; %bb.10024:                            ;   in Loop: Header=BB6_9048 Depth=2
	s_or_b32 exec_lo, exec_lo, s27
	s_delay_alu instid0(SALU_CYCLE_1)
	s_and_b32 s25, s25, exec_lo
	s_or_saveexec_b32 s7, s7
	v_mov_b32_e32 v58, s26
	s_xor_b32 exec_lo, exec_lo, s7
	s_cbranch_execz .LBB6_9138
.LBB6_10025:                            ;   in Loop: Header=BB6_9048 Depth=2
	v_cmp_ne_u16_e32 vcc_lo, 0, v57
	v_mov_b32_e32 v58, 0
	s_and_not1_b32 s25, s25, exec_lo
	s_and_b32 s26, vcc_lo, exec_lo
	s_delay_alu instid0(SALU_CYCLE_1)
	s_or_b32 s25, s25, s26
	s_or_b32 exec_lo, exec_lo, s7
	s_and_saveexec_b32 s7, s25
	s_cbranch_execnz .LBB6_9139
	s_branch .LBB6_9140
.LBB6_10026:                            ;   in Loop: Header=BB6_9048 Depth=2
	s_mov_b32 s7, -1
	s_mov_b32 s27, exec_lo
                                        ; implicit-def: $sgpr25
	v_cmpx_eq_u16_e32 0x80, v60
; %bb.10027:                            ;   in Loop: Header=BB6_9048 Depth=2
	s_mov_b32 s25, 0x7f800001
	s_xor_b32 s7, exec_lo, -1
; %bb.10028:                            ;   in Loop: Header=BB6_9048 Depth=2
	s_or_b32 exec_lo, exec_lo, s27
	s_delay_alu instid0(SALU_CYCLE_1)
	s_and_b32 s7, s7, exec_lo
                                        ; implicit-def: $vgpr60
	s_or_saveexec_b32 s26, s26
	v_mov_b32_e32 v59, s25
	s_xor_b32 exec_lo, exec_lo, s26
	s_cbranch_execz .LBB6_9142
.LBB6_10029:                            ;   in Loop: Header=BB6_9048 Depth=2
	v_cmp_ne_u16_e32 vcc_lo, 0, v60
	v_mov_b32_e32 v59, 0
	s_and_not1_b32 s7, s7, exec_lo
	s_and_b32 s25, vcc_lo, exec_lo
	s_delay_alu instid0(SALU_CYCLE_1)
	s_or_b32 s7, s7, s25
	s_or_b32 exec_lo, exec_lo, s26
	s_and_saveexec_b32 s25, s7
	s_cbranch_execnz .LBB6_9143
	s_branch .LBB6_9144
.LBB6_10030:                            ;   in Loop: Header=BB6_9048 Depth=2
	s_mov_b32 s7, -1
	s_mov_b32 s27, exec_lo
                                        ; implicit-def: $sgpr25
	v_cmpx_eq_u16_e32 0x80, v57
; %bb.10031:                            ;   in Loop: Header=BB6_9048 Depth=2
	s_mov_b32 s25, 0x7f800001
	s_xor_b32 s7, exec_lo, -1
; %bb.10032:                            ;   in Loop: Header=BB6_9048 Depth=2
	s_or_b32 exec_lo, exec_lo, s27
	s_delay_alu instid0(SALU_CYCLE_1)
	s_and_b32 s7, s7, exec_lo
                                        ; implicit-def: $vgpr57
	s_or_saveexec_b32 s26, s26
	v_mov_b32_e32 v58, s25
	s_xor_b32 exec_lo, exec_lo, s26
	s_cbranch_execz .LBB6_9149
.LBB6_10033:                            ;   in Loop: Header=BB6_9048 Depth=2
	v_cmp_ne_u16_e32 vcc_lo, 0, v57
	v_mov_b32_e32 v58, 0
	s_and_not1_b32 s7, s7, exec_lo
	s_and_b32 s25, vcc_lo, exec_lo
	s_delay_alu instid0(SALU_CYCLE_1)
	s_or_b32 s7, s7, s25
	s_or_b32 exec_lo, exec_lo, s26
	s_and_saveexec_b32 s25, s7
	s_cbranch_execnz .LBB6_9150
	s_branch .LBB6_9151
.LBB6_10034:                            ;   in Loop: Header=BB6_9048 Depth=2
	s_mov_b32 s7, -1
	s_mov_b32 s27, exec_lo
                                        ; implicit-def: $sgpr25
	v_cmpx_eq_u16_e32 0x80, v57
; %bb.10035:                            ;   in Loop: Header=BB6_9048 Depth=2
	s_mov_b32 s25, 0x7f800001
	s_xor_b32 s7, exec_lo, -1
; %bb.10036:                            ;   in Loop: Header=BB6_9048 Depth=2
	s_or_b32 exec_lo, exec_lo, s27
	s_delay_alu instid0(SALU_CYCLE_1)
	s_and_b32 s7, s7, exec_lo
                                        ; implicit-def: $vgpr57
	s_or_saveexec_b32 s26, s26
	v_mov_b32_e32 v56, s25
	s_xor_b32 exec_lo, exec_lo, s26
	s_cbranch_execz .LBB6_9153
.LBB6_10037:                            ;   in Loop: Header=BB6_9048 Depth=2
	v_cmp_ne_u16_e32 vcc_lo, 0, v57
	v_mov_b32_e32 v56, 0
	s_and_not1_b32 s7, s7, exec_lo
	s_and_b32 s25, vcc_lo, exec_lo
	s_delay_alu instid0(SALU_CYCLE_1)
	s_or_b32 s7, s7, s25
	s_or_b32 exec_lo, exec_lo, s26
	s_and_saveexec_b32 s25, s7
	s_cbranch_execnz .LBB6_9154
	s_branch .LBB6_9155
.LBB6_10038:                            ;   in Loop: Header=BB6_9048 Depth=2
	s_mov_b32 s25, -1
	s_mov_b32 s27, exec_lo
                                        ; implicit-def: $sgpr26
	v_cmpx_eq_u16_e32 0x80, v56
; %bb.10039:                            ;   in Loop: Header=BB6_9048 Depth=2
	s_mov_b32 s26, 0x7f800001
	s_xor_b32 s25, exec_lo, -1
; %bb.10040:                            ;   in Loop: Header=BB6_9048 Depth=2
	s_or_b32 exec_lo, exec_lo, s27
	s_delay_alu instid0(SALU_CYCLE_1)
	s_and_b32 s25, s25, exec_lo
	s_or_saveexec_b32 s7, s7
	v_mov_b32_e32 v57, s26
	s_xor_b32 exec_lo, exec_lo, s7
	s_cbranch_execz .LBB6_9167
.LBB6_10041:                            ;   in Loop: Header=BB6_9048 Depth=2
	v_cmp_ne_u16_e32 vcc_lo, 0, v56
	v_mov_b32_e32 v57, 0
	s_and_not1_b32 s25, s25, exec_lo
	s_and_b32 s26, vcc_lo, exec_lo
	s_delay_alu instid0(SALU_CYCLE_1)
	s_or_b32 s25, s25, s26
	s_or_b32 exec_lo, exec_lo, s7
	s_and_saveexec_b32 s7, s25
	s_cbranch_execnz .LBB6_9168
	s_branch .LBB6_9169
.LBB6_10042:                            ;   in Loop: Header=BB6_9048 Depth=2
	s_mov_b32 s7, -1
	s_mov_b32 s27, exec_lo
                                        ; implicit-def: $sgpr25
	v_cmpx_eq_u16_e32 0x80, v59
; %bb.10043:                            ;   in Loop: Header=BB6_9048 Depth=2
	s_mov_b32 s25, 0x7f800001
	s_xor_b32 s7, exec_lo, -1
; %bb.10044:                            ;   in Loop: Header=BB6_9048 Depth=2
	s_or_b32 exec_lo, exec_lo, s27
	s_delay_alu instid0(SALU_CYCLE_1)
	s_and_b32 s7, s7, exec_lo
                                        ; implicit-def: $vgpr59
	s_or_saveexec_b32 s26, s26
	v_mov_b32_e32 v58, s25
	s_xor_b32 exec_lo, exec_lo, s26
	s_cbranch_execz .LBB6_9171
.LBB6_10045:                            ;   in Loop: Header=BB6_9048 Depth=2
	v_cmp_ne_u16_e32 vcc_lo, 0, v59
	v_mov_b32_e32 v58, 0
	s_and_not1_b32 s7, s7, exec_lo
	s_and_b32 s25, vcc_lo, exec_lo
	s_delay_alu instid0(SALU_CYCLE_1)
	s_or_b32 s7, s7, s25
	s_or_b32 exec_lo, exec_lo, s26
	s_and_saveexec_b32 s25, s7
	s_cbranch_execnz .LBB6_9172
	s_branch .LBB6_9173
.LBB6_10046:                            ;   in Loop: Header=BB6_9048 Depth=2
	s_mov_b32 s7, -1
	s_mov_b32 s27, exec_lo
                                        ; implicit-def: $sgpr25
	v_cmpx_eq_u16_e32 0x80, v56
; %bb.10047:                            ;   in Loop: Header=BB6_9048 Depth=2
	s_mov_b32 s25, 0x7f800001
	s_xor_b32 s7, exec_lo, -1
; %bb.10048:                            ;   in Loop: Header=BB6_9048 Depth=2
	s_or_b32 exec_lo, exec_lo, s27
	s_delay_alu instid0(SALU_CYCLE_1)
	s_and_b32 s7, s7, exec_lo
                                        ; implicit-def: $vgpr56
	s_or_saveexec_b32 s26, s26
	v_mov_b32_e32 v57, s25
	s_xor_b32 exec_lo, exec_lo, s26
	s_cbranch_execz .LBB6_9178
.LBB6_10049:                            ;   in Loop: Header=BB6_9048 Depth=2
	v_cmp_ne_u16_e32 vcc_lo, 0, v56
	v_mov_b32_e32 v57, 0
	s_and_not1_b32 s7, s7, exec_lo
	s_and_b32 s25, vcc_lo, exec_lo
	s_delay_alu instid0(SALU_CYCLE_1)
	s_or_b32 s7, s7, s25
	s_or_b32 exec_lo, exec_lo, s26
	s_and_saveexec_b32 s25, s7
	s_cbranch_execnz .LBB6_9179
	s_branch .LBB6_9180
.LBB6_10050:                            ;   in Loop: Header=BB6_9048 Depth=2
	s_mov_b32 s7, -1
	s_mov_b32 s27, exec_lo
                                        ; implicit-def: $sgpr25
	v_cmpx_eq_u16_e32 0x80, v56
; %bb.10051:                            ;   in Loop: Header=BB6_9048 Depth=2
	s_mov_b32 s25, 0x7f800001
	s_xor_b32 s7, exec_lo, -1
; %bb.10052:                            ;   in Loop: Header=BB6_9048 Depth=2
	s_or_b32 exec_lo, exec_lo, s27
	s_delay_alu instid0(SALU_CYCLE_1)
	s_and_b32 s7, s7, exec_lo
                                        ; implicit-def: $vgpr56
	s_or_saveexec_b32 s26, s26
	v_mov_b32_e32 v47, s25
	s_xor_b32 exec_lo, exec_lo, s26
	s_cbranch_execz .LBB6_9182
.LBB6_10053:                            ;   in Loop: Header=BB6_9048 Depth=2
	v_cmp_ne_u16_e32 vcc_lo, 0, v56
	v_mov_b32_e32 v47, 0
	s_and_not1_b32 s7, s7, exec_lo
	s_and_b32 s25, vcc_lo, exec_lo
	s_delay_alu instid0(SALU_CYCLE_1)
	s_or_b32 s7, s7, s25
	s_or_b32 exec_lo, exec_lo, s26
	s_and_saveexec_b32 s25, s7
	s_cbranch_execnz .LBB6_9183
	s_branch .LBB6_9184
.LBB6_10054:                            ;   in Loop: Header=BB6_9048 Depth=2
	s_mov_b32 s25, -1
	s_mov_b32 s27, exec_lo
                                        ; implicit-def: $sgpr26
	v_cmpx_eq_u16_e32 0x80, v47
; %bb.10055:                            ;   in Loop: Header=BB6_9048 Depth=2
	s_mov_b32 s26, 0x7f800001
	s_xor_b32 s25, exec_lo, -1
; %bb.10056:                            ;   in Loop: Header=BB6_9048 Depth=2
	s_or_b32 exec_lo, exec_lo, s27
	s_delay_alu instid0(SALU_CYCLE_1)
	s_and_b32 s25, s25, exec_lo
	s_or_saveexec_b32 s7, s7
	v_mov_b32_e32 v56, s26
	s_xor_b32 exec_lo, exec_lo, s7
	s_cbranch_execz .LBB6_9196
.LBB6_10057:                            ;   in Loop: Header=BB6_9048 Depth=2
	v_cmp_ne_u16_e32 vcc_lo, 0, v47
	v_mov_b32_e32 v56, 0
	s_and_not1_b32 s25, s25, exec_lo
	s_and_b32 s26, vcc_lo, exec_lo
	s_delay_alu instid0(SALU_CYCLE_1)
	s_or_b32 s25, s25, s26
	s_or_b32 exec_lo, exec_lo, s7
	s_and_saveexec_b32 s7, s25
	s_cbranch_execnz .LBB6_9197
	s_branch .LBB6_9198
.LBB6_10058:                            ;   in Loop: Header=BB6_9048 Depth=2
	s_mov_b32 s7, -1
	s_mov_b32 s27, exec_lo
                                        ; implicit-def: $sgpr25
	v_cmpx_eq_u16_e32 0x80, v58
; %bb.10059:                            ;   in Loop: Header=BB6_9048 Depth=2
	s_mov_b32 s25, 0x7f800001
	s_xor_b32 s7, exec_lo, -1
; %bb.10060:                            ;   in Loop: Header=BB6_9048 Depth=2
	s_or_b32 exec_lo, exec_lo, s27
	s_delay_alu instid0(SALU_CYCLE_1)
	s_and_b32 s7, s7, exec_lo
                                        ; implicit-def: $vgpr58
	s_or_saveexec_b32 s26, s26
	v_mov_b32_e32 v57, s25
	s_xor_b32 exec_lo, exec_lo, s26
	s_cbranch_execz .LBB6_9200
.LBB6_10061:                            ;   in Loop: Header=BB6_9048 Depth=2
	v_cmp_ne_u16_e32 vcc_lo, 0, v58
	v_mov_b32_e32 v57, 0
	s_and_not1_b32 s7, s7, exec_lo
	s_and_b32 s25, vcc_lo, exec_lo
	s_delay_alu instid0(SALU_CYCLE_1)
	s_or_b32 s7, s7, s25
	s_or_b32 exec_lo, exec_lo, s26
	s_and_saveexec_b32 s25, s7
	s_cbranch_execnz .LBB6_9201
	s_branch .LBB6_9202
.LBB6_10062:                            ;   in Loop: Header=BB6_9048 Depth=2
	s_mov_b32 s7, -1
	s_mov_b32 s27, exec_lo
                                        ; implicit-def: $sgpr25
	v_cmpx_eq_u16_e32 0x80, v47
; %bb.10063:                            ;   in Loop: Header=BB6_9048 Depth=2
	s_mov_b32 s25, 0x7f800001
	s_xor_b32 s7, exec_lo, -1
; %bb.10064:                            ;   in Loop: Header=BB6_9048 Depth=2
	s_or_b32 exec_lo, exec_lo, s27
	s_delay_alu instid0(SALU_CYCLE_1)
	s_and_b32 s7, s7, exec_lo
                                        ; implicit-def: $vgpr47
	s_or_saveexec_b32 s26, s26
	v_mov_b32_e32 v56, s25
	s_xor_b32 exec_lo, exec_lo, s26
	s_cbranch_execz .LBB6_9207
.LBB6_10065:                            ;   in Loop: Header=BB6_9048 Depth=2
	v_cmp_ne_u16_e32 vcc_lo, 0, v47
	v_mov_b32_e32 v56, 0
	s_and_not1_b32 s7, s7, exec_lo
	s_and_b32 s25, vcc_lo, exec_lo
	s_delay_alu instid0(SALU_CYCLE_1)
	s_or_b32 s7, s7, s25
	s_or_b32 exec_lo, exec_lo, s26
	s_and_saveexec_b32 s25, s7
	s_cbranch_execnz .LBB6_9208
	s_branch .LBB6_9209
.LBB6_10066:                            ;   in Loop: Header=BB6_9048 Depth=2
	s_mov_b32 s7, -1
	s_mov_b32 s27, exec_lo
                                        ; implicit-def: $sgpr25
	v_cmpx_eq_u16_e32 0x80, v47
; %bb.10067:                            ;   in Loop: Header=BB6_9048 Depth=2
	s_mov_b32 s25, 0x7f800001
	s_xor_b32 s7, exec_lo, -1
; %bb.10068:                            ;   in Loop: Header=BB6_9048 Depth=2
	s_or_b32 exec_lo, exec_lo, s27
	s_delay_alu instid0(SALU_CYCLE_1)
	s_and_b32 s7, s7, exec_lo
                                        ; implicit-def: $vgpr47
	s_or_saveexec_b32 s26, s26
	v_mov_b32_e32 v46, s25
	s_xor_b32 exec_lo, exec_lo, s26
	s_cbranch_execz .LBB6_9211
.LBB6_10069:                            ;   in Loop: Header=BB6_9048 Depth=2
	v_cmp_ne_u16_e32 vcc_lo, 0, v47
	v_mov_b32_e32 v46, 0
	s_and_not1_b32 s7, s7, exec_lo
	s_and_b32 s25, vcc_lo, exec_lo
	s_delay_alu instid0(SALU_CYCLE_1)
	s_or_b32 s7, s7, s25
	s_or_b32 exec_lo, exec_lo, s26
	s_and_saveexec_b32 s25, s7
	s_cbranch_execnz .LBB6_9212
	s_branch .LBB6_9213
.LBB6_10070:                            ;   in Loop: Header=BB6_9048 Depth=2
	s_mov_b32 s25, -1
	s_mov_b32 s27, exec_lo
                                        ; implicit-def: $sgpr26
	v_cmpx_eq_u16_e32 0x80, v46
; %bb.10071:                            ;   in Loop: Header=BB6_9048 Depth=2
	s_mov_b32 s26, 0x7f800001
	s_xor_b32 s25, exec_lo, -1
; %bb.10072:                            ;   in Loop: Header=BB6_9048 Depth=2
	s_or_b32 exec_lo, exec_lo, s27
	s_delay_alu instid0(SALU_CYCLE_1)
	s_and_b32 s25, s25, exec_lo
	s_or_saveexec_b32 s7, s7
	v_mov_b32_e32 v47, s26
	s_xor_b32 exec_lo, exec_lo, s7
	s_cbranch_execz .LBB6_9225
.LBB6_10073:                            ;   in Loop: Header=BB6_9048 Depth=2
	v_cmp_ne_u16_e32 vcc_lo, 0, v46
	v_mov_b32_e32 v47, 0
	s_and_not1_b32 s25, s25, exec_lo
	s_and_b32 s26, vcc_lo, exec_lo
	s_delay_alu instid0(SALU_CYCLE_1)
	s_or_b32 s25, s25, s26
	s_or_b32 exec_lo, exec_lo, s7
	s_and_saveexec_b32 s7, s25
	s_cbranch_execnz .LBB6_9226
	s_branch .LBB6_9227
.LBB6_10074:                            ;   in Loop: Header=BB6_9048 Depth=2
	s_mov_b32 s7, -1
	s_mov_b32 s27, exec_lo
                                        ; implicit-def: $sgpr25
	v_cmpx_eq_u16_e32 0x80, v57
; %bb.10075:                            ;   in Loop: Header=BB6_9048 Depth=2
	s_mov_b32 s25, 0x7f800001
	s_xor_b32 s7, exec_lo, -1
; %bb.10076:                            ;   in Loop: Header=BB6_9048 Depth=2
	s_or_b32 exec_lo, exec_lo, s27
	s_delay_alu instid0(SALU_CYCLE_1)
	s_and_b32 s7, s7, exec_lo
                                        ; implicit-def: $vgpr57
	s_or_saveexec_b32 s26, s26
	v_mov_b32_e32 v56, s25
	s_xor_b32 exec_lo, exec_lo, s26
	s_cbranch_execz .LBB6_9229
.LBB6_10077:                            ;   in Loop: Header=BB6_9048 Depth=2
	v_cmp_ne_u16_e32 vcc_lo, 0, v57
	v_mov_b32_e32 v56, 0
	s_and_not1_b32 s7, s7, exec_lo
	s_and_b32 s25, vcc_lo, exec_lo
	s_delay_alu instid0(SALU_CYCLE_1)
	s_or_b32 s7, s7, s25
	s_or_b32 exec_lo, exec_lo, s26
	s_and_saveexec_b32 s25, s7
	s_cbranch_execnz .LBB6_9230
	s_branch .LBB6_9231
.LBB6_10078:                            ;   in Loop: Header=BB6_9048 Depth=2
	s_mov_b32 s7, -1
	s_mov_b32 s27, exec_lo
                                        ; implicit-def: $sgpr25
	v_cmpx_eq_u16_e32 0x80, v46
; %bb.10079:                            ;   in Loop: Header=BB6_9048 Depth=2
	s_mov_b32 s25, 0x7f800001
	s_xor_b32 s7, exec_lo, -1
; %bb.10080:                            ;   in Loop: Header=BB6_9048 Depth=2
	s_or_b32 exec_lo, exec_lo, s27
	s_delay_alu instid0(SALU_CYCLE_1)
	s_and_b32 s7, s7, exec_lo
                                        ; implicit-def: $vgpr46
	s_or_saveexec_b32 s26, s26
	v_mov_b32_e32 v47, s25
	s_xor_b32 exec_lo, exec_lo, s26
	s_cbranch_execz .LBB6_9236
.LBB6_10081:                            ;   in Loop: Header=BB6_9048 Depth=2
	v_cmp_ne_u16_e32 vcc_lo, 0, v46
	v_mov_b32_e32 v47, 0
	s_and_not1_b32 s7, s7, exec_lo
	s_and_b32 s25, vcc_lo, exec_lo
	s_delay_alu instid0(SALU_CYCLE_1)
	s_or_b32 s7, s7, s25
	s_or_b32 exec_lo, exec_lo, s26
	s_and_saveexec_b32 s25, s7
	s_cbranch_execnz .LBB6_9237
	s_branch .LBB6_9238
.LBB6_10082:                            ;   in Loop: Header=BB6_9048 Depth=2
	s_mov_b32 s7, -1
	s_mov_b32 s27, exec_lo
                                        ; implicit-def: $sgpr25
	v_cmpx_eq_u16_e32 0x80, v46
; %bb.10083:                            ;   in Loop: Header=BB6_9048 Depth=2
	s_mov_b32 s25, 0x7f800001
	s_xor_b32 s7, exec_lo, -1
; %bb.10084:                            ;   in Loop: Header=BB6_9048 Depth=2
	s_or_b32 exec_lo, exec_lo, s27
	s_delay_alu instid0(SALU_CYCLE_1)
	s_and_b32 s7, s7, exec_lo
                                        ; implicit-def: $vgpr46
	s_or_saveexec_b32 s26, s26
	v_mov_b32_e32 v45, s25
	s_xor_b32 exec_lo, exec_lo, s26
	s_cbranch_execz .LBB6_9240
.LBB6_10085:                            ;   in Loop: Header=BB6_9048 Depth=2
	v_cmp_ne_u16_e32 vcc_lo, 0, v46
	v_mov_b32_e32 v45, 0
	s_and_not1_b32 s7, s7, exec_lo
	s_and_b32 s25, vcc_lo, exec_lo
	s_delay_alu instid0(SALU_CYCLE_1)
	s_or_b32 s7, s7, s25
	s_or_b32 exec_lo, exec_lo, s26
	s_and_saveexec_b32 s25, s7
	s_cbranch_execnz .LBB6_9241
	s_branch .LBB6_9242
.LBB6_10086:                            ;   in Loop: Header=BB6_9048 Depth=2
	s_mov_b32 s25, -1
	s_mov_b32 s27, exec_lo
                                        ; implicit-def: $sgpr26
	v_cmpx_eq_u16_e32 0x80, v45
; %bb.10087:                            ;   in Loop: Header=BB6_9048 Depth=2
	s_mov_b32 s26, 0x7f800001
	s_xor_b32 s25, exec_lo, -1
; %bb.10088:                            ;   in Loop: Header=BB6_9048 Depth=2
	s_or_b32 exec_lo, exec_lo, s27
	s_delay_alu instid0(SALU_CYCLE_1)
	s_and_b32 s25, s25, exec_lo
	s_or_saveexec_b32 s7, s7
	v_mov_b32_e32 v46, s26
	s_xor_b32 exec_lo, exec_lo, s7
	s_cbranch_execz .LBB6_9254
.LBB6_10089:                            ;   in Loop: Header=BB6_9048 Depth=2
	v_cmp_ne_u16_e32 vcc_lo, 0, v45
	v_mov_b32_e32 v46, 0
	s_and_not1_b32 s25, s25, exec_lo
	s_and_b32 s26, vcc_lo, exec_lo
	s_delay_alu instid0(SALU_CYCLE_1)
	s_or_b32 s25, s25, s26
	s_or_b32 exec_lo, exec_lo, s7
	s_and_saveexec_b32 s7, s25
	s_cbranch_execnz .LBB6_9255
	s_branch .LBB6_9256
.LBB6_10090:                            ;   in Loop: Header=BB6_9048 Depth=2
	s_mov_b32 s7, -1
	s_mov_b32 s27, exec_lo
                                        ; implicit-def: $sgpr25
	v_cmpx_eq_u16_e32 0x80, v56
; %bb.10091:                            ;   in Loop: Header=BB6_9048 Depth=2
	s_mov_b32 s25, 0x7f800001
	s_xor_b32 s7, exec_lo, -1
; %bb.10092:                            ;   in Loop: Header=BB6_9048 Depth=2
	s_or_b32 exec_lo, exec_lo, s27
	s_delay_alu instid0(SALU_CYCLE_1)
	s_and_b32 s7, s7, exec_lo
                                        ; implicit-def: $vgpr56
	s_or_saveexec_b32 s26, s26
	v_mov_b32_e32 v47, s25
	s_xor_b32 exec_lo, exec_lo, s26
	s_cbranch_execz .LBB6_9258
.LBB6_10093:                            ;   in Loop: Header=BB6_9048 Depth=2
	v_cmp_ne_u16_e32 vcc_lo, 0, v56
	v_mov_b32_e32 v47, 0
	s_and_not1_b32 s7, s7, exec_lo
	s_and_b32 s25, vcc_lo, exec_lo
	s_delay_alu instid0(SALU_CYCLE_1)
	s_or_b32 s7, s7, s25
	s_or_b32 exec_lo, exec_lo, s26
	s_and_saveexec_b32 s25, s7
	s_cbranch_execnz .LBB6_9259
	s_branch .LBB6_9260
.LBB6_10094:                            ;   in Loop: Header=BB6_9048 Depth=2
	s_mov_b32 s7, -1
	s_mov_b32 s27, exec_lo
                                        ; implicit-def: $sgpr25
	v_cmpx_eq_u16_e32 0x80, v45
; %bb.10095:                            ;   in Loop: Header=BB6_9048 Depth=2
	s_mov_b32 s25, 0x7f800001
	s_xor_b32 s7, exec_lo, -1
; %bb.10096:                            ;   in Loop: Header=BB6_9048 Depth=2
	s_or_b32 exec_lo, exec_lo, s27
	s_delay_alu instid0(SALU_CYCLE_1)
	s_and_b32 s7, s7, exec_lo
                                        ; implicit-def: $vgpr45
	s_or_saveexec_b32 s26, s26
	v_mov_b32_e32 v46, s25
	s_xor_b32 exec_lo, exec_lo, s26
	s_cbranch_execz .LBB6_9265
.LBB6_10097:                            ;   in Loop: Header=BB6_9048 Depth=2
	v_cmp_ne_u16_e32 vcc_lo, 0, v45
	v_mov_b32_e32 v46, 0
	s_and_not1_b32 s7, s7, exec_lo
	s_and_b32 s25, vcc_lo, exec_lo
	s_delay_alu instid0(SALU_CYCLE_1)
	s_or_b32 s7, s7, s25
	s_or_b32 exec_lo, exec_lo, s26
	s_and_saveexec_b32 s25, s7
	s_cbranch_execnz .LBB6_9266
	s_branch .LBB6_9267
.LBB6_10098:                            ;   in Loop: Header=BB6_9048 Depth=2
	s_mov_b32 s7, -1
	s_mov_b32 s27, exec_lo
                                        ; implicit-def: $sgpr25
	v_cmpx_eq_u16_e32 0x80, v45
; %bb.10099:                            ;   in Loop: Header=BB6_9048 Depth=2
	s_mov_b32 s25, 0x7f800001
	s_xor_b32 s7, exec_lo, -1
; %bb.10100:                            ;   in Loop: Header=BB6_9048 Depth=2
	s_or_b32 exec_lo, exec_lo, s27
	s_delay_alu instid0(SALU_CYCLE_1)
	s_and_b32 s7, s7, exec_lo
                                        ; implicit-def: $vgpr45
	s_or_saveexec_b32 s26, s26
	v_mov_b32_e32 v44, s25
	s_xor_b32 exec_lo, exec_lo, s26
	s_cbranch_execz .LBB6_9269
.LBB6_10101:                            ;   in Loop: Header=BB6_9048 Depth=2
	v_cmp_ne_u16_e32 vcc_lo, 0, v45
	v_mov_b32_e32 v44, 0
	s_and_not1_b32 s7, s7, exec_lo
	s_and_b32 s25, vcc_lo, exec_lo
	s_delay_alu instid0(SALU_CYCLE_1)
	s_or_b32 s7, s7, s25
	s_or_b32 exec_lo, exec_lo, s26
	s_and_saveexec_b32 s25, s7
	s_cbranch_execnz .LBB6_9270
	s_branch .LBB6_9271
.LBB6_10102:                            ;   in Loop: Header=BB6_9048 Depth=2
	s_mov_b32 s25, -1
	s_mov_b32 s27, exec_lo
                                        ; implicit-def: $sgpr26
	v_cmpx_eq_u16_e32 0x80, v44
; %bb.10103:                            ;   in Loop: Header=BB6_9048 Depth=2
	s_mov_b32 s26, 0x7f800001
	s_xor_b32 s25, exec_lo, -1
; %bb.10104:                            ;   in Loop: Header=BB6_9048 Depth=2
	s_or_b32 exec_lo, exec_lo, s27
	s_delay_alu instid0(SALU_CYCLE_1)
	s_and_b32 s25, s25, exec_lo
	s_or_saveexec_b32 s7, s7
	v_mov_b32_e32 v45, s26
	s_xor_b32 exec_lo, exec_lo, s7
	s_cbranch_execz .LBB6_9283
.LBB6_10105:                            ;   in Loop: Header=BB6_9048 Depth=2
	v_cmp_ne_u16_e32 vcc_lo, 0, v44
	v_mov_b32_e32 v45, 0
	s_and_not1_b32 s25, s25, exec_lo
	s_and_b32 s26, vcc_lo, exec_lo
	s_delay_alu instid0(SALU_CYCLE_1)
	s_or_b32 s25, s25, s26
	s_or_b32 exec_lo, exec_lo, s7
	s_and_saveexec_b32 s7, s25
	s_cbranch_execnz .LBB6_9284
	s_branch .LBB6_9285
.LBB6_10106:                            ;   in Loop: Header=BB6_9048 Depth=2
	s_mov_b32 s7, -1
	s_mov_b32 s27, exec_lo
                                        ; implicit-def: $sgpr25
	v_cmpx_eq_u16_e32 0x80, v47
; %bb.10107:                            ;   in Loop: Header=BB6_9048 Depth=2
	s_mov_b32 s25, 0x7f800001
	s_xor_b32 s7, exec_lo, -1
; %bb.10108:                            ;   in Loop: Header=BB6_9048 Depth=2
	s_or_b32 exec_lo, exec_lo, s27
	s_delay_alu instid0(SALU_CYCLE_1)
	s_and_b32 s7, s7, exec_lo
                                        ; implicit-def: $vgpr47
	s_or_saveexec_b32 s26, s26
	v_mov_b32_e32 v46, s25
	s_xor_b32 exec_lo, exec_lo, s26
	s_cbranch_execz .LBB6_9287
.LBB6_10109:                            ;   in Loop: Header=BB6_9048 Depth=2
	v_cmp_ne_u16_e32 vcc_lo, 0, v47
	v_mov_b32_e32 v46, 0
	s_and_not1_b32 s7, s7, exec_lo
	s_and_b32 s25, vcc_lo, exec_lo
	s_delay_alu instid0(SALU_CYCLE_1)
	s_or_b32 s7, s7, s25
	s_or_b32 exec_lo, exec_lo, s26
	s_and_saveexec_b32 s25, s7
	s_cbranch_execnz .LBB6_9288
	s_branch .LBB6_9289
.LBB6_10110:                            ;   in Loop: Header=BB6_9048 Depth=2
	s_mov_b32 s7, -1
	s_mov_b32 s27, exec_lo
                                        ; implicit-def: $sgpr25
	v_cmpx_eq_u16_e32 0x80, v44
; %bb.10111:                            ;   in Loop: Header=BB6_9048 Depth=2
	s_mov_b32 s25, 0x7f800001
	s_xor_b32 s7, exec_lo, -1
; %bb.10112:                            ;   in Loop: Header=BB6_9048 Depth=2
	s_or_b32 exec_lo, exec_lo, s27
	s_delay_alu instid0(SALU_CYCLE_1)
	s_and_b32 s7, s7, exec_lo
                                        ; implicit-def: $vgpr44
	s_or_saveexec_b32 s26, s26
	v_mov_b32_e32 v45, s25
	s_xor_b32 exec_lo, exec_lo, s26
	s_cbranch_execz .LBB6_9294
.LBB6_10113:                            ;   in Loop: Header=BB6_9048 Depth=2
	v_cmp_ne_u16_e32 vcc_lo, 0, v44
	v_mov_b32_e32 v45, 0
	s_and_not1_b32 s7, s7, exec_lo
	s_and_b32 s25, vcc_lo, exec_lo
	s_delay_alu instid0(SALU_CYCLE_1)
	s_or_b32 s7, s7, s25
	s_or_b32 exec_lo, exec_lo, s26
	s_and_saveexec_b32 s25, s7
	s_cbranch_execnz .LBB6_9295
	s_branch .LBB6_9296
.LBB6_10114:                            ;   in Loop: Header=BB6_9048 Depth=2
	s_mov_b32 s7, -1
	s_mov_b32 s27, exec_lo
                                        ; implicit-def: $sgpr25
	v_cmpx_eq_u16_e32 0x80, v44
; %bb.10115:                            ;   in Loop: Header=BB6_9048 Depth=2
	s_mov_b32 s25, 0x7f800001
	s_xor_b32 s7, exec_lo, -1
; %bb.10116:                            ;   in Loop: Header=BB6_9048 Depth=2
	s_or_b32 exec_lo, exec_lo, s27
	s_delay_alu instid0(SALU_CYCLE_1)
	s_and_b32 s7, s7, exec_lo
                                        ; implicit-def: $vgpr44
	s_or_saveexec_b32 s26, s26
	v_mov_b32_e32 v43, s25
	s_xor_b32 exec_lo, exec_lo, s26
	s_cbranch_execz .LBB6_9298
.LBB6_10117:                            ;   in Loop: Header=BB6_9048 Depth=2
	v_cmp_ne_u16_e32 vcc_lo, 0, v44
	v_mov_b32_e32 v43, 0
	s_and_not1_b32 s7, s7, exec_lo
	s_and_b32 s25, vcc_lo, exec_lo
	s_delay_alu instid0(SALU_CYCLE_1)
	s_or_b32 s7, s7, s25
	s_or_b32 exec_lo, exec_lo, s26
	s_and_saveexec_b32 s25, s7
	s_cbranch_execnz .LBB6_9299
	s_branch .LBB6_9300
.LBB6_10118:                            ;   in Loop: Header=BB6_9048 Depth=2
	s_mov_b32 s25, -1
	s_mov_b32 s27, exec_lo
                                        ; implicit-def: $sgpr26
	v_cmpx_eq_u16_e32 0x80, v43
; %bb.10119:                            ;   in Loop: Header=BB6_9048 Depth=2
	s_mov_b32 s26, 0x7f800001
	s_xor_b32 s25, exec_lo, -1
; %bb.10120:                            ;   in Loop: Header=BB6_9048 Depth=2
	s_or_b32 exec_lo, exec_lo, s27
	s_delay_alu instid0(SALU_CYCLE_1)
	s_and_b32 s25, s25, exec_lo
	s_or_saveexec_b32 s7, s7
	v_mov_b32_e32 v44, s26
	s_xor_b32 exec_lo, exec_lo, s7
	s_cbranch_execz .LBB6_9312
.LBB6_10121:                            ;   in Loop: Header=BB6_9048 Depth=2
	v_cmp_ne_u16_e32 vcc_lo, 0, v43
	v_mov_b32_e32 v44, 0
	s_and_not1_b32 s25, s25, exec_lo
	s_and_b32 s26, vcc_lo, exec_lo
	s_delay_alu instid0(SALU_CYCLE_1)
	s_or_b32 s25, s25, s26
	s_or_b32 exec_lo, exec_lo, s7
	s_and_saveexec_b32 s7, s25
	s_cbranch_execnz .LBB6_9313
	s_branch .LBB6_9314
.LBB6_10122:                            ;   in Loop: Header=BB6_9048 Depth=2
	s_mov_b32 s7, -1
	s_mov_b32 s27, exec_lo
                                        ; implicit-def: $sgpr25
	v_cmpx_eq_u16_e32 0x80, v46
; %bb.10123:                            ;   in Loop: Header=BB6_9048 Depth=2
	s_mov_b32 s25, 0x7f800001
	s_xor_b32 s7, exec_lo, -1
; %bb.10124:                            ;   in Loop: Header=BB6_9048 Depth=2
	s_or_b32 exec_lo, exec_lo, s27
	s_delay_alu instid0(SALU_CYCLE_1)
	s_and_b32 s7, s7, exec_lo
                                        ; implicit-def: $vgpr46
	s_or_saveexec_b32 s26, s26
	v_mov_b32_e32 v45, s25
	s_xor_b32 exec_lo, exec_lo, s26
	s_cbranch_execz .LBB6_9316
.LBB6_10125:                            ;   in Loop: Header=BB6_9048 Depth=2
	v_cmp_ne_u16_e32 vcc_lo, 0, v46
	v_mov_b32_e32 v45, 0
	s_and_not1_b32 s7, s7, exec_lo
	s_and_b32 s25, vcc_lo, exec_lo
	s_delay_alu instid0(SALU_CYCLE_1)
	s_or_b32 s7, s7, s25
	s_or_b32 exec_lo, exec_lo, s26
	s_and_saveexec_b32 s25, s7
	s_cbranch_execnz .LBB6_9317
	s_branch .LBB6_9318
.LBB6_10126:                            ;   in Loop: Header=BB6_9048 Depth=2
	s_mov_b32 s7, -1
	s_mov_b32 s27, exec_lo
                                        ; implicit-def: $sgpr25
	v_cmpx_eq_u16_e32 0x80, v43
; %bb.10127:                            ;   in Loop: Header=BB6_9048 Depth=2
	s_mov_b32 s25, 0x7f800001
	s_xor_b32 s7, exec_lo, -1
; %bb.10128:                            ;   in Loop: Header=BB6_9048 Depth=2
	s_or_b32 exec_lo, exec_lo, s27
	s_delay_alu instid0(SALU_CYCLE_1)
	s_and_b32 s7, s7, exec_lo
                                        ; implicit-def: $vgpr43
	s_or_saveexec_b32 s26, s26
	v_mov_b32_e32 v44, s25
	s_xor_b32 exec_lo, exec_lo, s26
	s_cbranch_execz .LBB6_9323
.LBB6_10129:                            ;   in Loop: Header=BB6_9048 Depth=2
	v_cmp_ne_u16_e32 vcc_lo, 0, v43
	v_mov_b32_e32 v44, 0
	s_and_not1_b32 s7, s7, exec_lo
	s_and_b32 s25, vcc_lo, exec_lo
	s_delay_alu instid0(SALU_CYCLE_1)
	s_or_b32 s7, s7, s25
	s_or_b32 exec_lo, exec_lo, s26
	s_and_saveexec_b32 s25, s7
	s_cbranch_execnz .LBB6_9324
	s_branch .LBB6_9325
.LBB6_10130:                            ;   in Loop: Header=BB6_9048 Depth=2
	s_mov_b32 s7, -1
	s_mov_b32 s27, exec_lo
                                        ; implicit-def: $sgpr25
	v_cmpx_eq_u16_e32 0x80, v43
; %bb.10131:                            ;   in Loop: Header=BB6_9048 Depth=2
	s_mov_b32 s25, 0x7f800001
	s_xor_b32 s7, exec_lo, -1
; %bb.10132:                            ;   in Loop: Header=BB6_9048 Depth=2
	s_or_b32 exec_lo, exec_lo, s27
	s_delay_alu instid0(SALU_CYCLE_1)
	s_and_b32 s7, s7, exec_lo
                                        ; implicit-def: $vgpr43
	s_or_saveexec_b32 s26, s26
	v_mov_b32_e32 v42, s25
	s_xor_b32 exec_lo, exec_lo, s26
	s_cbranch_execz .LBB6_9327
.LBB6_10133:                            ;   in Loop: Header=BB6_9048 Depth=2
	v_cmp_ne_u16_e32 vcc_lo, 0, v43
	v_mov_b32_e32 v42, 0
	s_and_not1_b32 s7, s7, exec_lo
	s_and_b32 s25, vcc_lo, exec_lo
	s_delay_alu instid0(SALU_CYCLE_1)
	s_or_b32 s7, s7, s25
	s_or_b32 exec_lo, exec_lo, s26
	s_and_saveexec_b32 s25, s7
	s_cbranch_execnz .LBB6_9328
	s_branch .LBB6_9329
.LBB6_10134:                            ;   in Loop: Header=BB6_9048 Depth=2
	s_mov_b32 s25, -1
	s_mov_b32 s27, exec_lo
                                        ; implicit-def: $sgpr26
	v_cmpx_eq_u16_e32 0x80, v42
; %bb.10135:                            ;   in Loop: Header=BB6_9048 Depth=2
	s_mov_b32 s26, 0x7f800001
	s_xor_b32 s25, exec_lo, -1
; %bb.10136:                            ;   in Loop: Header=BB6_9048 Depth=2
	s_or_b32 exec_lo, exec_lo, s27
	s_delay_alu instid0(SALU_CYCLE_1)
	s_and_b32 s25, s25, exec_lo
	s_or_saveexec_b32 s7, s7
	v_mov_b32_e32 v43, s26
	s_xor_b32 exec_lo, exec_lo, s7
	s_cbranch_execz .LBB6_9341
.LBB6_10137:                            ;   in Loop: Header=BB6_9048 Depth=2
	v_cmp_ne_u16_e32 vcc_lo, 0, v42
	v_mov_b32_e32 v43, 0
	s_and_not1_b32 s25, s25, exec_lo
	s_and_b32 s26, vcc_lo, exec_lo
	s_delay_alu instid0(SALU_CYCLE_1)
	s_or_b32 s25, s25, s26
	s_or_b32 exec_lo, exec_lo, s7
	s_and_saveexec_b32 s7, s25
	s_cbranch_execnz .LBB6_9342
	s_branch .LBB6_9343
.LBB6_10138:                            ;   in Loop: Header=BB6_9048 Depth=2
	s_mov_b32 s7, -1
	s_mov_b32 s27, exec_lo
                                        ; implicit-def: $sgpr25
	v_cmpx_eq_u16_e32 0x80, v45
; %bb.10139:                            ;   in Loop: Header=BB6_9048 Depth=2
	s_mov_b32 s25, 0x7f800001
	s_xor_b32 s7, exec_lo, -1
; %bb.10140:                            ;   in Loop: Header=BB6_9048 Depth=2
	s_or_b32 exec_lo, exec_lo, s27
	s_delay_alu instid0(SALU_CYCLE_1)
	s_and_b32 s7, s7, exec_lo
                                        ; implicit-def: $vgpr45
	s_or_saveexec_b32 s26, s26
	v_mov_b32_e32 v44, s25
	s_xor_b32 exec_lo, exec_lo, s26
	s_cbranch_execz .LBB6_9345
.LBB6_10141:                            ;   in Loop: Header=BB6_9048 Depth=2
	v_cmp_ne_u16_e32 vcc_lo, 0, v45
	v_mov_b32_e32 v44, 0
	s_and_not1_b32 s7, s7, exec_lo
	s_and_b32 s25, vcc_lo, exec_lo
	s_delay_alu instid0(SALU_CYCLE_1)
	s_or_b32 s7, s7, s25
	s_or_b32 exec_lo, exec_lo, s26
	s_and_saveexec_b32 s25, s7
	s_cbranch_execnz .LBB6_9346
	s_branch .LBB6_9347
.LBB6_10142:                            ;   in Loop: Header=BB6_9048 Depth=2
	s_mov_b32 s7, -1
	s_mov_b32 s27, exec_lo
                                        ; implicit-def: $sgpr25
	v_cmpx_eq_u16_e32 0x80, v42
; %bb.10143:                            ;   in Loop: Header=BB6_9048 Depth=2
	s_mov_b32 s25, 0x7f800001
	s_xor_b32 s7, exec_lo, -1
; %bb.10144:                            ;   in Loop: Header=BB6_9048 Depth=2
	s_or_b32 exec_lo, exec_lo, s27
	s_delay_alu instid0(SALU_CYCLE_1)
	s_and_b32 s7, s7, exec_lo
                                        ; implicit-def: $vgpr42
	s_or_saveexec_b32 s26, s26
	v_mov_b32_e32 v43, s25
	s_xor_b32 exec_lo, exec_lo, s26
	s_cbranch_execz .LBB6_9352
.LBB6_10145:                            ;   in Loop: Header=BB6_9048 Depth=2
	v_cmp_ne_u16_e32 vcc_lo, 0, v42
	v_mov_b32_e32 v43, 0
	s_and_not1_b32 s7, s7, exec_lo
	s_and_b32 s25, vcc_lo, exec_lo
	s_delay_alu instid0(SALU_CYCLE_1)
	s_or_b32 s7, s7, s25
	s_or_b32 exec_lo, exec_lo, s26
	s_and_saveexec_b32 s25, s7
	s_cbranch_execnz .LBB6_9353
	s_branch .LBB6_9354
.LBB6_10146:                            ;   in Loop: Header=BB6_9048 Depth=2
	s_mov_b32 s7, -1
	s_mov_b32 s27, exec_lo
                                        ; implicit-def: $sgpr25
	v_cmpx_eq_u16_e32 0x80, v42
; %bb.10147:                            ;   in Loop: Header=BB6_9048 Depth=2
	s_mov_b32 s25, 0x7f800001
	s_xor_b32 s7, exec_lo, -1
; %bb.10148:                            ;   in Loop: Header=BB6_9048 Depth=2
	s_or_b32 exec_lo, exec_lo, s27
	s_delay_alu instid0(SALU_CYCLE_1)
	s_and_b32 s7, s7, exec_lo
                                        ; implicit-def: $vgpr42
	s_or_saveexec_b32 s26, s26
	v_mov_b32_e32 v41, s25
	s_xor_b32 exec_lo, exec_lo, s26
	s_cbranch_execz .LBB6_9356
.LBB6_10149:                            ;   in Loop: Header=BB6_9048 Depth=2
	v_cmp_ne_u16_e32 vcc_lo, 0, v42
	v_mov_b32_e32 v41, 0
	s_and_not1_b32 s7, s7, exec_lo
	s_and_b32 s25, vcc_lo, exec_lo
	s_delay_alu instid0(SALU_CYCLE_1)
	s_or_b32 s7, s7, s25
	s_or_b32 exec_lo, exec_lo, s26
	s_and_saveexec_b32 s25, s7
	s_cbranch_execnz .LBB6_9357
	s_branch .LBB6_9358
.LBB6_10150:                            ;   in Loop: Header=BB6_9048 Depth=2
	s_mov_b32 s25, -1
	s_mov_b32 s27, exec_lo
                                        ; implicit-def: $sgpr26
	v_cmpx_eq_u16_e32 0x80, v41
; %bb.10151:                            ;   in Loop: Header=BB6_9048 Depth=2
	s_mov_b32 s26, 0x7f800001
	s_xor_b32 s25, exec_lo, -1
; %bb.10152:                            ;   in Loop: Header=BB6_9048 Depth=2
	s_or_b32 exec_lo, exec_lo, s27
	s_delay_alu instid0(SALU_CYCLE_1)
	s_and_b32 s25, s25, exec_lo
	s_or_saveexec_b32 s7, s7
	v_mov_b32_e32 v42, s26
	s_xor_b32 exec_lo, exec_lo, s7
	s_cbranch_execz .LBB6_9370
.LBB6_10153:                            ;   in Loop: Header=BB6_9048 Depth=2
	v_cmp_ne_u16_e32 vcc_lo, 0, v41
	v_mov_b32_e32 v42, 0
	s_and_not1_b32 s25, s25, exec_lo
	s_and_b32 s26, vcc_lo, exec_lo
	s_delay_alu instid0(SALU_CYCLE_1)
	s_or_b32 s25, s25, s26
	s_or_b32 exec_lo, exec_lo, s7
	s_and_saveexec_b32 s7, s25
	s_cbranch_execnz .LBB6_9371
	s_branch .LBB6_9372
.LBB6_10154:                            ;   in Loop: Header=BB6_9048 Depth=2
	s_mov_b32 s7, -1
	s_mov_b32 s27, exec_lo
                                        ; implicit-def: $sgpr25
	v_cmpx_eq_u16_e32 0x80, v44
; %bb.10155:                            ;   in Loop: Header=BB6_9048 Depth=2
	s_mov_b32 s25, 0x7f800001
	s_xor_b32 s7, exec_lo, -1
; %bb.10156:                            ;   in Loop: Header=BB6_9048 Depth=2
	s_or_b32 exec_lo, exec_lo, s27
	s_delay_alu instid0(SALU_CYCLE_1)
	s_and_b32 s7, s7, exec_lo
                                        ; implicit-def: $vgpr44
	s_or_saveexec_b32 s26, s26
	v_mov_b32_e32 v43, s25
	s_xor_b32 exec_lo, exec_lo, s26
	s_cbranch_execz .LBB6_9374
.LBB6_10157:                            ;   in Loop: Header=BB6_9048 Depth=2
	v_cmp_ne_u16_e32 vcc_lo, 0, v44
	v_mov_b32_e32 v43, 0
	s_and_not1_b32 s7, s7, exec_lo
	s_and_b32 s25, vcc_lo, exec_lo
	s_delay_alu instid0(SALU_CYCLE_1)
	s_or_b32 s7, s7, s25
	s_or_b32 exec_lo, exec_lo, s26
	s_and_saveexec_b32 s25, s7
	s_cbranch_execnz .LBB6_9375
	s_branch .LBB6_9376
.LBB6_10158:                            ;   in Loop: Header=BB6_9048 Depth=2
	s_mov_b32 s7, -1
	s_mov_b32 s27, exec_lo
                                        ; implicit-def: $sgpr25
	v_cmpx_eq_u16_e32 0x80, v41
; %bb.10159:                            ;   in Loop: Header=BB6_9048 Depth=2
	s_mov_b32 s25, 0x7f800001
	s_xor_b32 s7, exec_lo, -1
; %bb.10160:                            ;   in Loop: Header=BB6_9048 Depth=2
	s_or_b32 exec_lo, exec_lo, s27
	s_delay_alu instid0(SALU_CYCLE_1)
	s_and_b32 s7, s7, exec_lo
                                        ; implicit-def: $vgpr41
	s_or_saveexec_b32 s26, s26
	v_mov_b32_e32 v42, s25
	s_xor_b32 exec_lo, exec_lo, s26
	s_cbranch_execz .LBB6_9381
.LBB6_10161:                            ;   in Loop: Header=BB6_9048 Depth=2
	v_cmp_ne_u16_e32 vcc_lo, 0, v41
	v_mov_b32_e32 v42, 0
	s_and_not1_b32 s7, s7, exec_lo
	s_and_b32 s25, vcc_lo, exec_lo
	s_delay_alu instid0(SALU_CYCLE_1)
	s_or_b32 s7, s7, s25
	s_or_b32 exec_lo, exec_lo, s26
	s_and_saveexec_b32 s25, s7
	s_cbranch_execnz .LBB6_9382
	s_branch .LBB6_9383
.LBB6_10162:                            ;   in Loop: Header=BB6_9048 Depth=2
	s_mov_b32 s7, -1
	s_mov_b32 s27, exec_lo
                                        ; implicit-def: $sgpr25
	v_cmpx_eq_u16_e32 0x80, v41
; %bb.10163:                            ;   in Loop: Header=BB6_9048 Depth=2
	s_mov_b32 s25, 0x7f800001
	s_xor_b32 s7, exec_lo, -1
; %bb.10164:                            ;   in Loop: Header=BB6_9048 Depth=2
	s_or_b32 exec_lo, exec_lo, s27
	s_delay_alu instid0(SALU_CYCLE_1)
	s_and_b32 s7, s7, exec_lo
                                        ; implicit-def: $vgpr41
	s_or_saveexec_b32 s26, s26
	v_mov_b32_e32 v40, s25
	s_xor_b32 exec_lo, exec_lo, s26
	s_cbranch_execz .LBB6_9385
.LBB6_10165:                            ;   in Loop: Header=BB6_9048 Depth=2
	v_cmp_ne_u16_e32 vcc_lo, 0, v41
	v_mov_b32_e32 v40, 0
	s_and_not1_b32 s7, s7, exec_lo
	s_and_b32 s25, vcc_lo, exec_lo
	s_delay_alu instid0(SALU_CYCLE_1)
	s_or_b32 s7, s7, s25
	s_or_b32 exec_lo, exec_lo, s26
	s_and_saveexec_b32 s25, s7
	s_cbranch_execnz .LBB6_9386
	s_branch .LBB6_9387
.LBB6_10166:                            ;   in Loop: Header=BB6_9048 Depth=2
	s_mov_b32 s25, -1
	s_mov_b32 s27, exec_lo
                                        ; implicit-def: $sgpr26
	v_cmpx_eq_u16_e32 0x80, v40
; %bb.10167:                            ;   in Loop: Header=BB6_9048 Depth=2
	s_mov_b32 s26, 0x7f800001
	s_xor_b32 s25, exec_lo, -1
; %bb.10168:                            ;   in Loop: Header=BB6_9048 Depth=2
	s_or_b32 exec_lo, exec_lo, s27
	s_delay_alu instid0(SALU_CYCLE_1)
	s_and_b32 s25, s25, exec_lo
	s_or_saveexec_b32 s7, s7
	v_mov_b32_e32 v41, s26
	s_xor_b32 exec_lo, exec_lo, s7
	s_cbranch_execz .LBB6_9399
.LBB6_10169:                            ;   in Loop: Header=BB6_9048 Depth=2
	v_cmp_ne_u16_e32 vcc_lo, 0, v40
	v_mov_b32_e32 v41, 0
	s_and_not1_b32 s25, s25, exec_lo
	s_and_b32 s26, vcc_lo, exec_lo
	s_delay_alu instid0(SALU_CYCLE_1)
	s_or_b32 s25, s25, s26
	s_or_b32 exec_lo, exec_lo, s7
	s_and_saveexec_b32 s7, s25
	s_cbranch_execnz .LBB6_9400
	s_branch .LBB6_9401
.LBB6_10170:                            ;   in Loop: Header=BB6_9048 Depth=2
	s_mov_b32 s7, -1
	s_mov_b32 s27, exec_lo
                                        ; implicit-def: $sgpr25
	v_cmpx_eq_u16_e32 0x80, v43
; %bb.10171:                            ;   in Loop: Header=BB6_9048 Depth=2
	s_mov_b32 s25, 0x7f800001
	s_xor_b32 s7, exec_lo, -1
; %bb.10172:                            ;   in Loop: Header=BB6_9048 Depth=2
	s_or_b32 exec_lo, exec_lo, s27
	s_delay_alu instid0(SALU_CYCLE_1)
	s_and_b32 s7, s7, exec_lo
                                        ; implicit-def: $vgpr43
	s_or_saveexec_b32 s26, s26
	v_mov_b32_e32 v42, s25
	s_xor_b32 exec_lo, exec_lo, s26
	s_cbranch_execz .LBB6_9403
.LBB6_10173:                            ;   in Loop: Header=BB6_9048 Depth=2
	v_cmp_ne_u16_e32 vcc_lo, 0, v43
	v_mov_b32_e32 v42, 0
	s_and_not1_b32 s7, s7, exec_lo
	s_and_b32 s25, vcc_lo, exec_lo
	s_delay_alu instid0(SALU_CYCLE_1)
	s_or_b32 s7, s7, s25
	s_or_b32 exec_lo, exec_lo, s26
	s_and_saveexec_b32 s25, s7
	s_cbranch_execnz .LBB6_9404
	s_branch .LBB6_9405
.LBB6_10174:                            ;   in Loop: Header=BB6_9048 Depth=2
	s_mov_b32 s7, -1
	s_mov_b32 s27, exec_lo
                                        ; implicit-def: $sgpr25
	v_cmpx_eq_u16_e32 0x80, v40
; %bb.10175:                            ;   in Loop: Header=BB6_9048 Depth=2
	s_mov_b32 s25, 0x7f800001
	s_xor_b32 s7, exec_lo, -1
; %bb.10176:                            ;   in Loop: Header=BB6_9048 Depth=2
	s_or_b32 exec_lo, exec_lo, s27
	s_delay_alu instid0(SALU_CYCLE_1)
	s_and_b32 s7, s7, exec_lo
                                        ; implicit-def: $vgpr40
	s_or_saveexec_b32 s26, s26
	v_mov_b32_e32 v41, s25
	s_xor_b32 exec_lo, exec_lo, s26
	s_cbranch_execz .LBB6_9410
.LBB6_10177:                            ;   in Loop: Header=BB6_9048 Depth=2
	v_cmp_ne_u16_e32 vcc_lo, 0, v40
	v_mov_b32_e32 v41, 0
	s_and_not1_b32 s7, s7, exec_lo
	s_and_b32 s25, vcc_lo, exec_lo
	s_delay_alu instid0(SALU_CYCLE_1)
	s_or_b32 s7, s7, s25
	s_or_b32 exec_lo, exec_lo, s26
	s_and_saveexec_b32 s25, s7
	s_cbranch_execnz .LBB6_9411
	s_branch .LBB6_9412
.LBB6_10178:                            ;   in Loop: Header=BB6_9048 Depth=2
	s_mov_b32 s7, -1
	s_mov_b32 s27, exec_lo
                                        ; implicit-def: $sgpr25
	v_cmpx_eq_u16_e32 0x80, v40
; %bb.10179:                            ;   in Loop: Header=BB6_9048 Depth=2
	s_mov_b32 s25, 0x7f800001
	s_xor_b32 s7, exec_lo, -1
; %bb.10180:                            ;   in Loop: Header=BB6_9048 Depth=2
	s_or_b32 exec_lo, exec_lo, s27
	s_delay_alu instid0(SALU_CYCLE_1)
	s_and_b32 s7, s7, exec_lo
                                        ; implicit-def: $vgpr40
	s_or_saveexec_b32 s26, s26
	v_mov_b32_e32 v183, s25
	s_xor_b32 exec_lo, exec_lo, s26
	s_cbranch_execz .LBB6_9414
.LBB6_10181:                            ;   in Loop: Header=BB6_9048 Depth=2
	v_cmp_ne_u16_e32 vcc_lo, 0, v40
	v_mov_b32_e32 v183, 0
	s_and_not1_b32 s7, s7, exec_lo
	s_and_b32 s25, vcc_lo, exec_lo
	s_delay_alu instid0(SALU_CYCLE_1)
	s_or_b32 s7, s7, s25
	s_or_b32 exec_lo, exec_lo, s26
	s_and_saveexec_b32 s25, s7
	s_cbranch_execnz .LBB6_9415
	s_branch .LBB6_9416
.LBB6_10182:                            ;   in Loop: Header=BB6_9048 Depth=2
	s_mov_b32 s25, -1
	s_mov_b32 s27, exec_lo
                                        ; implicit-def: $sgpr26
	v_cmpx_eq_u16_e64 0x80, v183
; %bb.10183:                            ;   in Loop: Header=BB6_9048 Depth=2
	s_mov_b32 s26, 0x7f800001
	s_xor_b32 s25, exec_lo, -1
; %bb.10184:                            ;   in Loop: Header=BB6_9048 Depth=2
	s_or_b32 exec_lo, exec_lo, s27
	s_delay_alu instid0(SALU_CYCLE_1)
	s_and_b32 s25, s25, exec_lo
	s_or_saveexec_b32 s7, s7
	v_mov_b32_e32 v40, s26
	s_xor_b32 exec_lo, exec_lo, s7
	s_cbranch_execz .LBB6_9428
.LBB6_10185:                            ;   in Loop: Header=BB6_9048 Depth=2
	v_cmp_ne_u16_e64 vcc_lo, 0, v183
	v_mov_b32_e32 v40, 0
	s_and_not1_b32 s25, s25, exec_lo
	s_delay_alu instid0(VALU_DEP_2) | instskip(NEXT) | instid1(SALU_CYCLE_1)
	s_and_b32 s26, vcc_lo, exec_lo
	s_or_b32 s25, s25, s26
	s_or_b32 exec_lo, exec_lo, s7
	s_and_saveexec_b32 s7, s25
	s_cbranch_execnz .LBB6_9429
	s_branch .LBB6_9430
.LBB6_10186:                            ;   in Loop: Header=BB6_9048 Depth=2
	s_mov_b32 s7, -1
	s_mov_b32 s27, exec_lo
                                        ; implicit-def: $sgpr25
	v_cmpx_eq_u16_e32 0x80, v42
; %bb.10187:                            ;   in Loop: Header=BB6_9048 Depth=2
	s_mov_b32 s25, 0x7f800001
	s_xor_b32 s7, exec_lo, -1
; %bb.10188:                            ;   in Loop: Header=BB6_9048 Depth=2
	s_or_b32 exec_lo, exec_lo, s27
	s_delay_alu instid0(SALU_CYCLE_1)
	s_and_b32 s7, s7, exec_lo
                                        ; implicit-def: $vgpr42
	s_or_saveexec_b32 s26, s26
	v_mov_b32_e32 v41, s25
	s_xor_b32 exec_lo, exec_lo, s26
	s_cbranch_execz .LBB6_9432
.LBB6_10189:                            ;   in Loop: Header=BB6_9048 Depth=2
	v_cmp_ne_u16_e32 vcc_lo, 0, v42
	v_mov_b32_e32 v41, 0
	s_and_not1_b32 s7, s7, exec_lo
	s_and_b32 s25, vcc_lo, exec_lo
	s_delay_alu instid0(SALU_CYCLE_1)
	s_or_b32 s7, s7, s25
	s_or_b32 exec_lo, exec_lo, s26
	s_and_saveexec_b32 s25, s7
	s_cbranch_execnz .LBB6_9433
	s_branch .LBB6_9434
.LBB6_10190:                            ;   in Loop: Header=BB6_9048 Depth=2
	s_mov_b32 s7, -1
	s_mov_b32 s27, exec_lo
                                        ; implicit-def: $sgpr25
	v_cmpx_eq_u16_e64 0x80, v183
; %bb.10191:                            ;   in Loop: Header=BB6_9048 Depth=2
	s_mov_b32 s25, 0x7f800001
	s_xor_b32 s7, exec_lo, -1
; %bb.10192:                            ;   in Loop: Header=BB6_9048 Depth=2
	s_or_b32 exec_lo, exec_lo, s27
	s_delay_alu instid0(SALU_CYCLE_1)
	s_and_b32 s7, s7, exec_lo
                                        ; implicit-def: $vgpr183
	s_or_saveexec_b32 s26, s26
	v_mov_b32_e32 v40, s25
	s_xor_b32 exec_lo, exec_lo, s26
	s_cbranch_execz .LBB6_9439
.LBB6_10193:                            ;   in Loop: Header=BB6_9048 Depth=2
	v_cmp_ne_u16_e64 vcc_lo, 0, v183
	v_mov_b32_e32 v40, 0
	s_and_not1_b32 s7, s7, exec_lo
	s_delay_alu instid0(VALU_DEP_2) | instskip(NEXT) | instid1(SALU_CYCLE_1)
	s_and_b32 s25, vcc_lo, exec_lo
	s_or_b32 s7, s7, s25
	s_or_b32 exec_lo, exec_lo, s26
	s_and_saveexec_b32 s25, s7
	s_cbranch_execnz .LBB6_9440
	s_branch .LBB6_9441
.LBB6_10194:                            ;   in Loop: Header=BB6_9048 Depth=2
	s_mov_b32 s7, -1
	s_mov_b32 s27, exec_lo
                                        ; implicit-def: $sgpr25
	v_cmpx_eq_u16_e64 0x80, v183
; %bb.10195:                            ;   in Loop: Header=BB6_9048 Depth=2
	s_mov_b32 s25, 0x7f800001
	s_xor_b32 s7, exec_lo, -1
; %bb.10196:                            ;   in Loop: Header=BB6_9048 Depth=2
	s_or_b32 exec_lo, exec_lo, s27
	s_delay_alu instid0(SALU_CYCLE_1)
	s_and_b32 s7, s7, exec_lo
                                        ; implicit-def: $vgpr183
	s_or_saveexec_b32 s26, s26
	v_mov_b32_e32 v182, s25
	s_xor_b32 exec_lo, exec_lo, s26
	s_cbranch_execz .LBB6_9443
.LBB6_10197:                            ;   in Loop: Header=BB6_9048 Depth=2
	v_cmp_ne_u16_e64 vcc_lo, 0, v183
	v_mov_b32_e32 v182, 0
	s_and_not1_b32 s7, s7, exec_lo
	s_delay_alu instid0(VALU_DEP_2) | instskip(NEXT) | instid1(SALU_CYCLE_1)
	s_and_b32 s25, vcc_lo, exec_lo
	s_or_b32 s7, s7, s25
	s_or_b32 exec_lo, exec_lo, s26
	s_and_saveexec_b32 s25, s7
	s_cbranch_execnz .LBB6_9444
	s_branch .LBB6_9445
.LBB6_10198:                            ;   in Loop: Header=BB6_9048 Depth=2
	s_mov_b32 s25, -1
	s_mov_b32 s27, exec_lo
                                        ; implicit-def: $sgpr26
	v_cmpx_eq_u16_e64 0x80, v182
; %bb.10199:                            ;   in Loop: Header=BB6_9048 Depth=2
	s_mov_b32 s26, 0x7f800001
	s_xor_b32 s25, exec_lo, -1
; %bb.10200:                            ;   in Loop: Header=BB6_9048 Depth=2
	s_or_b32 exec_lo, exec_lo, s27
	s_delay_alu instid0(SALU_CYCLE_1)
	s_and_b32 s25, s25, exec_lo
	s_or_saveexec_b32 s7, s7
	v_mov_b32_e32 v183, s26
	s_xor_b32 exec_lo, exec_lo, s7
	s_cbranch_execz .LBB6_9457
.LBB6_10201:                            ;   in Loop: Header=BB6_9048 Depth=2
	v_cmp_ne_u16_e64 vcc_lo, 0, v182
	v_mov_b32_e32 v183, 0
	s_and_not1_b32 s25, s25, exec_lo
	s_delay_alu instid0(VALU_DEP_2) | instskip(NEXT) | instid1(SALU_CYCLE_1)
	s_and_b32 s26, vcc_lo, exec_lo
	s_or_b32 s25, s25, s26
	s_or_b32 exec_lo, exec_lo, s7
	s_and_saveexec_b32 s7, s25
	s_cbranch_execnz .LBB6_9458
	s_branch .LBB6_9459
.LBB6_10202:                            ;   in Loop: Header=BB6_9048 Depth=2
	s_mov_b32 s7, -1
	s_mov_b32 s27, exec_lo
                                        ; implicit-def: $sgpr25
	v_cmpx_eq_u16_e32 0x80, v41
; %bb.10203:                            ;   in Loop: Header=BB6_9048 Depth=2
	s_mov_b32 s25, 0x7f800001
	s_xor_b32 s7, exec_lo, -1
; %bb.10204:                            ;   in Loop: Header=BB6_9048 Depth=2
	s_or_b32 exec_lo, exec_lo, s27
	s_delay_alu instid0(SALU_CYCLE_1)
	s_and_b32 s7, s7, exec_lo
                                        ; implicit-def: $vgpr41
	s_or_saveexec_b32 s26, s26
	v_mov_b32_e32 v40, s25
	s_xor_b32 exec_lo, exec_lo, s26
	s_cbranch_execz .LBB6_9461
.LBB6_10205:                            ;   in Loop: Header=BB6_9048 Depth=2
	v_cmp_ne_u16_e32 vcc_lo, 0, v41
	v_mov_b32_e32 v40, 0
	s_and_not1_b32 s7, s7, exec_lo
	s_and_b32 s25, vcc_lo, exec_lo
	s_delay_alu instid0(SALU_CYCLE_1)
	s_or_b32 s7, s7, s25
	s_or_b32 exec_lo, exec_lo, s26
	s_and_saveexec_b32 s25, s7
	s_cbranch_execnz .LBB6_9462
	s_branch .LBB6_9463
.LBB6_10206:                            ;   in Loop: Header=BB6_9048 Depth=2
	s_mov_b32 s7, -1
	s_mov_b32 s27, exec_lo
                                        ; implicit-def: $sgpr25
	v_cmpx_eq_u16_e64 0x80, v182
; %bb.10207:                            ;   in Loop: Header=BB6_9048 Depth=2
	s_mov_b32 s25, 0x7f800001
	s_xor_b32 s7, exec_lo, -1
; %bb.10208:                            ;   in Loop: Header=BB6_9048 Depth=2
	s_or_b32 exec_lo, exec_lo, s27
	s_delay_alu instid0(SALU_CYCLE_1)
	s_and_b32 s7, s7, exec_lo
                                        ; implicit-def: $vgpr182
	s_or_saveexec_b32 s26, s26
	v_mov_b32_e32 v183, s25
	s_xor_b32 exec_lo, exec_lo, s26
	s_cbranch_execz .LBB6_9468
.LBB6_10209:                            ;   in Loop: Header=BB6_9048 Depth=2
	v_cmp_ne_u16_e64 vcc_lo, 0, v182
	v_mov_b32_e32 v183, 0
	s_and_not1_b32 s7, s7, exec_lo
	s_delay_alu instid0(VALU_DEP_2) | instskip(NEXT) | instid1(SALU_CYCLE_1)
	s_and_b32 s25, vcc_lo, exec_lo
	s_or_b32 s7, s7, s25
	s_or_b32 exec_lo, exec_lo, s26
	s_and_saveexec_b32 s25, s7
	s_cbranch_execnz .LBB6_9469
	s_branch .LBB6_9470
.LBB6_10210:                            ;   in Loop: Header=BB6_9048 Depth=2
	s_mov_b32 s7, -1
	s_mov_b32 s27, exec_lo
                                        ; implicit-def: $sgpr25
	v_cmpx_eq_u16_e64 0x80, v182
; %bb.10211:                            ;   in Loop: Header=BB6_9048 Depth=2
	s_mov_b32 s25, 0x7f800001
	s_xor_b32 s7, exec_lo, -1
; %bb.10212:                            ;   in Loop: Header=BB6_9048 Depth=2
	s_or_b32 exec_lo, exec_lo, s27
	s_delay_alu instid0(SALU_CYCLE_1)
	s_and_b32 s7, s7, exec_lo
                                        ; implicit-def: $vgpr182
	s_or_saveexec_b32 s26, s26
	v_mov_b32_e32 v181, s25
	s_xor_b32 exec_lo, exec_lo, s26
	s_cbranch_execz .LBB6_9472
.LBB6_10213:                            ;   in Loop: Header=BB6_9048 Depth=2
	v_cmp_ne_u16_e64 vcc_lo, 0, v182
	v_mov_b32_e32 v181, 0
	s_and_not1_b32 s7, s7, exec_lo
	s_delay_alu instid0(VALU_DEP_2) | instskip(NEXT) | instid1(SALU_CYCLE_1)
	s_and_b32 s25, vcc_lo, exec_lo
	s_or_b32 s7, s7, s25
	s_or_b32 exec_lo, exec_lo, s26
	s_and_saveexec_b32 s25, s7
	s_cbranch_execnz .LBB6_9473
	s_branch .LBB6_9474
.LBB6_10214:                            ;   in Loop: Header=BB6_9048 Depth=2
	s_mov_b32 s25, -1
	s_mov_b32 s27, exec_lo
                                        ; implicit-def: $sgpr26
	v_cmpx_eq_u16_e64 0x80, v181
; %bb.10215:                            ;   in Loop: Header=BB6_9048 Depth=2
	s_mov_b32 s26, 0x7f800001
	s_xor_b32 s25, exec_lo, -1
; %bb.10216:                            ;   in Loop: Header=BB6_9048 Depth=2
	s_or_b32 exec_lo, exec_lo, s27
	s_delay_alu instid0(SALU_CYCLE_1)
	s_and_b32 s25, s25, exec_lo
	s_or_saveexec_b32 s7, s7
	v_mov_b32_e32 v182, s26
	s_xor_b32 exec_lo, exec_lo, s7
	s_cbranch_execz .LBB6_9486
.LBB6_10217:                            ;   in Loop: Header=BB6_9048 Depth=2
	v_cmp_ne_u16_e64 vcc_lo, 0, v181
	v_mov_b32_e32 v182, 0
	s_and_not1_b32 s25, s25, exec_lo
	s_delay_alu instid0(VALU_DEP_2) | instskip(NEXT) | instid1(SALU_CYCLE_1)
	s_and_b32 s26, vcc_lo, exec_lo
	s_or_b32 s25, s25, s26
	s_or_b32 exec_lo, exec_lo, s7
	s_and_saveexec_b32 s7, s25
	s_cbranch_execnz .LBB6_9487
	s_branch .LBB6_9488
.LBB6_10218:                            ;   in Loop: Header=BB6_9048 Depth=2
	s_mov_b32 s7, -1
	s_mov_b32 s27, exec_lo
                                        ; implicit-def: $sgpr25
	v_cmpx_eq_u16_e32 0x80, v40
; %bb.10219:                            ;   in Loop: Header=BB6_9048 Depth=2
	s_mov_b32 s25, 0x7f800001
	s_xor_b32 s7, exec_lo, -1
; %bb.10220:                            ;   in Loop: Header=BB6_9048 Depth=2
	s_or_b32 exec_lo, exec_lo, s27
	s_delay_alu instid0(SALU_CYCLE_1)
	s_and_b32 s7, s7, exec_lo
                                        ; implicit-def: $vgpr40
	s_or_saveexec_b32 s26, s26
	v_mov_b32_e32 v183, s25
	s_xor_b32 exec_lo, exec_lo, s26
	s_cbranch_execz .LBB6_9490
.LBB6_10221:                            ;   in Loop: Header=BB6_9048 Depth=2
	v_cmp_ne_u16_e32 vcc_lo, 0, v40
	v_mov_b32_e32 v183, 0
	s_and_not1_b32 s7, s7, exec_lo
	s_and_b32 s25, vcc_lo, exec_lo
	s_delay_alu instid0(SALU_CYCLE_1)
	s_or_b32 s7, s7, s25
	s_or_b32 exec_lo, exec_lo, s26
	s_and_saveexec_b32 s25, s7
	s_cbranch_execnz .LBB6_9491
	s_branch .LBB6_9492
.LBB6_10222:                            ;   in Loop: Header=BB6_9048 Depth=2
	s_mov_b32 s7, -1
	s_mov_b32 s27, exec_lo
                                        ; implicit-def: $sgpr25
	v_cmpx_eq_u16_e64 0x80, v181
; %bb.10223:                            ;   in Loop: Header=BB6_9048 Depth=2
	s_mov_b32 s25, 0x7f800001
	s_xor_b32 s7, exec_lo, -1
; %bb.10224:                            ;   in Loop: Header=BB6_9048 Depth=2
	s_or_b32 exec_lo, exec_lo, s27
	s_delay_alu instid0(SALU_CYCLE_1)
	s_and_b32 s7, s7, exec_lo
                                        ; implicit-def: $vgpr181
	s_or_saveexec_b32 s26, s26
	v_mov_b32_e32 v182, s25
	s_xor_b32 exec_lo, exec_lo, s26
	s_cbranch_execz .LBB6_9497
.LBB6_10225:                            ;   in Loop: Header=BB6_9048 Depth=2
	v_cmp_ne_u16_e64 vcc_lo, 0, v181
	v_mov_b32_e32 v182, 0
	s_and_not1_b32 s7, s7, exec_lo
	s_delay_alu instid0(VALU_DEP_2) | instskip(NEXT) | instid1(SALU_CYCLE_1)
	s_and_b32 s25, vcc_lo, exec_lo
	s_or_b32 s7, s7, s25
	s_or_b32 exec_lo, exec_lo, s26
	s_and_saveexec_b32 s25, s7
	s_cbranch_execnz .LBB6_9498
	s_branch .LBB6_9499
.LBB6_10226:                            ;   in Loop: Header=BB6_9048 Depth=2
	s_mov_b32 s7, -1
	s_mov_b32 s27, exec_lo
                                        ; implicit-def: $sgpr25
	v_cmpx_eq_u16_e64 0x80, v181
; %bb.10227:                            ;   in Loop: Header=BB6_9048 Depth=2
	s_mov_b32 s25, 0x7f800001
	s_xor_b32 s7, exec_lo, -1
; %bb.10228:                            ;   in Loop: Header=BB6_9048 Depth=2
	s_or_b32 exec_lo, exec_lo, s27
	s_delay_alu instid0(SALU_CYCLE_1)
	s_and_b32 s7, s7, exec_lo
                                        ; implicit-def: $vgpr181
	s_or_saveexec_b32 s26, s26
	v_mov_b32_e32 v180, s25
	s_xor_b32 exec_lo, exec_lo, s26
	s_cbranch_execz .LBB6_9501
.LBB6_10229:                            ;   in Loop: Header=BB6_9048 Depth=2
	v_cmp_ne_u16_e64 vcc_lo, 0, v181
	v_mov_b32_e32 v180, 0
	s_and_not1_b32 s7, s7, exec_lo
	s_delay_alu instid0(VALU_DEP_2) | instskip(NEXT) | instid1(SALU_CYCLE_1)
	s_and_b32 s25, vcc_lo, exec_lo
	s_or_b32 s7, s7, s25
	s_or_b32 exec_lo, exec_lo, s26
	s_and_saveexec_b32 s25, s7
	s_cbranch_execnz .LBB6_9502
	s_branch .LBB6_9503
.LBB6_10230:                            ;   in Loop: Header=BB6_9048 Depth=2
	s_mov_b32 s25, -1
	s_mov_b32 s27, exec_lo
                                        ; implicit-def: $sgpr26
	v_cmpx_eq_u16_e64 0x80, v180
; %bb.10231:                            ;   in Loop: Header=BB6_9048 Depth=2
	s_mov_b32 s26, 0x7f800001
	s_xor_b32 s25, exec_lo, -1
; %bb.10232:                            ;   in Loop: Header=BB6_9048 Depth=2
	s_or_b32 exec_lo, exec_lo, s27
	s_delay_alu instid0(SALU_CYCLE_1)
	s_and_b32 s25, s25, exec_lo
	s_or_saveexec_b32 s7, s7
	v_mov_b32_e32 v181, s26
	s_xor_b32 exec_lo, exec_lo, s7
	s_cbranch_execz .LBB6_9515
.LBB6_10233:                            ;   in Loop: Header=BB6_9048 Depth=2
	v_cmp_ne_u16_e64 vcc_lo, 0, v180
	v_mov_b32_e32 v181, 0
	s_and_not1_b32 s25, s25, exec_lo
	s_delay_alu instid0(VALU_DEP_2) | instskip(NEXT) | instid1(SALU_CYCLE_1)
	s_and_b32 s26, vcc_lo, exec_lo
	s_or_b32 s25, s25, s26
	s_or_b32 exec_lo, exec_lo, s7
	s_and_saveexec_b32 s7, s25
	s_cbranch_execnz .LBB6_9516
	s_branch .LBB6_9517
.LBB6_10234:                            ;   in Loop: Header=BB6_9048 Depth=2
	s_mov_b32 s7, -1
	s_mov_b32 s27, exec_lo
                                        ; implicit-def: $sgpr25
	v_cmpx_eq_u16_e64 0x80, v183
; %bb.10235:                            ;   in Loop: Header=BB6_9048 Depth=2
	s_mov_b32 s25, 0x7f800001
	s_xor_b32 s7, exec_lo, -1
; %bb.10236:                            ;   in Loop: Header=BB6_9048 Depth=2
	s_or_b32 exec_lo, exec_lo, s27
	s_delay_alu instid0(SALU_CYCLE_1)
	s_and_b32 s7, s7, exec_lo
                                        ; implicit-def: $vgpr183
	s_or_saveexec_b32 s26, s26
	v_mov_b32_e32 v182, s25
	s_xor_b32 exec_lo, exec_lo, s26
	s_cbranch_execz .LBB6_9519
.LBB6_10237:                            ;   in Loop: Header=BB6_9048 Depth=2
	v_cmp_ne_u16_e64 vcc_lo, 0, v183
	v_mov_b32_e32 v182, 0
	s_and_not1_b32 s7, s7, exec_lo
	s_delay_alu instid0(VALU_DEP_2) | instskip(NEXT) | instid1(SALU_CYCLE_1)
	s_and_b32 s25, vcc_lo, exec_lo
	s_or_b32 s7, s7, s25
	s_or_b32 exec_lo, exec_lo, s26
	s_and_saveexec_b32 s25, s7
	s_cbranch_execnz .LBB6_9520
	s_branch .LBB6_9521
.LBB6_10238:                            ;   in Loop: Header=BB6_9048 Depth=2
	s_mov_b32 s7, -1
	s_mov_b32 s27, exec_lo
                                        ; implicit-def: $sgpr25
	v_cmpx_eq_u16_e64 0x80, v180
; %bb.10239:                            ;   in Loop: Header=BB6_9048 Depth=2
	s_mov_b32 s25, 0x7f800001
	s_xor_b32 s7, exec_lo, -1
; %bb.10240:                            ;   in Loop: Header=BB6_9048 Depth=2
	s_or_b32 exec_lo, exec_lo, s27
	s_delay_alu instid0(SALU_CYCLE_1)
	s_and_b32 s7, s7, exec_lo
                                        ; implicit-def: $vgpr180
	s_or_saveexec_b32 s26, s26
	v_mov_b32_e32 v181, s25
	s_xor_b32 exec_lo, exec_lo, s26
	s_cbranch_execz .LBB6_9526
.LBB6_10241:                            ;   in Loop: Header=BB6_9048 Depth=2
	v_cmp_ne_u16_e64 vcc_lo, 0, v180
	v_mov_b32_e32 v181, 0
	s_and_not1_b32 s7, s7, exec_lo
	s_delay_alu instid0(VALU_DEP_2) | instskip(NEXT) | instid1(SALU_CYCLE_1)
	s_and_b32 s25, vcc_lo, exec_lo
	s_or_b32 s7, s7, s25
	s_or_b32 exec_lo, exec_lo, s26
	s_and_saveexec_b32 s25, s7
	s_cbranch_execnz .LBB6_9527
	s_branch .LBB6_9528
.LBB6_10242:                            ;   in Loop: Header=BB6_9048 Depth=2
	s_mov_b32 s7, -1
	s_mov_b32 s27, exec_lo
                                        ; implicit-def: $sgpr25
	v_cmpx_eq_u16_e64 0x80, v180
; %bb.10243:                            ;   in Loop: Header=BB6_9048 Depth=2
	s_mov_b32 s25, 0x7f800001
	s_xor_b32 s7, exec_lo, -1
; %bb.10244:                            ;   in Loop: Header=BB6_9048 Depth=2
	s_or_b32 exec_lo, exec_lo, s27
	s_delay_alu instid0(SALU_CYCLE_1)
	s_and_b32 s7, s7, exec_lo
                                        ; implicit-def: $vgpr180
	s_or_saveexec_b32 s26, s26
	v_mov_b32_e32 v178, s25
	s_xor_b32 exec_lo, exec_lo, s26
	s_cbranch_execz .LBB6_9530
.LBB6_10245:                            ;   in Loop: Header=BB6_9048 Depth=2
	v_cmp_ne_u16_e64 vcc_lo, 0, v180
	v_mov_b32_e32 v178, 0
	s_and_not1_b32 s7, s7, exec_lo
	s_delay_alu instid0(VALU_DEP_2) | instskip(NEXT) | instid1(SALU_CYCLE_1)
	s_and_b32 s25, vcc_lo, exec_lo
	s_or_b32 s7, s7, s25
	s_or_b32 exec_lo, exec_lo, s26
	s_and_saveexec_b32 s25, s7
	s_cbranch_execnz .LBB6_9531
	s_branch .LBB6_9532
.LBB6_10246:                            ;   in Loop: Header=BB6_9048 Depth=2
	s_mov_b32 s25, -1
	s_mov_b32 s27, exec_lo
                                        ; implicit-def: $sgpr26
	v_cmpx_eq_u16_e64 0x80, v178
; %bb.10247:                            ;   in Loop: Header=BB6_9048 Depth=2
	s_mov_b32 s26, 0x7f800001
	s_xor_b32 s25, exec_lo, -1
; %bb.10248:                            ;   in Loop: Header=BB6_9048 Depth=2
	s_or_b32 exec_lo, exec_lo, s27
	s_delay_alu instid0(SALU_CYCLE_1)
	s_and_b32 s25, s25, exec_lo
	s_or_saveexec_b32 s7, s7
	v_mov_b32_e32 v180, s26
	s_xor_b32 exec_lo, exec_lo, s7
	s_cbranch_execz .LBB6_9544
.LBB6_10249:                            ;   in Loop: Header=BB6_9048 Depth=2
	v_cmp_ne_u16_e64 vcc_lo, 0, v178
	v_mov_b32_e32 v180, 0
	s_and_not1_b32 s25, s25, exec_lo
	s_delay_alu instid0(VALU_DEP_2) | instskip(NEXT) | instid1(SALU_CYCLE_1)
	s_and_b32 s26, vcc_lo, exec_lo
	s_or_b32 s25, s25, s26
	s_or_b32 exec_lo, exec_lo, s7
	s_and_saveexec_b32 s7, s25
	s_cbranch_execnz .LBB6_9545
	s_branch .LBB6_9546
.LBB6_10250:                            ;   in Loop: Header=BB6_9048 Depth=2
	s_mov_b32 s7, -1
	s_mov_b32 s27, exec_lo
                                        ; implicit-def: $sgpr25
	v_cmpx_eq_u16_e64 0x80, v182
; %bb.10251:                            ;   in Loop: Header=BB6_9048 Depth=2
	s_mov_b32 s25, 0x7f800001
	s_xor_b32 s7, exec_lo, -1
; %bb.10252:                            ;   in Loop: Header=BB6_9048 Depth=2
	s_or_b32 exec_lo, exec_lo, s27
	s_delay_alu instid0(SALU_CYCLE_1)
	s_and_b32 s7, s7, exec_lo
                                        ; implicit-def: $vgpr182
	s_or_saveexec_b32 s26, s26
	v_mov_b32_e32 v181, s25
	s_xor_b32 exec_lo, exec_lo, s26
	s_cbranch_execz .LBB6_9548
.LBB6_10253:                            ;   in Loop: Header=BB6_9048 Depth=2
	v_cmp_ne_u16_e64 vcc_lo, 0, v182
	v_mov_b32_e32 v181, 0
	s_and_not1_b32 s7, s7, exec_lo
	s_delay_alu instid0(VALU_DEP_2) | instskip(NEXT) | instid1(SALU_CYCLE_1)
	s_and_b32 s25, vcc_lo, exec_lo
	s_or_b32 s7, s7, s25
	s_or_b32 exec_lo, exec_lo, s26
	s_and_saveexec_b32 s25, s7
	s_cbranch_execnz .LBB6_9549
	s_branch .LBB6_9550
.LBB6_10254:                            ;   in Loop: Header=BB6_9048 Depth=2
	s_mov_b32 s7, -1
	s_mov_b32 s27, exec_lo
                                        ; implicit-def: $sgpr25
	v_cmpx_eq_u16_e64 0x80, v178
; %bb.10255:                            ;   in Loop: Header=BB6_9048 Depth=2
	s_mov_b32 s25, 0x7f800001
	s_xor_b32 s7, exec_lo, -1
; %bb.10256:                            ;   in Loop: Header=BB6_9048 Depth=2
	s_or_b32 exec_lo, exec_lo, s27
	s_delay_alu instid0(SALU_CYCLE_1)
	s_and_b32 s7, s7, exec_lo
                                        ; implicit-def: $vgpr178
	s_or_saveexec_b32 s26, s26
	v_mov_b32_e32 v180, s25
	s_xor_b32 exec_lo, exec_lo, s26
	s_cbranch_execz .LBB6_9555
.LBB6_10257:                            ;   in Loop: Header=BB6_9048 Depth=2
	v_cmp_ne_u16_e64 vcc_lo, 0, v178
	v_mov_b32_e32 v180, 0
	s_and_not1_b32 s7, s7, exec_lo
	s_delay_alu instid0(VALU_DEP_2) | instskip(NEXT) | instid1(SALU_CYCLE_1)
	s_and_b32 s25, vcc_lo, exec_lo
	s_or_b32 s7, s7, s25
	s_or_b32 exec_lo, exec_lo, s26
	s_and_saveexec_b32 s25, s7
	s_cbranch_execnz .LBB6_9556
	s_branch .LBB6_9557
.LBB6_10258:                            ;   in Loop: Header=BB6_9048 Depth=2
	s_mov_b32 s7, -1
	s_mov_b32 s27, exec_lo
                                        ; implicit-def: $sgpr25
	v_cmpx_eq_u16_e64 0x80, v178
; %bb.10259:                            ;   in Loop: Header=BB6_9048 Depth=2
	s_mov_b32 s25, 0x7f800001
	s_xor_b32 s7, exec_lo, -1
; %bb.10260:                            ;   in Loop: Header=BB6_9048 Depth=2
	s_or_b32 exec_lo, exec_lo, s27
	s_delay_alu instid0(SALU_CYCLE_1)
	s_and_b32 s7, s7, exec_lo
                                        ; implicit-def: $vgpr178
	s_or_saveexec_b32 s26, s26
	v_mov_b32_e32 v167, s25
	s_xor_b32 exec_lo, exec_lo, s26
	s_cbranch_execz .LBB6_9559
.LBB6_10261:                            ;   in Loop: Header=BB6_9048 Depth=2
	v_cmp_ne_u16_e64 vcc_lo, 0, v178
	v_mov_b32_e32 v167, 0
	s_and_not1_b32 s7, s7, exec_lo
	s_delay_alu instid0(VALU_DEP_2) | instskip(NEXT) | instid1(SALU_CYCLE_1)
	s_and_b32 s25, vcc_lo, exec_lo
	s_or_b32 s7, s7, s25
	s_or_b32 exec_lo, exec_lo, s26
	s_and_saveexec_b32 s25, s7
	s_cbranch_execnz .LBB6_9560
	s_branch .LBB6_9561
.LBB6_10262:                            ;   in Loop: Header=BB6_9048 Depth=2
	s_mov_b32 s25, -1
	s_mov_b32 s27, exec_lo
                                        ; implicit-def: $sgpr26
	v_cmpx_eq_u16_e64 0x80, v167
; %bb.10263:                            ;   in Loop: Header=BB6_9048 Depth=2
	s_mov_b32 s26, 0x7f800001
	s_xor_b32 s25, exec_lo, -1
; %bb.10264:                            ;   in Loop: Header=BB6_9048 Depth=2
	s_or_b32 exec_lo, exec_lo, s27
	s_delay_alu instid0(SALU_CYCLE_1)
	s_and_b32 s25, s25, exec_lo
	s_or_saveexec_b32 s7, s7
	v_mov_b32_e32 v178, s26
	s_xor_b32 exec_lo, exec_lo, s7
	s_cbranch_execz .LBB6_9573
.LBB6_10265:                            ;   in Loop: Header=BB6_9048 Depth=2
	v_cmp_ne_u16_e64 vcc_lo, 0, v167
	v_mov_b32_e32 v178, 0
	s_and_not1_b32 s25, s25, exec_lo
	s_delay_alu instid0(VALU_DEP_2) | instskip(NEXT) | instid1(SALU_CYCLE_1)
	s_and_b32 s26, vcc_lo, exec_lo
	s_or_b32 s25, s25, s26
	s_or_b32 exec_lo, exec_lo, s7
	s_and_saveexec_b32 s7, s25
	s_cbranch_execnz .LBB6_9574
	s_branch .LBB6_9575
.LBB6_10266:                            ;   in Loop: Header=BB6_9048 Depth=2
	s_mov_b32 s7, -1
	s_mov_b32 s27, exec_lo
                                        ; implicit-def: $sgpr25
	v_cmpx_eq_u16_e64 0x80, v181
; %bb.10267:                            ;   in Loop: Header=BB6_9048 Depth=2
	s_mov_b32 s25, 0x7f800001
	s_xor_b32 s7, exec_lo, -1
; %bb.10268:                            ;   in Loop: Header=BB6_9048 Depth=2
	s_or_b32 exec_lo, exec_lo, s27
	s_delay_alu instid0(SALU_CYCLE_1)
	s_and_b32 s7, s7, exec_lo
                                        ; implicit-def: $vgpr181
	s_or_saveexec_b32 s26, s26
	v_mov_b32_e32 v180, s25
	s_xor_b32 exec_lo, exec_lo, s26
	s_cbranch_execz .LBB6_9577
.LBB6_10269:                            ;   in Loop: Header=BB6_9048 Depth=2
	v_cmp_ne_u16_e64 vcc_lo, 0, v181
	v_mov_b32_e32 v180, 0
	s_and_not1_b32 s7, s7, exec_lo
	s_delay_alu instid0(VALU_DEP_2) | instskip(NEXT) | instid1(SALU_CYCLE_1)
	s_and_b32 s25, vcc_lo, exec_lo
	s_or_b32 s7, s7, s25
	s_or_b32 exec_lo, exec_lo, s26
	s_and_saveexec_b32 s25, s7
	s_cbranch_execnz .LBB6_9578
	s_branch .LBB6_9579
.LBB6_10270:                            ;   in Loop: Header=BB6_9048 Depth=2
	s_mov_b32 s7, -1
	s_mov_b32 s27, exec_lo
                                        ; implicit-def: $sgpr25
	v_cmpx_eq_u16_e64 0x80, v167
; %bb.10271:                            ;   in Loop: Header=BB6_9048 Depth=2
	s_mov_b32 s25, 0x7f800001
	s_xor_b32 s7, exec_lo, -1
; %bb.10272:                            ;   in Loop: Header=BB6_9048 Depth=2
	s_or_b32 exec_lo, exec_lo, s27
	s_delay_alu instid0(SALU_CYCLE_1)
	s_and_b32 s7, s7, exec_lo
                                        ; implicit-def: $vgpr167
	s_or_saveexec_b32 s26, s26
	v_mov_b32_e32 v178, s25
	s_xor_b32 exec_lo, exec_lo, s26
	s_cbranch_execz .LBB6_9584
.LBB6_10273:                            ;   in Loop: Header=BB6_9048 Depth=2
	v_cmp_ne_u16_e64 vcc_lo, 0, v167
	v_mov_b32_e32 v178, 0
	s_and_not1_b32 s7, s7, exec_lo
	s_delay_alu instid0(VALU_DEP_2) | instskip(NEXT) | instid1(SALU_CYCLE_1)
	s_and_b32 s25, vcc_lo, exec_lo
	s_or_b32 s7, s7, s25
	s_or_b32 exec_lo, exec_lo, s26
	s_and_saveexec_b32 s25, s7
	s_cbranch_execnz .LBB6_9585
	s_branch .LBB6_9586
.LBB6_10274:                            ;   in Loop: Header=BB6_9048 Depth=2
	s_mov_b32 s7, -1
	s_mov_b32 s27, exec_lo
                                        ; implicit-def: $sgpr25
	v_cmpx_eq_u16_e64 0x80, v167
; %bb.10275:                            ;   in Loop: Header=BB6_9048 Depth=2
	s_mov_b32 s25, 0x7f800001
	s_xor_b32 s7, exec_lo, -1
; %bb.10276:                            ;   in Loop: Header=BB6_9048 Depth=2
	s_or_b32 exec_lo, exec_lo, s27
	s_delay_alu instid0(SALU_CYCLE_1)
	s_and_b32 s7, s7, exec_lo
                                        ; implicit-def: $vgpr167
	s_or_saveexec_b32 s26, s26
	v_mov_b32_e32 v164, s25
	s_xor_b32 exec_lo, exec_lo, s26
	s_cbranch_execz .LBB6_9588
.LBB6_10277:                            ;   in Loop: Header=BB6_9048 Depth=2
	v_cmp_ne_u16_e64 vcc_lo, 0, v167
	v_mov_b32_e32 v164, 0
	s_and_not1_b32 s7, s7, exec_lo
	s_delay_alu instid0(VALU_DEP_2) | instskip(NEXT) | instid1(SALU_CYCLE_1)
	s_and_b32 s25, vcc_lo, exec_lo
	s_or_b32 s7, s7, s25
	s_or_b32 exec_lo, exec_lo, s26
	s_and_saveexec_b32 s25, s7
	s_cbranch_execnz .LBB6_9589
	s_branch .LBB6_9590
.LBB6_10278:                            ;   in Loop: Header=BB6_9048 Depth=2
	s_mov_b32 s25, -1
	s_mov_b32 s27, exec_lo
                                        ; implicit-def: $sgpr26
	v_cmpx_eq_u16_e64 0x80, v164
; %bb.10279:                            ;   in Loop: Header=BB6_9048 Depth=2
	s_mov_b32 s26, 0x7f800001
	s_xor_b32 s25, exec_lo, -1
; %bb.10280:                            ;   in Loop: Header=BB6_9048 Depth=2
	s_or_b32 exec_lo, exec_lo, s27
	s_delay_alu instid0(SALU_CYCLE_1)
	s_and_b32 s25, s25, exec_lo
	s_or_saveexec_b32 s7, s7
	v_mov_b32_e32 v167, s26
	s_xor_b32 exec_lo, exec_lo, s7
	s_cbranch_execz .LBB6_9602
.LBB6_10281:                            ;   in Loop: Header=BB6_9048 Depth=2
	v_cmp_ne_u16_e64 vcc_lo, 0, v164
	v_mov_b32_e32 v167, 0
	s_and_not1_b32 s25, s25, exec_lo
	s_delay_alu instid0(VALU_DEP_2) | instskip(NEXT) | instid1(SALU_CYCLE_1)
	s_and_b32 s26, vcc_lo, exec_lo
	s_or_b32 s25, s25, s26
	s_or_b32 exec_lo, exec_lo, s7
	s_and_saveexec_b32 s7, s25
	s_cbranch_execnz .LBB6_9603
	s_branch .LBB6_9604
.LBB6_10282:                            ;   in Loop: Header=BB6_9048 Depth=2
	s_mov_b32 s7, -1
	s_mov_b32 s27, exec_lo
                                        ; implicit-def: $sgpr25
	v_cmpx_eq_u16_e64 0x80, v180
; %bb.10283:                            ;   in Loop: Header=BB6_9048 Depth=2
	s_mov_b32 s25, 0x7f800001
	s_xor_b32 s7, exec_lo, -1
; %bb.10284:                            ;   in Loop: Header=BB6_9048 Depth=2
	s_or_b32 exec_lo, exec_lo, s27
	s_delay_alu instid0(SALU_CYCLE_1)
	s_and_b32 s7, s7, exec_lo
                                        ; implicit-def: $vgpr180
	s_or_saveexec_b32 s26, s26
	v_mov_b32_e32 v178, s25
	s_xor_b32 exec_lo, exec_lo, s26
	s_cbranch_execz .LBB6_9606
.LBB6_10285:                            ;   in Loop: Header=BB6_9048 Depth=2
	v_cmp_ne_u16_e64 vcc_lo, 0, v180
	v_mov_b32_e32 v178, 0
	s_and_not1_b32 s7, s7, exec_lo
	s_delay_alu instid0(VALU_DEP_2) | instskip(NEXT) | instid1(SALU_CYCLE_1)
	s_and_b32 s25, vcc_lo, exec_lo
	s_or_b32 s7, s7, s25
	s_or_b32 exec_lo, exec_lo, s26
	s_and_saveexec_b32 s25, s7
	s_cbranch_execnz .LBB6_9607
	s_branch .LBB6_9608
.LBB6_10286:                            ;   in Loop: Header=BB6_9048 Depth=2
	s_mov_b32 s7, -1
	s_mov_b32 s27, exec_lo
                                        ; implicit-def: $sgpr25
	v_cmpx_eq_u16_e64 0x80, v164
; %bb.10287:                            ;   in Loop: Header=BB6_9048 Depth=2
	s_mov_b32 s25, 0x7f800001
	s_xor_b32 s7, exec_lo, -1
; %bb.10288:                            ;   in Loop: Header=BB6_9048 Depth=2
	s_or_b32 exec_lo, exec_lo, s27
	s_delay_alu instid0(SALU_CYCLE_1)
	s_and_b32 s7, s7, exec_lo
                                        ; implicit-def: $vgpr164
	s_or_saveexec_b32 s26, s26
	v_mov_b32_e32 v167, s25
	s_xor_b32 exec_lo, exec_lo, s26
	s_cbranch_execz .LBB6_9613
.LBB6_10289:                            ;   in Loop: Header=BB6_9048 Depth=2
	v_cmp_ne_u16_e64 vcc_lo, 0, v164
	v_mov_b32_e32 v167, 0
	s_and_not1_b32 s7, s7, exec_lo
	s_delay_alu instid0(VALU_DEP_2) | instskip(NEXT) | instid1(SALU_CYCLE_1)
	s_and_b32 s25, vcc_lo, exec_lo
	s_or_b32 s7, s7, s25
	s_or_b32 exec_lo, exec_lo, s26
	s_and_saveexec_b32 s25, s7
	s_cbranch_execnz .LBB6_9614
	s_branch .LBB6_9615
.LBB6_10290:                            ;   in Loop: Header=BB6_9048 Depth=2
	s_mov_b32 s7, -1
	s_mov_b32 s27, exec_lo
                                        ; implicit-def: $sgpr25
	v_cmpx_eq_u16_e64 0x80, v164
; %bb.10291:                            ;   in Loop: Header=BB6_9048 Depth=2
	s_mov_b32 s25, 0x7f800001
	s_xor_b32 s7, exec_lo, -1
; %bb.10292:                            ;   in Loop: Header=BB6_9048 Depth=2
	s_or_b32 exec_lo, exec_lo, s27
	s_delay_alu instid0(SALU_CYCLE_1)
	s_and_b32 s7, s7, exec_lo
                                        ; implicit-def: $vgpr164
	s_or_saveexec_b32 s26, s26
	v_mov_b32_e32 v161, s25
	s_xor_b32 exec_lo, exec_lo, s26
	s_cbranch_execz .LBB6_9617
.LBB6_10293:                            ;   in Loop: Header=BB6_9048 Depth=2
	v_cmp_ne_u16_e64 vcc_lo, 0, v164
	v_mov_b32_e32 v161, 0
	s_and_not1_b32 s7, s7, exec_lo
	s_delay_alu instid0(VALU_DEP_2) | instskip(NEXT) | instid1(SALU_CYCLE_1)
	s_and_b32 s25, vcc_lo, exec_lo
	s_or_b32 s7, s7, s25
	s_or_b32 exec_lo, exec_lo, s26
	s_and_saveexec_b32 s25, s7
	s_cbranch_execnz .LBB6_9618
	s_branch .LBB6_9619
.LBB6_10294:                            ;   in Loop: Header=BB6_9048 Depth=2
	s_mov_b32 s25, -1
	s_mov_b32 s27, exec_lo
                                        ; implicit-def: $sgpr26
	v_cmpx_eq_u16_e64 0x80, v161
; %bb.10295:                            ;   in Loop: Header=BB6_9048 Depth=2
	s_mov_b32 s26, 0x7f800001
	s_xor_b32 s25, exec_lo, -1
; %bb.10296:                            ;   in Loop: Header=BB6_9048 Depth=2
	s_or_b32 exec_lo, exec_lo, s27
	s_delay_alu instid0(SALU_CYCLE_1)
	s_and_b32 s25, s25, exec_lo
	s_or_saveexec_b32 s7, s7
	v_mov_b32_e32 v164, s26
	s_xor_b32 exec_lo, exec_lo, s7
	s_cbranch_execz .LBB6_9631
.LBB6_10297:                            ;   in Loop: Header=BB6_9048 Depth=2
	v_cmp_ne_u16_e64 vcc_lo, 0, v161
	v_mov_b32_e32 v164, 0
	s_and_not1_b32 s25, s25, exec_lo
	s_delay_alu instid0(VALU_DEP_2) | instskip(NEXT) | instid1(SALU_CYCLE_1)
	s_and_b32 s26, vcc_lo, exec_lo
	s_or_b32 s25, s25, s26
	s_or_b32 exec_lo, exec_lo, s7
	s_and_saveexec_b32 s7, s25
	s_cbranch_execnz .LBB6_9632
	s_branch .LBB6_9633
.LBB6_10298:                            ;   in Loop: Header=BB6_9048 Depth=2
	s_mov_b32 s7, -1
	s_mov_b32 s27, exec_lo
                                        ; implicit-def: $sgpr25
	v_cmpx_eq_u16_e64 0x80, v178
; %bb.10299:                            ;   in Loop: Header=BB6_9048 Depth=2
	s_mov_b32 s25, 0x7f800001
	s_xor_b32 s7, exec_lo, -1
; %bb.10300:                            ;   in Loop: Header=BB6_9048 Depth=2
	s_or_b32 exec_lo, exec_lo, s27
	s_delay_alu instid0(SALU_CYCLE_1)
	s_and_b32 s7, s7, exec_lo
                                        ; implicit-def: $vgpr178
	s_or_saveexec_b32 s26, s26
	v_mov_b32_e32 v167, s25
	s_xor_b32 exec_lo, exec_lo, s26
	s_cbranch_execz .LBB6_9635
.LBB6_10301:                            ;   in Loop: Header=BB6_9048 Depth=2
	v_cmp_ne_u16_e64 vcc_lo, 0, v178
	v_mov_b32_e32 v167, 0
	s_and_not1_b32 s7, s7, exec_lo
	s_delay_alu instid0(VALU_DEP_2) | instskip(NEXT) | instid1(SALU_CYCLE_1)
	s_and_b32 s25, vcc_lo, exec_lo
	s_or_b32 s7, s7, s25
	s_or_b32 exec_lo, exec_lo, s26
	s_and_saveexec_b32 s25, s7
	s_cbranch_execnz .LBB6_9636
	s_branch .LBB6_9637
.LBB6_10302:                            ;   in Loop: Header=BB6_9048 Depth=2
	s_mov_b32 s7, -1
	s_mov_b32 s27, exec_lo
                                        ; implicit-def: $sgpr25
	v_cmpx_eq_u16_e64 0x80, v161
; %bb.10303:                            ;   in Loop: Header=BB6_9048 Depth=2
	s_mov_b32 s25, 0x7f800001
	s_xor_b32 s7, exec_lo, -1
; %bb.10304:                            ;   in Loop: Header=BB6_9048 Depth=2
	s_or_b32 exec_lo, exec_lo, s27
	s_delay_alu instid0(SALU_CYCLE_1)
	s_and_b32 s7, s7, exec_lo
                                        ; implicit-def: $vgpr161
	s_or_saveexec_b32 s26, s26
	v_mov_b32_e32 v164, s25
	s_xor_b32 exec_lo, exec_lo, s26
	s_cbranch_execz .LBB6_9642
.LBB6_10305:                            ;   in Loop: Header=BB6_9048 Depth=2
	v_cmp_ne_u16_e64 vcc_lo, 0, v161
	v_mov_b32_e32 v164, 0
	s_and_not1_b32 s7, s7, exec_lo
	s_delay_alu instid0(VALU_DEP_2) | instskip(NEXT) | instid1(SALU_CYCLE_1)
	s_and_b32 s25, vcc_lo, exec_lo
	s_or_b32 s7, s7, s25
	s_or_b32 exec_lo, exec_lo, s26
	s_and_saveexec_b32 s25, s7
	s_cbranch_execnz .LBB6_9643
	s_branch .LBB6_9644
.LBB6_10306:                            ;   in Loop: Header=BB6_9048 Depth=2
	s_mov_b32 s7, -1
	s_mov_b32 s27, exec_lo
                                        ; implicit-def: $sgpr25
	v_cmpx_eq_u16_e64 0x80, v161
; %bb.10307:                            ;   in Loop: Header=BB6_9048 Depth=2
	s_mov_b32 s25, 0x7f800001
	s_xor_b32 s7, exec_lo, -1
; %bb.10308:                            ;   in Loop: Header=BB6_9048 Depth=2
	s_or_b32 exec_lo, exec_lo, s27
	s_delay_alu instid0(SALU_CYCLE_1)
	s_and_b32 s7, s7, exec_lo
                                        ; implicit-def: $vgpr161
	s_or_saveexec_b32 s26, s26
	v_mov_b32_e32 v150, s25
	s_xor_b32 exec_lo, exec_lo, s26
	s_cbranch_execz .LBB6_9646
.LBB6_10309:                            ;   in Loop: Header=BB6_9048 Depth=2
	v_cmp_ne_u16_e64 vcc_lo, 0, v161
	v_mov_b32_e32 v150, 0
	s_and_not1_b32 s7, s7, exec_lo
	s_delay_alu instid0(VALU_DEP_2) | instskip(NEXT) | instid1(SALU_CYCLE_1)
	s_and_b32 s25, vcc_lo, exec_lo
	s_or_b32 s7, s7, s25
	s_or_b32 exec_lo, exec_lo, s26
	s_and_saveexec_b32 s25, s7
	s_cbranch_execnz .LBB6_9647
	s_branch .LBB6_9648
.LBB6_10310:                            ;   in Loop: Header=BB6_9048 Depth=2
	s_mov_b32 s25, -1
	s_mov_b32 s27, exec_lo
                                        ; implicit-def: $sgpr26
	v_cmpx_eq_u16_e64 0x80, v150
; %bb.10311:                            ;   in Loop: Header=BB6_9048 Depth=2
	s_mov_b32 s26, 0x7f800001
	s_xor_b32 s25, exec_lo, -1
; %bb.10312:                            ;   in Loop: Header=BB6_9048 Depth=2
	s_or_b32 exec_lo, exec_lo, s27
	s_delay_alu instid0(SALU_CYCLE_1)
	s_and_b32 s25, s25, exec_lo
	s_or_saveexec_b32 s7, s7
	v_mov_b32_e32 v161, s26
	s_xor_b32 exec_lo, exec_lo, s7
	s_cbranch_execz .LBB6_9660
.LBB6_10313:                            ;   in Loop: Header=BB6_9048 Depth=2
	v_cmp_ne_u16_e64 vcc_lo, 0, v150
	v_mov_b32_e32 v161, 0
	s_and_not1_b32 s25, s25, exec_lo
	s_delay_alu instid0(VALU_DEP_2) | instskip(NEXT) | instid1(SALU_CYCLE_1)
	s_and_b32 s26, vcc_lo, exec_lo
	s_or_b32 s25, s25, s26
	s_or_b32 exec_lo, exec_lo, s7
	s_and_saveexec_b32 s7, s25
	s_cbranch_execnz .LBB6_9661
	s_branch .LBB6_9662
.LBB6_10314:                            ;   in Loop: Header=BB6_9048 Depth=2
	s_mov_b32 s7, -1
	s_mov_b32 s27, exec_lo
                                        ; implicit-def: $sgpr25
	v_cmpx_eq_u16_e64 0x80, v167
; %bb.10315:                            ;   in Loop: Header=BB6_9048 Depth=2
	s_mov_b32 s25, 0x7f800001
	s_xor_b32 s7, exec_lo, -1
; %bb.10316:                            ;   in Loop: Header=BB6_9048 Depth=2
	s_or_b32 exec_lo, exec_lo, s27
	s_delay_alu instid0(SALU_CYCLE_1)
	s_and_b32 s7, s7, exec_lo
                                        ; implicit-def: $vgpr167
	s_or_saveexec_b32 s26, s26
	v_mov_b32_e32 v164, s25
	s_xor_b32 exec_lo, exec_lo, s26
	s_cbranch_execz .LBB6_9664
.LBB6_10317:                            ;   in Loop: Header=BB6_9048 Depth=2
	v_cmp_ne_u16_e64 vcc_lo, 0, v167
	v_mov_b32_e32 v164, 0
	s_and_not1_b32 s7, s7, exec_lo
	s_delay_alu instid0(VALU_DEP_2) | instskip(NEXT) | instid1(SALU_CYCLE_1)
	s_and_b32 s25, vcc_lo, exec_lo
	s_or_b32 s7, s7, s25
	s_or_b32 exec_lo, exec_lo, s26
	s_and_saveexec_b32 s25, s7
	s_cbranch_execnz .LBB6_9665
	s_branch .LBB6_9666
.LBB6_10318:                            ;   in Loop: Header=BB6_9048 Depth=2
	s_mov_b32 s7, -1
	s_mov_b32 s27, exec_lo
                                        ; implicit-def: $sgpr25
	v_cmpx_eq_u16_e64 0x80, v150
; %bb.10319:                            ;   in Loop: Header=BB6_9048 Depth=2
	s_mov_b32 s25, 0x7f800001
	s_xor_b32 s7, exec_lo, -1
; %bb.10320:                            ;   in Loop: Header=BB6_9048 Depth=2
	s_or_b32 exec_lo, exec_lo, s27
	s_delay_alu instid0(SALU_CYCLE_1)
	s_and_b32 s7, s7, exec_lo
                                        ; implicit-def: $vgpr150
	s_or_saveexec_b32 s26, s26
	v_mov_b32_e32 v161, s25
	s_xor_b32 exec_lo, exec_lo, s26
	s_cbranch_execz .LBB6_9671
.LBB6_10321:                            ;   in Loop: Header=BB6_9048 Depth=2
	v_cmp_ne_u16_e64 vcc_lo, 0, v150
	v_mov_b32_e32 v161, 0
	s_and_not1_b32 s7, s7, exec_lo
	s_delay_alu instid0(VALU_DEP_2) | instskip(NEXT) | instid1(SALU_CYCLE_1)
	s_and_b32 s25, vcc_lo, exec_lo
	s_or_b32 s7, s7, s25
	s_or_b32 exec_lo, exec_lo, s26
	s_and_saveexec_b32 s25, s7
	s_cbranch_execnz .LBB6_9672
	s_branch .LBB6_9673
.LBB6_10322:                            ;   in Loop: Header=BB6_9048 Depth=2
	s_mov_b32 s7, -1
	s_mov_b32 s27, exec_lo
                                        ; implicit-def: $sgpr25
	v_cmpx_eq_u16_e64 0x80, v150
; %bb.10323:                            ;   in Loop: Header=BB6_9048 Depth=2
	s_mov_b32 s25, 0x7f800001
	s_xor_b32 s7, exec_lo, -1
; %bb.10324:                            ;   in Loop: Header=BB6_9048 Depth=2
	s_or_b32 exec_lo, exec_lo, s27
	s_delay_alu instid0(SALU_CYCLE_1)
	s_and_b32 s7, s7, exec_lo
                                        ; implicit-def: $vgpr150
	s_or_saveexec_b32 s26, s26
	v_mov_b32_e32 v147, s25
	s_xor_b32 exec_lo, exec_lo, s26
	s_cbranch_execz .LBB6_9675
.LBB6_10325:                            ;   in Loop: Header=BB6_9048 Depth=2
	v_cmp_ne_u16_e64 vcc_lo, 0, v150
	v_mov_b32_e32 v147, 0
	s_and_not1_b32 s7, s7, exec_lo
	s_delay_alu instid0(VALU_DEP_2) | instskip(NEXT) | instid1(SALU_CYCLE_1)
	s_and_b32 s25, vcc_lo, exec_lo
	s_or_b32 s7, s7, s25
	s_or_b32 exec_lo, exec_lo, s26
	s_and_saveexec_b32 s25, s7
	s_cbranch_execnz .LBB6_9676
	s_branch .LBB6_9677
.LBB6_10326:                            ;   in Loop: Header=BB6_9048 Depth=2
	s_mov_b32 s25, -1
	s_mov_b32 s27, exec_lo
                                        ; implicit-def: $sgpr26
	v_cmpx_eq_u16_e64 0x80, v147
; %bb.10327:                            ;   in Loop: Header=BB6_9048 Depth=2
	s_mov_b32 s26, 0x7f800001
	s_xor_b32 s25, exec_lo, -1
; %bb.10328:                            ;   in Loop: Header=BB6_9048 Depth=2
	s_or_b32 exec_lo, exec_lo, s27
	s_delay_alu instid0(SALU_CYCLE_1)
	s_and_b32 s25, s25, exec_lo
	s_or_saveexec_b32 s7, s7
	v_mov_b32_e32 v150, s26
	s_xor_b32 exec_lo, exec_lo, s7
	s_cbranch_execz .LBB6_9689
.LBB6_10329:                            ;   in Loop: Header=BB6_9048 Depth=2
	v_cmp_ne_u16_e64 vcc_lo, 0, v147
	v_mov_b32_e32 v150, 0
	s_and_not1_b32 s25, s25, exec_lo
	s_delay_alu instid0(VALU_DEP_2) | instskip(NEXT) | instid1(SALU_CYCLE_1)
	s_and_b32 s26, vcc_lo, exec_lo
	s_or_b32 s25, s25, s26
	s_or_b32 exec_lo, exec_lo, s7
	s_and_saveexec_b32 s7, s25
	s_cbranch_execnz .LBB6_9690
	s_branch .LBB6_9691
.LBB6_10330:                            ;   in Loop: Header=BB6_9048 Depth=2
	s_mov_b32 s7, -1
	s_mov_b32 s27, exec_lo
                                        ; implicit-def: $sgpr25
	v_cmpx_eq_u16_e64 0x80, v164
; %bb.10331:                            ;   in Loop: Header=BB6_9048 Depth=2
	s_mov_b32 s25, 0x7f800001
	s_xor_b32 s7, exec_lo, -1
; %bb.10332:                            ;   in Loop: Header=BB6_9048 Depth=2
	s_or_b32 exec_lo, exec_lo, s27
	s_delay_alu instid0(SALU_CYCLE_1)
	s_and_b32 s7, s7, exec_lo
                                        ; implicit-def: $vgpr164
	s_or_saveexec_b32 s26, s26
	v_mov_b32_e32 v161, s25
	s_xor_b32 exec_lo, exec_lo, s26
	s_cbranch_execz .LBB6_9693
.LBB6_10333:                            ;   in Loop: Header=BB6_9048 Depth=2
	v_cmp_ne_u16_e64 vcc_lo, 0, v164
	v_mov_b32_e32 v161, 0
	s_and_not1_b32 s7, s7, exec_lo
	s_delay_alu instid0(VALU_DEP_2) | instskip(NEXT) | instid1(SALU_CYCLE_1)
	s_and_b32 s25, vcc_lo, exec_lo
	s_or_b32 s7, s7, s25
	s_or_b32 exec_lo, exec_lo, s26
	s_and_saveexec_b32 s25, s7
	s_cbranch_execnz .LBB6_9694
	s_branch .LBB6_9695
.LBB6_10334:                            ;   in Loop: Header=BB6_9048 Depth=2
	s_mov_b32 s7, -1
	s_mov_b32 s27, exec_lo
                                        ; implicit-def: $sgpr25
	v_cmpx_eq_u16_e64 0x80, v147
; %bb.10335:                            ;   in Loop: Header=BB6_9048 Depth=2
	s_mov_b32 s25, 0x7f800001
	s_xor_b32 s7, exec_lo, -1
; %bb.10336:                            ;   in Loop: Header=BB6_9048 Depth=2
	s_or_b32 exec_lo, exec_lo, s27
	s_delay_alu instid0(SALU_CYCLE_1)
	s_and_b32 s7, s7, exec_lo
                                        ; implicit-def: $vgpr147
	s_or_saveexec_b32 s26, s26
	v_mov_b32_e32 v150, s25
	s_xor_b32 exec_lo, exec_lo, s26
	s_cbranch_execz .LBB6_9700
.LBB6_10337:                            ;   in Loop: Header=BB6_9048 Depth=2
	v_cmp_ne_u16_e64 vcc_lo, 0, v147
	v_mov_b32_e32 v150, 0
	s_and_not1_b32 s7, s7, exec_lo
	s_delay_alu instid0(VALU_DEP_2) | instskip(NEXT) | instid1(SALU_CYCLE_1)
	s_and_b32 s25, vcc_lo, exec_lo
	s_or_b32 s7, s7, s25
	s_or_b32 exec_lo, exec_lo, s26
	s_and_saveexec_b32 s25, s7
	s_cbranch_execnz .LBB6_9701
	s_branch .LBB6_9702
.LBB6_10338:                            ;   in Loop: Header=BB6_9048 Depth=2
	s_mov_b32 s7, -1
	s_mov_b32 s27, exec_lo
                                        ; implicit-def: $sgpr25
	v_cmpx_eq_u16_e64 0x80, v147
; %bb.10339:                            ;   in Loop: Header=BB6_9048 Depth=2
	s_mov_b32 s25, 0x7f800001
	s_xor_b32 s7, exec_lo, -1
; %bb.10340:                            ;   in Loop: Header=BB6_9048 Depth=2
	s_or_b32 exec_lo, exec_lo, s27
	s_delay_alu instid0(SALU_CYCLE_1)
	s_and_b32 s7, s7, exec_lo
                                        ; implicit-def: $vgpr147
	s_or_saveexec_b32 s26, s26
	v_mov_b32_e32 v144, s25
	s_xor_b32 exec_lo, exec_lo, s26
	s_cbranch_execz .LBB6_9704
.LBB6_10341:                            ;   in Loop: Header=BB6_9048 Depth=2
	v_cmp_ne_u16_e64 vcc_lo, 0, v147
	v_mov_b32_e32 v144, 0
	s_and_not1_b32 s7, s7, exec_lo
	s_delay_alu instid0(VALU_DEP_2) | instskip(NEXT) | instid1(SALU_CYCLE_1)
	s_and_b32 s25, vcc_lo, exec_lo
	s_or_b32 s7, s7, s25
	s_or_b32 exec_lo, exec_lo, s26
	s_and_saveexec_b32 s25, s7
	s_cbranch_execnz .LBB6_9705
	s_branch .LBB6_9706
.LBB6_10342:                            ;   in Loop: Header=BB6_9048 Depth=2
	s_mov_b32 s25, -1
	s_mov_b32 s27, exec_lo
                                        ; implicit-def: $sgpr26
	v_cmpx_eq_u16_e64 0x80, v144
; %bb.10343:                            ;   in Loop: Header=BB6_9048 Depth=2
	s_mov_b32 s26, 0x7f800001
	s_xor_b32 s25, exec_lo, -1
; %bb.10344:                            ;   in Loop: Header=BB6_9048 Depth=2
	s_or_b32 exec_lo, exec_lo, s27
	s_delay_alu instid0(SALU_CYCLE_1)
	s_and_b32 s25, s25, exec_lo
	s_or_saveexec_b32 s7, s7
	v_mov_b32_e32 v147, s26
	s_xor_b32 exec_lo, exec_lo, s7
	s_cbranch_execz .LBB6_9718
.LBB6_10345:                            ;   in Loop: Header=BB6_9048 Depth=2
	v_cmp_ne_u16_e64 vcc_lo, 0, v144
	v_mov_b32_e32 v147, 0
	s_and_not1_b32 s25, s25, exec_lo
	s_delay_alu instid0(VALU_DEP_2) | instskip(NEXT) | instid1(SALU_CYCLE_1)
	s_and_b32 s26, vcc_lo, exec_lo
	s_or_b32 s25, s25, s26
	s_or_b32 exec_lo, exec_lo, s7
	s_and_saveexec_b32 s7, s25
	s_cbranch_execnz .LBB6_9719
	s_branch .LBB6_9720
.LBB6_10346:                            ;   in Loop: Header=BB6_9048 Depth=2
	s_mov_b32 s7, -1
	s_mov_b32 s27, exec_lo
                                        ; implicit-def: $sgpr25
	v_cmpx_eq_u16_e64 0x80, v161
; %bb.10347:                            ;   in Loop: Header=BB6_9048 Depth=2
	s_mov_b32 s25, 0x7f800001
	s_xor_b32 s7, exec_lo, -1
; %bb.10348:                            ;   in Loop: Header=BB6_9048 Depth=2
	s_or_b32 exec_lo, exec_lo, s27
	s_delay_alu instid0(SALU_CYCLE_1)
	s_and_b32 s7, s7, exec_lo
                                        ; implicit-def: $vgpr161
	s_or_saveexec_b32 s26, s26
	v_mov_b32_e32 v150, s25
	s_xor_b32 exec_lo, exec_lo, s26
	s_cbranch_execz .LBB6_9722
.LBB6_10349:                            ;   in Loop: Header=BB6_9048 Depth=2
	v_cmp_ne_u16_e64 vcc_lo, 0, v161
	v_mov_b32_e32 v150, 0
	s_and_not1_b32 s7, s7, exec_lo
	s_delay_alu instid0(VALU_DEP_2) | instskip(NEXT) | instid1(SALU_CYCLE_1)
	s_and_b32 s25, vcc_lo, exec_lo
	s_or_b32 s7, s7, s25
	s_or_b32 exec_lo, exec_lo, s26
	s_and_saveexec_b32 s25, s7
	s_cbranch_execnz .LBB6_9723
	s_branch .LBB6_9724
.LBB6_10350:                            ;   in Loop: Header=BB6_9048 Depth=2
	s_mov_b32 s7, -1
	s_mov_b32 s27, exec_lo
                                        ; implicit-def: $sgpr25
	v_cmpx_eq_u16_e64 0x80, v144
; %bb.10351:                            ;   in Loop: Header=BB6_9048 Depth=2
	s_mov_b32 s25, 0x7f800001
	s_xor_b32 s7, exec_lo, -1
; %bb.10352:                            ;   in Loop: Header=BB6_9048 Depth=2
	s_or_b32 exec_lo, exec_lo, s27
	s_delay_alu instid0(SALU_CYCLE_1)
	s_and_b32 s7, s7, exec_lo
                                        ; implicit-def: $vgpr144
	s_or_saveexec_b32 s26, s26
	v_mov_b32_e32 v147, s25
	s_xor_b32 exec_lo, exec_lo, s26
	s_cbranch_execz .LBB6_9729
.LBB6_10353:                            ;   in Loop: Header=BB6_9048 Depth=2
	v_cmp_ne_u16_e64 vcc_lo, 0, v144
	v_mov_b32_e32 v147, 0
	s_and_not1_b32 s7, s7, exec_lo
	s_delay_alu instid0(VALU_DEP_2) | instskip(NEXT) | instid1(SALU_CYCLE_1)
	s_and_b32 s25, vcc_lo, exec_lo
	s_or_b32 s7, s7, s25
	s_or_b32 exec_lo, exec_lo, s26
	s_and_saveexec_b32 s25, s7
	s_cbranch_execnz .LBB6_9730
	s_branch .LBB6_9731
.LBB6_10354:                            ;   in Loop: Header=BB6_9048 Depth=2
	s_mov_b32 s7, -1
	s_mov_b32 s27, exec_lo
                                        ; implicit-def: $sgpr25
	v_cmpx_eq_u16_e64 0x80, v144
; %bb.10355:                            ;   in Loop: Header=BB6_9048 Depth=2
	s_mov_b32 s25, 0x7f800001
	s_xor_b32 s7, exec_lo, -1
; %bb.10356:                            ;   in Loop: Header=BB6_9048 Depth=2
	s_or_b32 exec_lo, exec_lo, s27
	s_delay_alu instid0(SALU_CYCLE_1)
	s_and_b32 s7, s7, exec_lo
                                        ; implicit-def: $vgpr144
	s_or_saveexec_b32 s26, s26
	v_mov_b32_e32 v98, s25
	s_xor_b32 exec_lo, exec_lo, s26
	s_cbranch_execz .LBB6_9733
.LBB6_10357:                            ;   in Loop: Header=BB6_9048 Depth=2
	v_cmp_ne_u16_e64 vcc_lo, 0, v144
	v_mov_b32_e32 v98, 0
	s_and_not1_b32 s7, s7, exec_lo
	s_delay_alu instid0(VALU_DEP_2) | instskip(NEXT) | instid1(SALU_CYCLE_1)
	s_and_b32 s25, vcc_lo, exec_lo
	s_or_b32 s7, s7, s25
	s_or_b32 exec_lo, exec_lo, s26
	s_and_saveexec_b32 s25, s7
	s_cbranch_execnz .LBB6_9734
	s_branch .LBB6_9735
.LBB6_10358:                            ;   in Loop: Header=BB6_9048 Depth=2
	s_mov_b32 s25, -1
	s_mov_b32 s27, exec_lo
                                        ; implicit-def: $sgpr26
	v_cmpx_eq_u16_e32 0x80, v98
; %bb.10359:                            ;   in Loop: Header=BB6_9048 Depth=2
	s_mov_b32 s26, 0x7f800001
	s_xor_b32 s25, exec_lo, -1
; %bb.10360:                            ;   in Loop: Header=BB6_9048 Depth=2
	s_or_b32 exec_lo, exec_lo, s27
	s_delay_alu instid0(SALU_CYCLE_1)
	s_and_b32 s25, s25, exec_lo
	s_or_saveexec_b32 s7, s7
	v_mov_b32_e32 v144, s26
	s_xor_b32 exec_lo, exec_lo, s7
	s_cbranch_execz .LBB6_9747
.LBB6_10361:                            ;   in Loop: Header=BB6_9048 Depth=2
	v_cmp_ne_u16_e32 vcc_lo, 0, v98
	v_mov_b32_e32 v144, 0
	s_and_not1_b32 s25, s25, exec_lo
	s_and_b32 s26, vcc_lo, exec_lo
	s_delay_alu instid0(SALU_CYCLE_1)
	s_or_b32 s25, s25, s26
	s_or_b32 exec_lo, exec_lo, s7
	s_and_saveexec_b32 s7, s25
	s_cbranch_execnz .LBB6_9748
	s_branch .LBB6_9749
.LBB6_10362:                            ;   in Loop: Header=BB6_9048 Depth=2
	s_mov_b32 s7, -1
	s_mov_b32 s27, exec_lo
                                        ; implicit-def: $sgpr25
	v_cmpx_eq_u16_e64 0x80, v150
; %bb.10363:                            ;   in Loop: Header=BB6_9048 Depth=2
	s_mov_b32 s25, 0x7f800001
	s_xor_b32 s7, exec_lo, -1
; %bb.10364:                            ;   in Loop: Header=BB6_9048 Depth=2
	s_or_b32 exec_lo, exec_lo, s27
	s_delay_alu instid0(SALU_CYCLE_1)
	s_and_b32 s7, s7, exec_lo
                                        ; implicit-def: $vgpr150
	s_or_saveexec_b32 s26, s26
	v_mov_b32_e32 v147, s25
	s_xor_b32 exec_lo, exec_lo, s26
	s_cbranch_execz .LBB6_9751
.LBB6_10365:                            ;   in Loop: Header=BB6_9048 Depth=2
	v_cmp_ne_u16_e64 vcc_lo, 0, v150
	v_mov_b32_e32 v147, 0
	s_and_not1_b32 s7, s7, exec_lo
	s_delay_alu instid0(VALU_DEP_2) | instskip(NEXT) | instid1(SALU_CYCLE_1)
	s_and_b32 s25, vcc_lo, exec_lo
	s_or_b32 s7, s7, s25
	s_or_b32 exec_lo, exec_lo, s26
	s_and_saveexec_b32 s25, s7
	s_cbranch_execnz .LBB6_9752
	s_branch .LBB6_9753
.LBB6_10366:                            ;   in Loop: Header=BB6_9048 Depth=2
	s_mov_b32 s7, -1
	s_mov_b32 s27, exec_lo
                                        ; implicit-def: $sgpr25
	v_cmpx_eq_u16_e32 0x80, v98
; %bb.10367:                            ;   in Loop: Header=BB6_9048 Depth=2
	s_mov_b32 s25, 0x7f800001
	s_xor_b32 s7, exec_lo, -1
; %bb.10368:                            ;   in Loop: Header=BB6_9048 Depth=2
	s_or_b32 exec_lo, exec_lo, s27
	s_delay_alu instid0(SALU_CYCLE_1)
	s_and_b32 s7, s7, exec_lo
                                        ; implicit-def: $vgpr98
	s_or_saveexec_b32 s26, s26
	v_mov_b32_e32 v144, s25
	s_xor_b32 exec_lo, exec_lo, s26
	s_cbranch_execz .LBB6_9758
.LBB6_10369:                            ;   in Loop: Header=BB6_9048 Depth=2
	v_cmp_ne_u16_e32 vcc_lo, 0, v98
	v_mov_b32_e32 v144, 0
	s_and_not1_b32 s7, s7, exec_lo
	s_and_b32 s25, vcc_lo, exec_lo
	s_delay_alu instid0(SALU_CYCLE_1)
	s_or_b32 s7, s7, s25
	s_or_b32 exec_lo, exec_lo, s26
	s_and_saveexec_b32 s25, s7
	s_cbranch_execnz .LBB6_9759
	s_branch .LBB6_9760
.LBB6_10370:                            ;   in Loop: Header=BB6_9048 Depth=2
	s_mov_b32 s7, -1
	s_mov_b32 s27, exec_lo
                                        ; implicit-def: $sgpr25
	v_cmpx_eq_u16_e32 0x80, v98
; %bb.10371:                            ;   in Loop: Header=BB6_9048 Depth=2
	s_mov_b32 s25, 0x7f800001
	s_xor_b32 s7, exec_lo, -1
; %bb.10372:                            ;   in Loop: Header=BB6_9048 Depth=2
	s_or_b32 exec_lo, exec_lo, s27
	s_delay_alu instid0(SALU_CYCLE_1)
	s_and_b32 s7, s7, exec_lo
                                        ; implicit-def: $vgpr98
	s_or_saveexec_b32 s26, s26
	v_mov_b32_e32 v86, s25
	s_xor_b32 exec_lo, exec_lo, s26
	s_cbranch_execz .LBB6_9762
.LBB6_10373:                            ;   in Loop: Header=BB6_9048 Depth=2
	v_cmp_ne_u16_e32 vcc_lo, 0, v98
	v_mov_b32_e32 v86, 0
	s_and_not1_b32 s7, s7, exec_lo
	s_and_b32 s25, vcc_lo, exec_lo
	s_delay_alu instid0(SALU_CYCLE_1)
	s_or_b32 s7, s7, s25
	s_or_b32 exec_lo, exec_lo, s26
	s_and_saveexec_b32 s25, s7
	s_cbranch_execnz .LBB6_9763
	s_branch .LBB6_9764
.LBB6_10374:                            ;   in Loop: Header=BB6_9048 Depth=2
	s_mov_b32 s25, -1
	s_mov_b32 s27, exec_lo
                                        ; implicit-def: $sgpr26
	v_cmpx_eq_u16_e32 0x80, v86
; %bb.10375:                            ;   in Loop: Header=BB6_9048 Depth=2
	s_mov_b32 s26, 0x7f800001
	s_xor_b32 s25, exec_lo, -1
; %bb.10376:                            ;   in Loop: Header=BB6_9048 Depth=2
	s_or_b32 exec_lo, exec_lo, s27
	s_delay_alu instid0(SALU_CYCLE_1)
	s_and_b32 s25, s25, exec_lo
	s_or_saveexec_b32 s7, s7
	v_mov_b32_e32 v98, s26
	s_xor_b32 exec_lo, exec_lo, s7
	s_cbranch_execz .LBB6_9776
.LBB6_10377:                            ;   in Loop: Header=BB6_9048 Depth=2
	v_cmp_ne_u16_e32 vcc_lo, 0, v86
	v_mov_b32_e32 v98, 0
	s_and_not1_b32 s25, s25, exec_lo
	s_and_b32 s26, vcc_lo, exec_lo
	s_delay_alu instid0(SALU_CYCLE_1)
	s_or_b32 s25, s25, s26
	s_or_b32 exec_lo, exec_lo, s7
	s_and_saveexec_b32 s7, s25
	s_cbranch_execnz .LBB6_9777
	s_branch .LBB6_9778
.LBB6_10378:                            ;   in Loop: Header=BB6_9048 Depth=2
	s_mov_b32 s7, -1
	s_mov_b32 s27, exec_lo
                                        ; implicit-def: $sgpr25
	v_cmpx_eq_u16_e64 0x80, v147
; %bb.10379:                            ;   in Loop: Header=BB6_9048 Depth=2
	s_mov_b32 s25, 0x7f800001
	s_xor_b32 s7, exec_lo, -1
; %bb.10380:                            ;   in Loop: Header=BB6_9048 Depth=2
	s_or_b32 exec_lo, exec_lo, s27
	s_delay_alu instid0(SALU_CYCLE_1)
	s_and_b32 s7, s7, exec_lo
                                        ; implicit-def: $vgpr147
	s_or_saveexec_b32 s26, s26
	v_mov_b32_e32 v144, s25
	s_xor_b32 exec_lo, exec_lo, s26
	s_cbranch_execz .LBB6_9780
.LBB6_10381:                            ;   in Loop: Header=BB6_9048 Depth=2
	v_cmp_ne_u16_e64 vcc_lo, 0, v147
	v_mov_b32_e32 v144, 0
	s_and_not1_b32 s7, s7, exec_lo
	s_delay_alu instid0(VALU_DEP_2) | instskip(NEXT) | instid1(SALU_CYCLE_1)
	s_and_b32 s25, vcc_lo, exec_lo
	s_or_b32 s7, s7, s25
	s_or_b32 exec_lo, exec_lo, s26
	s_and_saveexec_b32 s25, s7
	s_cbranch_execnz .LBB6_9781
	s_branch .LBB6_9782
.LBB6_10382:                            ;   in Loop: Header=BB6_9048 Depth=2
	s_mov_b32 s7, -1
	s_mov_b32 s27, exec_lo
                                        ; implicit-def: $sgpr25
	v_cmpx_eq_u16_e32 0x80, v86
; %bb.10383:                            ;   in Loop: Header=BB6_9048 Depth=2
	s_mov_b32 s25, 0x7f800001
	s_xor_b32 s7, exec_lo, -1
; %bb.10384:                            ;   in Loop: Header=BB6_9048 Depth=2
	s_or_b32 exec_lo, exec_lo, s27
	s_delay_alu instid0(SALU_CYCLE_1)
	s_and_b32 s7, s7, exec_lo
                                        ; implicit-def: $vgpr86
	s_or_saveexec_b32 s26, s26
	v_mov_b32_e32 v98, s25
	s_xor_b32 exec_lo, exec_lo, s26
	s_cbranch_execz .LBB6_9787
.LBB6_10385:                            ;   in Loop: Header=BB6_9048 Depth=2
	v_cmp_ne_u16_e32 vcc_lo, 0, v86
	v_mov_b32_e32 v98, 0
	s_and_not1_b32 s7, s7, exec_lo
	s_and_b32 s25, vcc_lo, exec_lo
	s_delay_alu instid0(SALU_CYCLE_1)
	s_or_b32 s7, s7, s25
	s_or_b32 exec_lo, exec_lo, s26
	s_and_saveexec_b32 s25, s7
	s_cbranch_execnz .LBB6_9788
	s_branch .LBB6_9789
.LBB6_10386:                            ;   in Loop: Header=BB6_9048 Depth=2
	s_mov_b32 s7, -1
	s_mov_b32 s27, exec_lo
                                        ; implicit-def: $sgpr25
	v_cmpx_eq_u16_e32 0x80, v86
; %bb.10387:                            ;   in Loop: Header=BB6_9048 Depth=2
	s_mov_b32 s25, 0x7f800001
	s_xor_b32 s7, exec_lo, -1
; %bb.10388:                            ;   in Loop: Header=BB6_9048 Depth=2
	s_or_b32 exec_lo, exec_lo, s27
	s_delay_alu instid0(SALU_CYCLE_1)
	s_and_b32 s7, s7, exec_lo
                                        ; implicit-def: $vgpr86
	s_or_saveexec_b32 s26, s26
	v_mov_b32_e32 v50, s25
	s_xor_b32 exec_lo, exec_lo, s26
	s_cbranch_execz .LBB6_9791
.LBB6_10389:                            ;   in Loop: Header=BB6_9048 Depth=2
	v_cmp_ne_u16_e32 vcc_lo, 0, v86
	v_mov_b32_e32 v50, 0
	s_and_not1_b32 s7, s7, exec_lo
	s_and_b32 s25, vcc_lo, exec_lo
	s_delay_alu instid0(SALU_CYCLE_1)
	s_or_b32 s7, s7, s25
	s_or_b32 exec_lo, exec_lo, s26
	s_and_saveexec_b32 s25, s7
	s_cbranch_execnz .LBB6_9792
	s_branch .LBB6_9793
.LBB6_10390:                            ;   in Loop: Header=BB6_9048 Depth=2
	s_mov_b32 s25, -1
	s_mov_b32 s27, exec_lo
                                        ; implicit-def: $sgpr26
	v_cmpx_eq_u16_e32 0x80, v50
; %bb.10391:                            ;   in Loop: Header=BB6_9048 Depth=2
	s_mov_b32 s26, 0x7f800001
	s_xor_b32 s25, exec_lo, -1
; %bb.10392:                            ;   in Loop: Header=BB6_9048 Depth=2
	s_or_b32 exec_lo, exec_lo, s27
	s_delay_alu instid0(SALU_CYCLE_1)
	s_and_b32 s25, s25, exec_lo
	s_or_saveexec_b32 s7, s7
	v_mov_b32_e32 v86, s26
	s_xor_b32 exec_lo, exec_lo, s7
	s_cbranch_execz .LBB6_9805
.LBB6_10393:                            ;   in Loop: Header=BB6_9048 Depth=2
	v_cmp_ne_u16_e32 vcc_lo, 0, v50
	v_mov_b32_e32 v86, 0
	s_and_not1_b32 s25, s25, exec_lo
	s_and_b32 s26, vcc_lo, exec_lo
	s_delay_alu instid0(SALU_CYCLE_1)
	s_or_b32 s25, s25, s26
	s_or_b32 exec_lo, exec_lo, s7
	s_and_saveexec_b32 s7, s25
	s_cbranch_execnz .LBB6_9806
	s_branch .LBB6_9807
.LBB6_10394:                            ;   in Loop: Header=BB6_9048 Depth=2
	s_mov_b32 s7, -1
	s_mov_b32 s27, exec_lo
                                        ; implicit-def: $sgpr25
	v_cmpx_eq_u16_e64 0x80, v144
; %bb.10395:                            ;   in Loop: Header=BB6_9048 Depth=2
	s_mov_b32 s25, 0x7f800001
	s_xor_b32 s7, exec_lo, -1
; %bb.10396:                            ;   in Loop: Header=BB6_9048 Depth=2
	s_or_b32 exec_lo, exec_lo, s27
	s_delay_alu instid0(SALU_CYCLE_1)
	s_and_b32 s7, s7, exec_lo
                                        ; implicit-def: $vgpr144
	s_or_saveexec_b32 s26, s26
	v_mov_b32_e32 v98, s25
	s_xor_b32 exec_lo, exec_lo, s26
	s_cbranch_execz .LBB6_9809
.LBB6_10397:                            ;   in Loop: Header=BB6_9048 Depth=2
	v_cmp_ne_u16_e64 vcc_lo, 0, v144
	v_mov_b32_e32 v98, 0
	s_and_not1_b32 s7, s7, exec_lo
	s_delay_alu instid0(VALU_DEP_2) | instskip(NEXT) | instid1(SALU_CYCLE_1)
	s_and_b32 s25, vcc_lo, exec_lo
	s_or_b32 s7, s7, s25
	s_or_b32 exec_lo, exec_lo, s26
	s_and_saveexec_b32 s25, s7
	s_cbranch_execnz .LBB6_9810
	s_branch .LBB6_9811
.LBB6_10398:                            ;   in Loop: Header=BB6_9048 Depth=2
	s_mov_b32 s7, -1
	s_mov_b32 s27, exec_lo
                                        ; implicit-def: $sgpr25
	v_cmpx_eq_u16_e32 0x80, v50
; %bb.10399:                            ;   in Loop: Header=BB6_9048 Depth=2
	s_mov_b32 s25, 0x7f800001
	s_xor_b32 s7, exec_lo, -1
; %bb.10400:                            ;   in Loop: Header=BB6_9048 Depth=2
	s_or_b32 exec_lo, exec_lo, s27
	s_delay_alu instid0(SALU_CYCLE_1)
	s_and_b32 s7, s7, exec_lo
                                        ; implicit-def: $vgpr50
	s_or_saveexec_b32 s26, s26
	v_mov_b32_e32 v86, s25
	s_xor_b32 exec_lo, exec_lo, s26
	s_cbranch_execz .LBB6_9816
.LBB6_10401:                            ;   in Loop: Header=BB6_9048 Depth=2
	v_cmp_ne_u16_e32 vcc_lo, 0, v50
	v_mov_b32_e32 v86, 0
	s_and_not1_b32 s7, s7, exec_lo
	s_and_b32 s25, vcc_lo, exec_lo
	s_delay_alu instid0(SALU_CYCLE_1)
	s_or_b32 s7, s7, s25
	s_or_b32 exec_lo, exec_lo, s26
	s_and_saveexec_b32 s25, s7
	s_cbranch_execnz .LBB6_9817
	s_branch .LBB6_9818
.LBB6_10402:                            ;   in Loop: Header=BB6_9048 Depth=2
	s_mov_b32 s7, -1
	s_mov_b32 s27, exec_lo
                                        ; implicit-def: $sgpr25
	v_cmpx_eq_u16_e32 0x80, v50
; %bb.10403:                            ;   in Loop: Header=BB6_9048 Depth=2
	s_mov_b32 s25, 0x7f800001
	s_xor_b32 s7, exec_lo, -1
; %bb.10404:                            ;   in Loop: Header=BB6_9048 Depth=2
	s_or_b32 exec_lo, exec_lo, s27
	s_delay_alu instid0(SALU_CYCLE_1)
	s_and_b32 s7, s7, exec_lo
                                        ; implicit-def: $vgpr50
	s_or_saveexec_b32 s26, s26
	v_mov_b32_e32 v39, s25
	s_xor_b32 exec_lo, exec_lo, s26
	s_cbranch_execz .LBB6_9820
.LBB6_10405:                            ;   in Loop: Header=BB6_9048 Depth=2
	v_cmp_ne_u16_e32 vcc_lo, 0, v50
	v_mov_b32_e32 v39, 0
	s_and_not1_b32 s7, s7, exec_lo
	s_and_b32 s25, vcc_lo, exec_lo
	s_delay_alu instid0(SALU_CYCLE_1)
	s_or_b32 s7, s7, s25
	s_or_b32 exec_lo, exec_lo, s26
	s_and_saveexec_b32 s25, s7
	s_cbranch_execnz .LBB6_9821
	s_branch .LBB6_9822
.LBB6_10406:                            ;   in Loop: Header=BB6_9048 Depth=2
	s_mov_b32 s25, -1
	s_mov_b32 s27, exec_lo
                                        ; implicit-def: $sgpr26
	v_cmpx_eq_u16_e32 0x80, v39
; %bb.10407:                            ;   in Loop: Header=BB6_9048 Depth=2
	s_mov_b32 s26, 0x7f800001
	s_xor_b32 s25, exec_lo, -1
; %bb.10408:                            ;   in Loop: Header=BB6_9048 Depth=2
	s_or_b32 exec_lo, exec_lo, s27
	s_delay_alu instid0(SALU_CYCLE_1)
	s_and_b32 s25, s25, exec_lo
	s_or_saveexec_b32 s7, s7
	v_mov_b32_e32 v50, s26
	s_xor_b32 exec_lo, exec_lo, s7
	s_cbranch_execz .LBB6_9834
.LBB6_10409:                            ;   in Loop: Header=BB6_9048 Depth=2
	v_cmp_ne_u16_e32 vcc_lo, 0, v39
	v_mov_b32_e32 v50, 0
	s_and_not1_b32 s25, s25, exec_lo
	s_and_b32 s26, vcc_lo, exec_lo
	s_delay_alu instid0(SALU_CYCLE_1)
	s_or_b32 s25, s25, s26
	s_or_b32 exec_lo, exec_lo, s7
	s_and_saveexec_b32 s7, s25
	s_cbranch_execnz .LBB6_9835
	s_branch .LBB6_9836
.LBB6_10410:                            ;   in Loop: Header=BB6_9048 Depth=2
	s_mov_b32 s7, -1
	s_mov_b32 s27, exec_lo
                                        ; implicit-def: $sgpr25
	v_cmpx_eq_u16_e32 0x80, v98
; %bb.10411:                            ;   in Loop: Header=BB6_9048 Depth=2
	s_mov_b32 s25, 0x7f800001
	s_xor_b32 s7, exec_lo, -1
; %bb.10412:                            ;   in Loop: Header=BB6_9048 Depth=2
	s_or_b32 exec_lo, exec_lo, s27
	s_delay_alu instid0(SALU_CYCLE_1)
	s_and_b32 s7, s7, exec_lo
                                        ; implicit-def: $vgpr98
	s_or_saveexec_b32 s26, s26
	v_mov_b32_e32 v86, s25
	s_xor_b32 exec_lo, exec_lo, s26
	s_cbranch_execz .LBB6_9838
.LBB6_10413:                            ;   in Loop: Header=BB6_9048 Depth=2
	v_cmp_ne_u16_e32 vcc_lo, 0, v98
	v_mov_b32_e32 v86, 0
	s_and_not1_b32 s7, s7, exec_lo
	s_and_b32 s25, vcc_lo, exec_lo
	s_delay_alu instid0(SALU_CYCLE_1)
	s_or_b32 s7, s7, s25
	s_or_b32 exec_lo, exec_lo, s26
	s_and_saveexec_b32 s25, s7
	s_cbranch_execnz .LBB6_9839
	s_branch .LBB6_9840
.LBB6_10414:                            ;   in Loop: Header=BB6_9048 Depth=2
	s_mov_b32 s7, -1
	s_mov_b32 s27, exec_lo
                                        ; implicit-def: $sgpr25
	v_cmpx_eq_u16_e32 0x80, v39
; %bb.10415:                            ;   in Loop: Header=BB6_9048 Depth=2
	s_mov_b32 s25, 0x7f800001
	s_xor_b32 s7, exec_lo, -1
; %bb.10416:                            ;   in Loop: Header=BB6_9048 Depth=2
	s_or_b32 exec_lo, exec_lo, s27
	s_delay_alu instid0(SALU_CYCLE_1)
	s_and_b32 s7, s7, exec_lo
                                        ; implicit-def: $vgpr39
	s_or_saveexec_b32 s26, s26
	v_mov_b32_e32 v50, s25
	s_xor_b32 exec_lo, exec_lo, s26
	s_cbranch_execz .LBB6_9845
.LBB6_10417:                            ;   in Loop: Header=BB6_9048 Depth=2
	v_cmp_ne_u16_e32 vcc_lo, 0, v39
	v_mov_b32_e32 v50, 0
	s_and_not1_b32 s7, s7, exec_lo
	s_and_b32 s25, vcc_lo, exec_lo
	s_delay_alu instid0(SALU_CYCLE_1)
	s_or_b32 s7, s7, s25
	s_or_b32 exec_lo, exec_lo, s26
	s_and_saveexec_b32 s25, s7
	s_cbranch_execnz .LBB6_9846
	s_branch .LBB6_9847
.LBB6_10418:                            ;   in Loop: Header=BB6_9048 Depth=2
	s_mov_b32 s7, -1
	s_mov_b32 s27, exec_lo
                                        ; implicit-def: $sgpr25
	v_cmpx_eq_u16_e32 0x80, v39
; %bb.10419:                            ;   in Loop: Header=BB6_9048 Depth=2
	s_mov_b32 s25, 0x7f800001
	s_xor_b32 s7, exec_lo, -1
; %bb.10420:                            ;   in Loop: Header=BB6_9048 Depth=2
	s_or_b32 exec_lo, exec_lo, s27
	s_delay_alu instid0(SALU_CYCLE_1)
	s_and_b32 s7, s7, exec_lo
                                        ; implicit-def: $vgpr39
	s_or_saveexec_b32 s26, s26
	v_mov_b32_e32 v36, s25
	s_xor_b32 exec_lo, exec_lo, s26
	s_cbranch_execz .LBB6_9849
.LBB6_10421:                            ;   in Loop: Header=BB6_9048 Depth=2
	v_cmp_ne_u16_e32 vcc_lo, 0, v39
	v_mov_b32_e32 v36, 0
	s_and_not1_b32 s7, s7, exec_lo
	s_and_b32 s25, vcc_lo, exec_lo
	s_delay_alu instid0(SALU_CYCLE_1)
	s_or_b32 s7, s7, s25
	s_or_b32 exec_lo, exec_lo, s26
	s_and_saveexec_b32 s25, s7
	s_cbranch_execnz .LBB6_9850
	s_branch .LBB6_9851
.LBB6_10422:                            ;   in Loop: Header=BB6_9048 Depth=2
	s_mov_b32 s25, -1
	s_mov_b32 s27, exec_lo
                                        ; implicit-def: $sgpr26
	v_cmpx_eq_u16_e32 0x80, v36
; %bb.10423:                            ;   in Loop: Header=BB6_9048 Depth=2
	s_mov_b32 s26, 0x7f800001
	s_xor_b32 s25, exec_lo, -1
; %bb.10424:                            ;   in Loop: Header=BB6_9048 Depth=2
	s_or_b32 exec_lo, exec_lo, s27
	s_delay_alu instid0(SALU_CYCLE_1)
	s_and_b32 s25, s25, exec_lo
	s_or_saveexec_b32 s7, s7
	v_mov_b32_e32 v39, s26
	s_xor_b32 exec_lo, exec_lo, s7
	s_cbranch_execz .LBB6_9863
.LBB6_10425:                            ;   in Loop: Header=BB6_9048 Depth=2
	v_cmp_ne_u16_e32 vcc_lo, 0, v36
	v_mov_b32_e32 v39, 0
	s_and_not1_b32 s25, s25, exec_lo
	s_and_b32 s26, vcc_lo, exec_lo
	s_delay_alu instid0(SALU_CYCLE_1)
	s_or_b32 s25, s25, s26
	s_or_b32 exec_lo, exec_lo, s7
	s_and_saveexec_b32 s7, s25
	s_cbranch_execnz .LBB6_9864
	s_branch .LBB6_9865
.LBB6_10426:                            ;   in Loop: Header=BB6_9048 Depth=2
	s_mov_b32 s7, -1
	s_mov_b32 s27, exec_lo
                                        ; implicit-def: $sgpr25
	v_cmpx_eq_u16_e32 0x80, v86
; %bb.10427:                            ;   in Loop: Header=BB6_9048 Depth=2
	s_mov_b32 s25, 0x7f800001
	s_xor_b32 s7, exec_lo, -1
; %bb.10428:                            ;   in Loop: Header=BB6_9048 Depth=2
	s_or_b32 exec_lo, exec_lo, s27
	s_delay_alu instid0(SALU_CYCLE_1)
	s_and_b32 s7, s7, exec_lo
                                        ; implicit-def: $vgpr86
	s_or_saveexec_b32 s26, s26
	v_mov_b32_e32 v50, s25
	s_xor_b32 exec_lo, exec_lo, s26
	s_cbranch_execz .LBB6_9867
.LBB6_10429:                            ;   in Loop: Header=BB6_9048 Depth=2
	v_cmp_ne_u16_e32 vcc_lo, 0, v86
	v_mov_b32_e32 v50, 0
	s_and_not1_b32 s7, s7, exec_lo
	s_and_b32 s25, vcc_lo, exec_lo
	s_delay_alu instid0(SALU_CYCLE_1)
	s_or_b32 s7, s7, s25
	s_or_b32 exec_lo, exec_lo, s26
	s_and_saveexec_b32 s25, s7
	s_cbranch_execnz .LBB6_9868
	s_branch .LBB6_9869
.LBB6_10430:                            ;   in Loop: Header=BB6_9048 Depth=2
	s_mov_b32 s7, -1
	s_mov_b32 s27, exec_lo
                                        ; implicit-def: $sgpr25
	v_cmpx_eq_u16_e32 0x80, v36
; %bb.10431:                            ;   in Loop: Header=BB6_9048 Depth=2
	s_mov_b32 s25, 0x7f800001
	s_xor_b32 s7, exec_lo, -1
; %bb.10432:                            ;   in Loop: Header=BB6_9048 Depth=2
	s_or_b32 exec_lo, exec_lo, s27
	s_delay_alu instid0(SALU_CYCLE_1)
	s_and_b32 s7, s7, exec_lo
                                        ; implicit-def: $vgpr36
	s_or_saveexec_b32 s26, s26
	v_mov_b32_e32 v39, s25
	s_xor_b32 exec_lo, exec_lo, s26
	s_cbranch_execz .LBB6_9874
.LBB6_10433:                            ;   in Loop: Header=BB6_9048 Depth=2
	v_cmp_ne_u16_e32 vcc_lo, 0, v36
	v_mov_b32_e32 v39, 0
	s_and_not1_b32 s7, s7, exec_lo
	s_and_b32 s25, vcc_lo, exec_lo
	s_delay_alu instid0(SALU_CYCLE_1)
	s_or_b32 s7, s7, s25
	s_or_b32 exec_lo, exec_lo, s26
	s_and_saveexec_b32 s25, s7
	s_cbranch_execnz .LBB6_9875
	s_branch .LBB6_9876
.LBB6_10434:                            ;   in Loop: Header=BB6_9048 Depth=2
	s_mov_b32 s7, -1
	s_mov_b32 s27, exec_lo
                                        ; implicit-def: $sgpr25
	v_cmpx_eq_u16_e32 0x80, v36
; %bb.10435:                            ;   in Loop: Header=BB6_9048 Depth=2
	s_mov_b32 s25, 0x7f800001
	s_xor_b32 s7, exec_lo, -1
; %bb.10436:                            ;   in Loop: Header=BB6_9048 Depth=2
	s_or_b32 exec_lo, exec_lo, s27
	s_delay_alu instid0(SALU_CYCLE_1)
	s_and_b32 s7, s7, exec_lo
                                        ; implicit-def: $vgpr36
	s_or_saveexec_b32 s26, s26
	v_mov_b32_e32 v33, s25
	s_xor_b32 exec_lo, exec_lo, s26
	s_cbranch_execz .LBB6_9878
.LBB6_10437:                            ;   in Loop: Header=BB6_9048 Depth=2
	v_cmp_ne_u16_e32 vcc_lo, 0, v36
	v_mov_b32_e32 v33, 0
	s_and_not1_b32 s7, s7, exec_lo
	s_and_b32 s25, vcc_lo, exec_lo
	s_delay_alu instid0(SALU_CYCLE_1)
	s_or_b32 s7, s7, s25
	s_or_b32 exec_lo, exec_lo, s26
	s_and_saveexec_b32 s25, s7
	s_cbranch_execnz .LBB6_9879
	s_branch .LBB6_9880
.LBB6_10438:                            ;   in Loop: Header=BB6_9048 Depth=2
	s_mov_b32 s25, -1
	s_mov_b32 s27, exec_lo
                                        ; implicit-def: $sgpr26
	v_cmpx_eq_u16_e32 0x80, v33
; %bb.10439:                            ;   in Loop: Header=BB6_9048 Depth=2
	s_mov_b32 s26, 0x7f800001
	s_xor_b32 s25, exec_lo, -1
; %bb.10440:                            ;   in Loop: Header=BB6_9048 Depth=2
	s_or_b32 exec_lo, exec_lo, s27
	s_delay_alu instid0(SALU_CYCLE_1)
	s_and_b32 s25, s25, exec_lo
	s_or_saveexec_b32 s7, s7
	v_mov_b32_e32 v36, s26
	s_xor_b32 exec_lo, exec_lo, s7
	s_cbranch_execz .LBB6_9892
.LBB6_10441:                            ;   in Loop: Header=BB6_9048 Depth=2
	v_cmp_ne_u16_e32 vcc_lo, 0, v33
	v_mov_b32_e32 v36, 0
	s_and_not1_b32 s25, s25, exec_lo
	s_and_b32 s26, vcc_lo, exec_lo
	s_delay_alu instid0(SALU_CYCLE_1)
	s_or_b32 s25, s25, s26
	s_or_b32 exec_lo, exec_lo, s7
	s_and_saveexec_b32 s7, s25
	s_cbranch_execnz .LBB6_9893
	s_branch .LBB6_9894
.LBB6_10442:                            ;   in Loop: Header=BB6_9048 Depth=2
	s_mov_b32 s7, -1
	s_mov_b32 s27, exec_lo
                                        ; implicit-def: $sgpr25
	v_cmpx_eq_u16_e32 0x80, v50
; %bb.10443:                            ;   in Loop: Header=BB6_9048 Depth=2
	s_mov_b32 s25, 0x7f800001
	s_xor_b32 s7, exec_lo, -1
; %bb.10444:                            ;   in Loop: Header=BB6_9048 Depth=2
	s_or_b32 exec_lo, exec_lo, s27
	s_delay_alu instid0(SALU_CYCLE_1)
	s_and_b32 s7, s7, exec_lo
                                        ; implicit-def: $vgpr50
	s_or_saveexec_b32 s26, s26
	v_mov_b32_e32 v39, s25
	s_xor_b32 exec_lo, exec_lo, s26
	s_cbranch_execz .LBB6_9896
.LBB6_10445:                            ;   in Loop: Header=BB6_9048 Depth=2
	v_cmp_ne_u16_e32 vcc_lo, 0, v50
	v_mov_b32_e32 v39, 0
	s_and_not1_b32 s7, s7, exec_lo
	s_and_b32 s25, vcc_lo, exec_lo
	s_delay_alu instid0(SALU_CYCLE_1)
	s_or_b32 s7, s7, s25
	s_or_b32 exec_lo, exec_lo, s26
	s_and_saveexec_b32 s25, s7
	s_cbranch_execnz .LBB6_9897
	s_branch .LBB6_9898
.LBB6_10446:                            ;   in Loop: Header=BB6_9048 Depth=2
	s_mov_b32 s7, -1
	s_mov_b32 s27, exec_lo
                                        ; implicit-def: $sgpr25
	v_cmpx_eq_u16_e32 0x80, v33
; %bb.10447:                            ;   in Loop: Header=BB6_9048 Depth=2
	s_mov_b32 s25, 0x7f800001
	s_xor_b32 s7, exec_lo, -1
; %bb.10448:                            ;   in Loop: Header=BB6_9048 Depth=2
	s_or_b32 exec_lo, exec_lo, s27
	s_delay_alu instid0(SALU_CYCLE_1)
	s_and_b32 s7, s7, exec_lo
                                        ; implicit-def: $vgpr33
	s_or_saveexec_b32 s26, s26
	v_mov_b32_e32 v36, s25
	s_xor_b32 exec_lo, exec_lo, s26
	s_cbranch_execz .LBB6_9903
.LBB6_10449:                            ;   in Loop: Header=BB6_9048 Depth=2
	v_cmp_ne_u16_e32 vcc_lo, 0, v33
	v_mov_b32_e32 v36, 0
	s_and_not1_b32 s7, s7, exec_lo
	s_and_b32 s25, vcc_lo, exec_lo
	s_delay_alu instid0(SALU_CYCLE_1)
	s_or_b32 s7, s7, s25
	s_or_b32 exec_lo, exec_lo, s26
	s_and_saveexec_b32 s25, s7
	s_cbranch_execnz .LBB6_9904
	s_branch .LBB6_9905
.LBB6_10450:                            ;   in Loop: Header=BB6_9048 Depth=2
	s_mov_b32 s7, -1
	s_mov_b32 s27, exec_lo
                                        ; implicit-def: $sgpr25
	v_cmpx_eq_u16_e32 0x80, v33
; %bb.10451:                            ;   in Loop: Header=BB6_9048 Depth=2
	s_mov_b32 s25, 0x7f800001
	s_xor_b32 s7, exec_lo, -1
; %bb.10452:                            ;   in Loop: Header=BB6_9048 Depth=2
	s_or_b32 exec_lo, exec_lo, s27
	s_delay_alu instid0(SALU_CYCLE_1)
	s_and_b32 s7, s7, exec_lo
                                        ; implicit-def: $vgpr33
	s_or_saveexec_b32 s26, s26
	v_mov_b32_e32 v28, s25
	s_xor_b32 exec_lo, exec_lo, s26
	s_cbranch_execz .LBB6_9907
.LBB6_10453:                            ;   in Loop: Header=BB6_9048 Depth=2
	v_cmp_ne_u16_e32 vcc_lo, 0, v33
	v_mov_b32_e32 v28, 0
	s_and_not1_b32 s7, s7, exec_lo
	s_and_b32 s25, vcc_lo, exec_lo
	s_delay_alu instid0(SALU_CYCLE_1)
	s_or_b32 s7, s7, s25
	s_or_b32 exec_lo, exec_lo, s26
	s_and_saveexec_b32 s25, s7
	s_cbranch_execnz .LBB6_9908
	s_branch .LBB6_9909
.LBB6_10454:                            ;   in Loop: Header=BB6_9048 Depth=2
	s_mov_b32 s25, -1
	s_mov_b32 s27, exec_lo
                                        ; implicit-def: $sgpr26
	v_cmpx_eq_u16_e32 0x80, v28
; %bb.10455:                            ;   in Loop: Header=BB6_9048 Depth=2
	s_mov_b32 s26, 0x7f800001
	s_xor_b32 s25, exec_lo, -1
; %bb.10456:                            ;   in Loop: Header=BB6_9048 Depth=2
	s_or_b32 exec_lo, exec_lo, s27
	s_delay_alu instid0(SALU_CYCLE_1)
	s_and_b32 s25, s25, exec_lo
	s_or_saveexec_b32 s7, s7
	v_mov_b32_e32 v33, s26
	s_xor_b32 exec_lo, exec_lo, s7
	s_cbranch_execz .LBB6_9921
.LBB6_10457:                            ;   in Loop: Header=BB6_9048 Depth=2
	v_cmp_ne_u16_e32 vcc_lo, 0, v28
	v_mov_b32_e32 v33, 0
	s_and_not1_b32 s25, s25, exec_lo
	s_and_b32 s26, vcc_lo, exec_lo
	s_delay_alu instid0(SALU_CYCLE_1)
	s_or_b32 s25, s25, s26
	s_or_b32 exec_lo, exec_lo, s7
	s_and_saveexec_b32 s7, s25
	s_cbranch_execnz .LBB6_9922
	s_branch .LBB6_9923
.LBB6_10458:                            ;   in Loop: Header=BB6_9048 Depth=2
	s_mov_b32 s7, -1
	s_mov_b32 s27, exec_lo
                                        ; implicit-def: $sgpr25
	v_cmpx_eq_u16_e32 0x80, v39
; %bb.10459:                            ;   in Loop: Header=BB6_9048 Depth=2
	s_mov_b32 s25, 0x7f800001
	s_xor_b32 s7, exec_lo, -1
; %bb.10460:                            ;   in Loop: Header=BB6_9048 Depth=2
	s_or_b32 exec_lo, exec_lo, s27
	s_delay_alu instid0(SALU_CYCLE_1)
	s_and_b32 s7, s7, exec_lo
                                        ; implicit-def: $vgpr39
	s_or_saveexec_b32 s26, s26
	v_mov_b32_e32 v36, s25
	s_xor_b32 exec_lo, exec_lo, s26
	s_cbranch_execz .LBB6_9925
.LBB6_10461:                            ;   in Loop: Header=BB6_9048 Depth=2
	v_cmp_ne_u16_e32 vcc_lo, 0, v39
	v_mov_b32_e32 v36, 0
	s_and_not1_b32 s7, s7, exec_lo
	s_and_b32 s25, vcc_lo, exec_lo
	s_delay_alu instid0(SALU_CYCLE_1)
	s_or_b32 s7, s7, s25
	s_or_b32 exec_lo, exec_lo, s26
	s_and_saveexec_b32 s25, s7
	s_cbranch_execnz .LBB6_9926
	s_branch .LBB6_9927
.LBB6_10462:                            ;   in Loop: Header=BB6_9048 Depth=2
	s_mov_b32 s7, -1
	s_mov_b32 s27, exec_lo
                                        ; implicit-def: $sgpr25
	v_cmpx_eq_u16_e32 0x80, v28
; %bb.10463:                            ;   in Loop: Header=BB6_9048 Depth=2
	s_mov_b32 s25, 0x7f800001
	s_xor_b32 s7, exec_lo, -1
; %bb.10464:                            ;   in Loop: Header=BB6_9048 Depth=2
	s_or_b32 exec_lo, exec_lo, s27
	s_delay_alu instid0(SALU_CYCLE_1)
	s_and_b32 s7, s7, exec_lo
                                        ; implicit-def: $vgpr28
	s_or_saveexec_b32 s26, s26
	v_mov_b32_e32 v33, s25
	s_xor_b32 exec_lo, exec_lo, s26
	s_cbranch_execz .LBB6_9932
.LBB6_10465:                            ;   in Loop: Header=BB6_9048 Depth=2
	v_cmp_ne_u16_e32 vcc_lo, 0, v28
	v_mov_b32_e32 v33, 0
	s_and_not1_b32 s7, s7, exec_lo
	s_and_b32 s25, vcc_lo, exec_lo
	s_delay_alu instid0(SALU_CYCLE_1)
	s_or_b32 s7, s7, s25
	s_or_b32 exec_lo, exec_lo, s26
	s_and_saveexec_b32 s25, s7
	s_cbranch_execnz .LBB6_9933
	s_branch .LBB6_9934
.LBB6_10466:                            ;   in Loop: Header=BB6_9048 Depth=2
	s_mov_b32 s7, -1
	s_mov_b32 s27, exec_lo
                                        ; implicit-def: $sgpr25
	v_cmpx_eq_u16_e32 0x80, v28
; %bb.10467:                            ;   in Loop: Header=BB6_9048 Depth=2
	s_mov_b32 s25, 0x7f800001
	s_xor_b32 s7, exec_lo, -1
; %bb.10468:                            ;   in Loop: Header=BB6_9048 Depth=2
	s_or_b32 exec_lo, exec_lo, s27
	s_delay_alu instid0(SALU_CYCLE_1)
	s_and_b32 s7, s7, exec_lo
                                        ; implicit-def: $vgpr28
	s_or_saveexec_b32 s26, s26
	v_mov_b32_e32 v25, s25
	s_xor_b32 exec_lo, exec_lo, s26
	s_cbranch_execz .LBB6_9936
.LBB6_10469:                            ;   in Loop: Header=BB6_9048 Depth=2
	v_cmp_ne_u16_e32 vcc_lo, 0, v28
	v_mov_b32_e32 v25, 0
	s_and_not1_b32 s7, s7, exec_lo
	s_and_b32 s25, vcc_lo, exec_lo
	s_delay_alu instid0(SALU_CYCLE_1)
	s_or_b32 s7, s7, s25
	s_or_b32 exec_lo, exec_lo, s26
	s_and_saveexec_b32 s25, s7
	s_cbranch_execnz .LBB6_9937
	s_branch .LBB6_9938
.LBB6_10470:                            ;   in Loop: Header=BB6_9048 Depth=2
	s_mov_b32 s25, -1
	s_mov_b32 s27, exec_lo
                                        ; implicit-def: $sgpr26
	v_cmpx_eq_u16_e32 0x80, v25
; %bb.10471:                            ;   in Loop: Header=BB6_9048 Depth=2
	s_mov_b32 s26, 0x7f800001
	s_xor_b32 s25, exec_lo, -1
; %bb.10472:                            ;   in Loop: Header=BB6_9048 Depth=2
	s_or_b32 exec_lo, exec_lo, s27
	s_delay_alu instid0(SALU_CYCLE_1)
	s_and_b32 s25, s25, exec_lo
	s_or_saveexec_b32 s7, s7
	v_mov_b32_e32 v28, s26
	s_xor_b32 exec_lo, exec_lo, s7
	s_cbranch_execz .LBB6_9950
.LBB6_10473:                            ;   in Loop: Header=BB6_9048 Depth=2
	v_cmp_ne_u16_e32 vcc_lo, 0, v25
	v_mov_b32_e32 v28, 0
	s_and_not1_b32 s25, s25, exec_lo
	s_and_b32 s26, vcc_lo, exec_lo
	s_delay_alu instid0(SALU_CYCLE_1)
	s_or_b32 s25, s25, s26
	s_or_b32 exec_lo, exec_lo, s7
	s_and_saveexec_b32 s7, s25
	s_cbranch_execnz .LBB6_9951
	s_branch .LBB6_9952
.LBB6_10474:                            ;   in Loop: Header=BB6_9048 Depth=2
	s_mov_b32 s7, -1
	s_mov_b32 s27, exec_lo
                                        ; implicit-def: $sgpr25
	v_cmpx_eq_u16_e32 0x80, v36
; %bb.10475:                            ;   in Loop: Header=BB6_9048 Depth=2
	s_mov_b32 s25, 0x7f800001
	s_xor_b32 s7, exec_lo, -1
; %bb.10476:                            ;   in Loop: Header=BB6_9048 Depth=2
	s_or_b32 exec_lo, exec_lo, s27
	s_delay_alu instid0(SALU_CYCLE_1)
	s_and_b32 s7, s7, exec_lo
                                        ; implicit-def: $vgpr36
	s_or_saveexec_b32 s26, s26
	v_mov_b32_e32 v33, s25
	s_xor_b32 exec_lo, exec_lo, s26
	s_cbranch_execz .LBB6_9954
.LBB6_10477:                            ;   in Loop: Header=BB6_9048 Depth=2
	v_cmp_ne_u16_e32 vcc_lo, 0, v36
	v_mov_b32_e32 v33, 0
	s_and_not1_b32 s7, s7, exec_lo
	s_and_b32 s25, vcc_lo, exec_lo
	s_delay_alu instid0(SALU_CYCLE_1)
	s_or_b32 s7, s7, s25
	s_or_b32 exec_lo, exec_lo, s26
	s_and_saveexec_b32 s25, s7
	s_cbranch_execnz .LBB6_9955
	s_branch .LBB6_9956
.LBB6_10478:                            ;   in Loop: Header=BB6_9048 Depth=2
	s_mov_b32 s7, -1
	s_mov_b32 s27, exec_lo
                                        ; implicit-def: $sgpr25
	v_cmpx_eq_u16_e32 0x80, v25
; %bb.10479:                            ;   in Loop: Header=BB6_9048 Depth=2
	s_mov_b32 s25, 0x7f800001
	s_xor_b32 s7, exec_lo, -1
; %bb.10480:                            ;   in Loop: Header=BB6_9048 Depth=2
	s_or_b32 exec_lo, exec_lo, s27
	s_delay_alu instid0(SALU_CYCLE_1)
	s_and_b32 s7, s7, exec_lo
                                        ; implicit-def: $vgpr25
	s_or_saveexec_b32 s26, s26
	v_mov_b32_e32 v28, s25
	s_xor_b32 exec_lo, exec_lo, s26
	s_cbranch_execz .LBB6_9961
.LBB6_10481:                            ;   in Loop: Header=BB6_9048 Depth=2
	v_cmp_ne_u16_e32 vcc_lo, 0, v25
	v_mov_b32_e32 v28, 0
	s_and_not1_b32 s7, s7, exec_lo
	s_and_b32 s25, vcc_lo, exec_lo
	s_delay_alu instid0(SALU_CYCLE_1)
	s_or_b32 s7, s7, s25
	s_or_b32 exec_lo, exec_lo, s26
	s_and_saveexec_b32 s25, s7
	s_cbranch_execnz .LBB6_9962
	s_branch .LBB6_9963
.LBB6_10482:                            ;   in Loop: Header=BB6_9048 Depth=2
	s_mov_b32 s7, -1
	s_mov_b32 s27, exec_lo
                                        ; implicit-def: $sgpr25
	v_cmpx_eq_u16_e32 0x80, v25
; %bb.10483:                            ;   in Loop: Header=BB6_9048 Depth=2
	s_mov_b32 s25, 0x7f800001
	s_xor_b32 s7, exec_lo, -1
; %bb.10484:                            ;   in Loop: Header=BB6_9048 Depth=2
	s_or_b32 exec_lo, exec_lo, s27
	s_delay_alu instid0(SALU_CYCLE_1)
	s_and_b32 s7, s7, exec_lo
                                        ; implicit-def: $vgpr25
	s_or_saveexec_b32 s26, s26
	v_mov_b32_e32 v22, s25
	s_xor_b32 exec_lo, exec_lo, s26
	s_cbranch_execz .LBB6_9965
.LBB6_10485:                            ;   in Loop: Header=BB6_9048 Depth=2
	v_cmp_ne_u16_e32 vcc_lo, 0, v25
	v_mov_b32_e32 v22, 0
	s_and_not1_b32 s7, s7, exec_lo
	s_and_b32 s25, vcc_lo, exec_lo
	s_delay_alu instid0(SALU_CYCLE_1)
	s_or_b32 s7, s7, s25
	s_or_b32 exec_lo, exec_lo, s26
	s_and_saveexec_b32 s25, s7
	s_cbranch_execnz .LBB6_9966
	s_branch .LBB6_9967
.LBB6_10486:                            ;   in Loop: Header=BB6_5345 Depth=1
	s_or_b32 exec_lo, exec_lo, s24
.LBB6_10487:                            ;   in Loop: Header=BB6_5345 Depth=1
	s_delay_alu instid0(SALU_CYCLE_1) | instskip(SKIP_1) | instid1(VALU_DEP_1)
	s_or_b32 exec_lo, exec_lo, s22
	v_lshlrev_b32_e32 v10, 10, v20
	v_cmp_ne_u32_e32 vcc_lo, v17, v10
	s_and_b32 exec_lo, exec_lo, vcc_lo
	s_cbranch_execz .LBB6_10537
; %bb.10488:                            ;   in Loop: Header=BB6_5345 Depth=1
	v_ashrrev_i32_e32 v11, 31, v18
	v_lshlrev_b32_e32 v12, 5, v19
	s_delay_alu instid0(VALU_DEP_2) | instskip(NEXT) | instid1(VALU_DEP_1)
	v_lshrrev_b32_e32 v11, 27, v11
	v_add_nc_u32_e32 v11, v18, v11
	s_delay_alu instid0(VALU_DEP_1) | instskip(NEXT) | instid1(VALU_DEP_1)
	v_and_b32_e32 v11, 0xffffffe0, v11
	v_sub_nc_u32_e32 v11, v18, v11
	s_delay_alu instid0(VALU_DEP_1) | instskip(NEXT) | instid1(VALU_DEP_1)
	v_sub_nc_u32_e32 v11, v11, v12
	v_add_nc_u32_e32 v10, v10, v11
	s_delay_alu instid0(VALU_DEP_1) | instskip(NEXT) | instid1(VALU_DEP_1)
	v_sub_nc_u32_e32 v17, v17, v10
	v_cmp_lt_i32_e32 vcc_lo, 0, v17
	s_and_b32 exec_lo, exec_lo, vcc_lo
	s_cbranch_execz .LBB6_10537
; %bb.10489:                            ;   in Loop: Header=BB6_5345 Depth=1
	s_cbranch_execnz .LBB6_11073
; %bb.10490:                            ;   in Loop: Header=BB6_5345 Depth=1
	ds_load_b128 v[11:14], v0
	ds_load_b64 v[18:19], v0
	v_add_nc_u32_e32 v15, v10, v16
	s_bitcmp1_b32 s21, 0
	s_mov_b32 s21, 0
	s_cselect_b32 s22, -1, 0
	s_delay_alu instid0(VALU_DEP_1) | instskip(SKIP_2) | instid1(VALU_DEP_2)
	v_ashrrev_i32_e32 v16, 31, v15
	s_waitcnt lgkmcnt(1)
	v_add_co_u32 v10, vcc_lo, v11, v15
	v_add_co_ci_u32_e32 v11, vcc_lo, v12, v16, vcc_lo
	v_add_co_u32 v12, vcc_lo, v13, v15
	v_add_co_ci_u32_e32 v13, vcc_lo, v14, v16, vcc_lo
	s_waitcnt lgkmcnt(0)
	v_add_co_u32 v14, vcc_lo, v18, v15
	v_add_co_ci_u32_e32 v15, vcc_lo, v19, v16, vcc_lo
	s_branch .LBB6_10494
.LBB6_10491:                            ;   in Loop: Header=BB6_10494 Depth=2
	s_or_b32 exec_lo, exec_lo, s7
	s_delay_alu instid0(VALU_DEP_1) | instskip(NEXT) | instid1(VALU_DEP_2)
	v_lshrrev_b32_e32 v18, 20, v18
	v_cmp_gt_i32_e32 vcc_lo, 16, v16
	v_lshrrev_b32_e32 v19, 24, v20
	v_min_i32_e32 v20, 15, v16
	s_delay_alu instid0(VALU_DEP_2) | instskip(NEXT) | instid1(VALU_DEP_2)
	v_dual_cndmask_b32 v18, 7, v18 :: v_dual_and_b32 v19, 0x80, v19
	v_lshlrev_b32_e32 v20, 3, v20
	s_delay_alu instid0(VALU_DEP_2) | instskip(SKIP_1) | instid1(VALU_DEP_2)
	v_and_b32_e32 v21, 7, v18
	v_or_b32_e32 v16, v16, v18
	v_or3_b32 v18, v20, v19, v21
	s_delay_alu instid0(VALU_DEP_2) | instskip(NEXT) | instid1(VALU_DEP_2)
	v_cmp_ne_u32_e32 vcc_lo, 0, v16
	v_cndmask_b32_e32 v16, 0, v18, vcc_lo
.LBB6_10492:                            ;   in Loop: Header=BB6_10494 Depth=2
	s_or_b32 exec_lo, exec_lo, s24
.LBB6_10493:                            ;   in Loop: Header=BB6_10494 Depth=2
	s_delay_alu instid0(SALU_CYCLE_1)
	s_or_b32 exec_lo, exec_lo, s23
	v_add_co_u32 v10, vcc_lo, v10, v128
	v_sub_nc_u32_e32 v17, v17, v128
	v_add_co_ci_u32_e32 v11, vcc_lo, v11, v131, vcc_lo
	v_add_co_u32 v12, vcc_lo, v12, v128
	v_add_co_ci_u32_e32 v13, vcc_lo, v13, v131, vcc_lo
	flat_store_b8 v[14:15], v16 glc slc dlc
	v_cmp_gt_i32_e32 vcc_lo, 1, v17
	v_add_co_u32 v14, s7, v14, v128
	s_delay_alu instid0(VALU_DEP_1) | instskip(SKIP_1) | instid1(SALU_CYCLE_1)
	v_add_co_ci_u32_e64 v15, s7, v15, v131, s7
	s_or_b32 s21, vcc_lo, s21
	s_and_not1_b32 exec_lo, exec_lo, s21
	s_cbranch_execz .LBB6_10537
.LBB6_10494:                            ;   Parent Loop BB6_5345 Depth=1
                                        ; =>  This Inner Loop Header: Depth=2
	flat_load_u8 v18, v[12:13] slc dlc
	s_waitcnt vmcnt(1) lgkmcnt(2)
	flat_load_u8 v19, v[10:11] slc dlc
	s_waitcnt vmcnt(1) lgkmcnt(1)
	v_and_b32_e32 v16, 7, v18
	v_bfe_u32 v22, v18, 3, 4
	s_delay_alu instid0(VALU_DEP_2) | instskip(NEXT) | instid1(VALU_DEP_2)
	v_clz_i32_u32_e32 v20, v16
	v_cmp_eq_u32_e32 vcc_lo, 0, v22
	s_delay_alu instid0(VALU_DEP_2) | instskip(NEXT) | instid1(VALU_DEP_1)
	v_min_u32_e32 v20, 32, v20
	v_subrev_nc_u32_e32 v21, 28, v20
	v_sub_nc_u32_e32 v20, 29, v20
	s_delay_alu instid0(VALU_DEP_1) | instskip(NEXT) | instid1(VALU_DEP_1)
	v_dual_cndmask_b32 v20, v22, v20 :: v_dual_lshlrev_b32 v21, v21, v18
	v_and_b32_e32 v21, 7, v21
	v_lshlrev_b32_e32 v23, 24, v18
	s_delay_alu instid0(VALU_DEP_3) | instskip(NEXT) | instid1(VALU_DEP_2)
	v_lshl_add_u32 v20, v20, 23, 0x3b800000
	v_dual_cndmask_b32 v16, v16, v21 :: v_dual_and_b32 v21, 0x80000000, v23
	s_and_b32 vcc_lo, exec_lo, s22
	s_delay_alu instid0(VALU_DEP_1) | instskip(NEXT) | instid1(VALU_DEP_1)
	v_lshlrev_b32_e32 v16, 20, v16
	v_or3_b32 v16, v21, v20, v16
	s_cbranch_vccz .LBB6_10504
; %bb.10495:                            ;   in Loop: Header=BB6_10494 Depth=2
	s_waitcnt vmcnt(0) lgkmcnt(0)
	v_and_b32_e32 v21, 0xff, v19
	s_mov_b32 s7, 0
	s_mov_b32 s24, exec_lo
                                        ; implicit-def: $sgpr23
	s_delay_alu instid0(VALU_DEP_1)
	v_cmpx_lt_i16_e32 0x7f, v21
	s_xor_b32 s24, exec_lo, s24
	s_cbranch_execnz .LBB6_10521
; %bb.10496:                            ;   in Loop: Header=BB6_10494 Depth=2
	s_or_saveexec_b32 s24, s24
	v_mov_b32_e32 v20, s23
	s_xor_b32 exec_lo, exec_lo, s24
	s_cbranch_execnz .LBB6_10524
.LBB6_10497:                            ;   in Loop: Header=BB6_10494 Depth=2
	s_or_b32 exec_lo, exec_lo, s24
	s_and_saveexec_b32 s23, s7
	s_cbranch_execz .LBB6_10499
.LBB6_10498:                            ;   in Loop: Header=BB6_10494 Depth=2
	v_lshrrev_b16 v23, 3, v19
	v_lshlrev_b32_e32 v24, 24, v19
	s_delay_alu instid0(VALU_DEP_2) | instskip(NEXT) | instid1(VALU_DEP_1)
	v_and_b32_e32 v23, 15, v23
	v_cmp_eq_u32_e32 vcc_lo, 0, v23
	v_and_b32_e32 v20, 7, v19
	s_delay_alu instid0(VALU_DEP_1) | instskip(NEXT) | instid1(VALU_DEP_1)
	v_clz_i32_u32_e32 v21, v20
	v_min_u32_e32 v21, 32, v21
	s_delay_alu instid0(VALU_DEP_1) | instskip(SKIP_1) | instid1(VALU_DEP_1)
	v_subrev_nc_u32_e32 v22, 28, v21
	v_sub_nc_u32_e32 v21, 29, v21
	v_dual_cndmask_b32 v21, v23, v21 :: v_dual_lshlrev_b32 v22, v22, v19
	s_delay_alu instid0(VALU_DEP_1) | instskip(NEXT) | instid1(VALU_DEP_2)
	v_and_b32_e32 v22, 7, v22
	v_lshl_add_u32 v21, v21, 23, 0x3b800000
	s_delay_alu instid0(VALU_DEP_2) | instskip(SKIP_1) | instid1(VALU_DEP_2)
	v_cndmask_b32_e32 v20, v20, v22, vcc_lo
	v_and_b32_e32 v22, 0x80000000, v24
	v_lshlrev_b32_e32 v20, 20, v20
	s_delay_alu instid0(VALU_DEP_1)
	v_or3_b32 v20, v22, v21, v20
.LBB6_10499:                            ;   in Loop: Header=BB6_10494 Depth=2
	s_or_b32 exec_lo, exec_lo, s23
	v_and_b32_e32 v21, 0xff, v18
	s_mov_b32 s7, 0
	s_mov_b32 s24, exec_lo
                                        ; implicit-def: $sgpr23
	s_delay_alu instid0(VALU_DEP_1)
	v_cmpx_lt_i16_e32 0x7f, v21
	s_xor_b32 s24, exec_lo, s24
	s_cbranch_execnz .LBB6_10525
; %bb.10500:                            ;   in Loop: Header=BB6_10494 Depth=2
	s_or_saveexec_b32 s24, s24
	v_mov_b32_e32 v22, s23
	s_xor_b32 exec_lo, exec_lo, s24
	s_cbranch_execnz .LBB6_10528
.LBB6_10501:                            ;   in Loop: Header=BB6_10494 Depth=2
	s_or_b32 exec_lo, exec_lo, s24
	s_and_saveexec_b32 s23, s7
.LBB6_10502:                            ;   in Loop: Header=BB6_10494 Depth=2
	v_mov_b32_e32 v22, v16
.LBB6_10503:                            ;   in Loop: Header=BB6_10494 Depth=2
	s_or_b32 exec_lo, exec_lo, s23
	s_delay_alu instid0(VALU_DEP_1) | instskip(SKIP_1) | instid1(VALU_DEP_1)
	v_dual_max_f32 v21, v22, v22 :: v_dual_max_f32 v20, v20, v20
	s_mov_b32 s7, 0
	v_max_f32_e32 v20, v20, v21
	s_branch .LBB6_10505
.LBB6_10504:                            ;   in Loop: Header=BB6_10494 Depth=2
	s_mov_b32 s7, -1
                                        ; implicit-def: $vgpr20
.LBB6_10505:                            ;   in Loop: Header=BB6_10494 Depth=2
	s_delay_alu instid0(SALU_CYCLE_1)
	s_and_b32 vcc_lo, exec_lo, s7
	s_cbranch_vccz .LBB6_10515
; %bb.10506:                            ;   in Loop: Header=BB6_10494 Depth=2
	s_waitcnt vmcnt(0) lgkmcnt(0)
	v_and_b32_e32 v21, 0xff, v19
	s_mov_b32 s7, 0
	s_mov_b32 s24, exec_lo
                                        ; implicit-def: $sgpr23
	s_delay_alu instid0(VALU_DEP_1)
	v_cmpx_lt_i16_e32 0x7f, v21
	s_xor_b32 s24, exec_lo, s24
	s_cbranch_execnz .LBB6_10529
; %bb.10507:                            ;   in Loop: Header=BB6_10494 Depth=2
	s_or_saveexec_b32 s24, s24
	v_mov_b32_e32 v20, s23
	s_xor_b32 exec_lo, exec_lo, s24
	s_cbranch_execnz .LBB6_10532
.LBB6_10508:                            ;   in Loop: Header=BB6_10494 Depth=2
	s_or_b32 exec_lo, exec_lo, s24
	s_and_saveexec_b32 s23, s7
	s_cbranch_execz .LBB6_10510
.LBB6_10509:                            ;   in Loop: Header=BB6_10494 Depth=2
	v_lshrrev_b16 v23, 3, v19
	s_delay_alu instid0(VALU_DEP_1) | instskip(NEXT) | instid1(VALU_DEP_1)
	v_and_b32_e32 v23, 15, v23
	v_cmp_eq_u32_e32 vcc_lo, 0, v23
	v_and_b32_e32 v20, 7, v19
	s_delay_alu instid0(VALU_DEP_1) | instskip(NEXT) | instid1(VALU_DEP_1)
	v_clz_i32_u32_e32 v21, v20
	v_min_u32_e32 v21, 32, v21
	s_delay_alu instid0(VALU_DEP_1) | instskip(SKIP_1) | instid1(VALU_DEP_1)
	v_subrev_nc_u32_e32 v22, 28, v21
	v_sub_nc_u32_e32 v21, 29, v21
	v_dual_cndmask_b32 v21, v23, v21 :: v_dual_lshlrev_b32 v22, v22, v19
	v_lshlrev_b32_e32 v19, 24, v19
	s_delay_alu instid0(VALU_DEP_2) | instskip(NEXT) | instid1(VALU_DEP_3)
	v_and_b32_e32 v22, 7, v22
	v_lshl_add_u32 v21, v21, 23, 0x3b800000
	s_delay_alu instid0(VALU_DEP_2) | instskip(NEXT) | instid1(VALU_DEP_1)
	v_dual_cndmask_b32 v20, v20, v22 :: v_dual_and_b32 v19, 0x80000000, v19
	v_lshlrev_b32_e32 v20, 20, v20
	s_delay_alu instid0(VALU_DEP_1)
	v_or3_b32 v20, v19, v21, v20
.LBB6_10510:                            ;   in Loop: Header=BB6_10494 Depth=2
	s_or_b32 exec_lo, exec_lo, s23
	v_and_b32_e32 v18, 0xff, v18
	s_mov_b32 s7, 0
	s_mov_b32 s24, exec_lo
                                        ; implicit-def: $sgpr23
	s_delay_alu instid0(VALU_DEP_1)
	v_cmpx_lt_i16_e32 0x7f, v18
	s_xor_b32 s24, exec_lo, s24
	s_cbranch_execnz .LBB6_10533
; %bb.10511:                            ;   in Loop: Header=BB6_10494 Depth=2
	s_or_saveexec_b32 s24, s24
	v_mov_b32_e32 v19, s23
	s_xor_b32 exec_lo, exec_lo, s24
	s_cbranch_execnz .LBB6_10536
.LBB6_10512:                            ;   in Loop: Header=BB6_10494 Depth=2
	s_or_b32 exec_lo, exec_lo, s24
	s_and_saveexec_b32 s23, s7
.LBB6_10513:                            ;   in Loop: Header=BB6_10494 Depth=2
	v_mov_b32_e32 v19, v16
.LBB6_10514:                            ;   in Loop: Header=BB6_10494 Depth=2
	s_or_b32 exec_lo, exec_lo, s23
	s_delay_alu instid0(VALU_DEP_1) | instskip(SKIP_1) | instid1(VALU_DEP_1)
	v_max_f32_e32 v16, v19, v19
	v_max_f32_e32 v18, v20, v20
	v_min_f32_e32 v20, v18, v16
.LBB6_10515:                            ;   in Loop: Header=BB6_10494 Depth=2
	s_delay_alu instid0(VALU_DEP_1) | instskip(NEXT) | instid1(VALU_DEP_1)
	v_and_b32_e32 v16, 0x7f800000, v20
	v_cmp_ne_u32_e32 vcc_lo, 0x7f800000, v16
	v_mov_b32_e32 v16, 0x80
	s_and_saveexec_b32 s23, vcc_lo
	s_cbranch_execz .LBB6_10493
; %bb.10516:                            ;   in Loop: Header=BB6_10494 Depth=2
	v_mov_b32_e32 v16, 0
	s_mov_b32 s24, exec_lo
	v_cmpx_ne_u32_e32 0, v20
	s_cbranch_execz .LBB6_10492
; %bb.10517:                            ;   in Loop: Header=BB6_10494 Depth=2
	v_bfe_u32 v16, v20, 23, 8
	s_waitcnt vmcnt(0) lgkmcnt(0)
	s_delay_alu instid0(VALU_DEP_1) | instskip(SKIP_1) | instid1(VALU_DEP_2)
	v_sub_nc_u32_e32 v19, 0x78, v16
	v_cmp_gt_u32_e32 vcc_lo, 0x79, v16
	v_dual_cndmask_b32 v19, 0, v19 :: v_dual_and_b32 v18, 0x7fffff, v20
	s_delay_alu instid0(VALU_DEP_1) | instskip(SKIP_2) | instid1(VALU_DEP_4)
	v_or_b32_e32 v21, 0x800000, v18
	v_cmp_eq_u32_e32 vcc_lo, 0, v16
	v_add_nc_u32_e32 v16, 0xffffff89, v16
	v_cndmask_b32_e64 v19, v19, 0x77, vcc_lo
	s_delay_alu instid0(VALU_DEP_4) | instskip(NEXT) | instid1(VALU_DEP_3)
	v_cndmask_b32_e32 v18, v21, v18, vcc_lo
	v_cndmask_b32_e64 v16, v16, 0xffffff8a, vcc_lo
	s_delay_alu instid0(VALU_DEP_3) | instskip(NEXT) | instid1(VALU_DEP_3)
	v_lshl_add_u32 v21, 0x100000, v19, -1
	v_lshrrev_b32_e32 v22, v19, v18
	v_lshlrev_b32_e64 v24, v19, 0x80000
	s_delay_alu instid0(VALU_DEP_4) | instskip(NEXT) | instid1(VALU_DEP_4)
	v_add_nc_u32_e32 v19, v19, v16
	v_and_b32_e32 v18, v21, v18
	s_delay_alu instid0(VALU_DEP_4) | instskip(NEXT) | instid1(VALU_DEP_2)
	v_bfe_u32 v23, v22, 20, 1
	v_cmp_eq_u32_e64 s7, v18, v24
	s_delay_alu instid0(VALU_DEP_2) | instskip(NEXT) | instid1(VALU_DEP_1)
	v_add_nc_u32_e32 v21, -1, v23
	v_cndmask_b32_e64 v18, 0, v21, s7
	v_lshrrev_b32_e32 v21, 23, v22
	s_mov_b32 s7, exec_lo
	s_delay_alu instid0(VALU_DEP_2) | instskip(NEXT) | instid1(VALU_DEP_2)
	v_add_nc_u32_e32 v18, v18, v22
	v_xor_b32_e32 v21, 1, v21
	s_delay_alu instid0(VALU_DEP_2) | instskip(NEXT) | instid1(VALU_DEP_1)
	v_and_b32_e32 v16, 0xfffff, v18
	v_add_nc_u32_e32 v18, v16, v22
                                        ; implicit-def: $vgpr16
	s_delay_alu instid0(VALU_DEP_3)
	v_cmpx_ne_u32_e64 v19, v21
	s_xor_b32 s7, exec_lo, s7
; %bb.10518:                            ;   in Loop: Header=BB6_10494 Depth=2
	s_delay_alu instid0(VALU_DEP_2) | instskip(SKIP_2) | instid1(VALU_DEP_2)
	v_cmp_lt_u32_e32 vcc_lo, 0xffffff, v18
	v_sub_nc_u32_e32 v16, v19, v21
	v_cndmask_b32_e64 v19, 0, 1, vcc_lo
	v_add_co_ci_u32_e32 v16, vcc_lo, 0, v16, vcc_lo
	s_delay_alu instid0(VALU_DEP_2)
	v_lshrrev_b32_e32 v18, v19, v18
; %bb.10519:                            ;   in Loop: Header=BB6_10494 Depth=2
	s_and_not1_saveexec_b32 s7, s7
	s_cbranch_execz .LBB6_10491
; %bb.10520:                            ;   in Loop: Header=BB6_10494 Depth=2
	s_delay_alu instid0(VALU_DEP_1)
	v_bfe_u32 v16, v18, 23, 1
	s_branch .LBB6_10491
.LBB6_10521:                            ;   in Loop: Header=BB6_10494 Depth=2
	s_mov_b32 s7, -1
	s_mov_b32 s25, exec_lo
                                        ; implicit-def: $sgpr23
	v_cmpx_eq_u16_e32 0x80, v21
; %bb.10522:                            ;   in Loop: Header=BB6_10494 Depth=2
	s_mov_b32 s23, 0x7f800001
	s_xor_b32 s7, exec_lo, -1
; %bb.10523:                            ;   in Loop: Header=BB6_10494 Depth=2
	s_or_b32 exec_lo, exec_lo, s25
	s_delay_alu instid0(SALU_CYCLE_1)
	s_and_b32 s7, s7, exec_lo
                                        ; implicit-def: $vgpr21
	s_or_saveexec_b32 s24, s24
	v_mov_b32_e32 v20, s23
	s_xor_b32 exec_lo, exec_lo, s24
	s_cbranch_execz .LBB6_10497
.LBB6_10524:                            ;   in Loop: Header=BB6_10494 Depth=2
	v_cmp_ne_u16_e32 vcc_lo, 0, v21
	v_mov_b32_e32 v20, 0
	s_and_not1_b32 s7, s7, exec_lo
	s_and_b32 s23, vcc_lo, exec_lo
	s_delay_alu instid0(SALU_CYCLE_1)
	s_or_b32 s7, s7, s23
	s_or_b32 exec_lo, exec_lo, s24
	s_and_saveexec_b32 s23, s7
	s_cbranch_execnz .LBB6_10498
	s_branch .LBB6_10499
.LBB6_10525:                            ;   in Loop: Header=BB6_10494 Depth=2
	s_mov_b32 s7, -1
	s_mov_b32 s25, exec_lo
                                        ; implicit-def: $sgpr23
	v_cmpx_eq_u16_e32 0x80, v21
; %bb.10526:                            ;   in Loop: Header=BB6_10494 Depth=2
	s_mov_b32 s23, 0x7f800001
	s_xor_b32 s7, exec_lo, -1
; %bb.10527:                            ;   in Loop: Header=BB6_10494 Depth=2
	s_or_b32 exec_lo, exec_lo, s25
	s_delay_alu instid0(SALU_CYCLE_1)
	s_and_b32 s7, s7, exec_lo
                                        ; implicit-def: $vgpr21
	s_or_saveexec_b32 s24, s24
	v_mov_b32_e32 v22, s23
	s_xor_b32 exec_lo, exec_lo, s24
	s_cbranch_execz .LBB6_10501
.LBB6_10528:                            ;   in Loop: Header=BB6_10494 Depth=2
	v_cmp_ne_u16_e32 vcc_lo, 0, v21
	v_mov_b32_e32 v22, 0
	s_and_not1_b32 s7, s7, exec_lo
	s_and_b32 s23, vcc_lo, exec_lo
	s_delay_alu instid0(SALU_CYCLE_1)
	s_or_b32 s7, s7, s23
	s_or_b32 exec_lo, exec_lo, s24
	s_and_saveexec_b32 s23, s7
	s_cbranch_execnz .LBB6_10502
	s_branch .LBB6_10503
.LBB6_10529:                            ;   in Loop: Header=BB6_10494 Depth=2
	s_mov_b32 s7, -1
	s_mov_b32 s25, exec_lo
                                        ; implicit-def: $sgpr23
	v_cmpx_eq_u16_e32 0x80, v21
; %bb.10530:                            ;   in Loop: Header=BB6_10494 Depth=2
	s_mov_b32 s23, 0x7f800001
	s_xor_b32 s7, exec_lo, -1
; %bb.10531:                            ;   in Loop: Header=BB6_10494 Depth=2
	s_or_b32 exec_lo, exec_lo, s25
	s_delay_alu instid0(SALU_CYCLE_1)
	s_and_b32 s7, s7, exec_lo
                                        ; implicit-def: $vgpr21
	s_or_saveexec_b32 s24, s24
	v_mov_b32_e32 v20, s23
	s_xor_b32 exec_lo, exec_lo, s24
	s_cbranch_execz .LBB6_10508
.LBB6_10532:                            ;   in Loop: Header=BB6_10494 Depth=2
	v_cmp_ne_u16_e32 vcc_lo, 0, v21
	v_mov_b32_e32 v20, 0
	s_and_not1_b32 s7, s7, exec_lo
	s_and_b32 s23, vcc_lo, exec_lo
	s_delay_alu instid0(SALU_CYCLE_1)
	s_or_b32 s7, s7, s23
	s_or_b32 exec_lo, exec_lo, s24
	s_and_saveexec_b32 s23, s7
	s_cbranch_execnz .LBB6_10509
	s_branch .LBB6_10510
.LBB6_10533:                            ;   in Loop: Header=BB6_10494 Depth=2
	s_mov_b32 s7, -1
	s_mov_b32 s25, exec_lo
                                        ; implicit-def: $sgpr23
	v_cmpx_eq_u16_e32 0x80, v18
; %bb.10534:                            ;   in Loop: Header=BB6_10494 Depth=2
	s_mov_b32 s23, 0x7f800001
	s_xor_b32 s7, exec_lo, -1
; %bb.10535:                            ;   in Loop: Header=BB6_10494 Depth=2
	s_or_b32 exec_lo, exec_lo, s25
	s_delay_alu instid0(SALU_CYCLE_1)
	s_and_b32 s7, s7, exec_lo
                                        ; implicit-def: $vgpr18
	s_or_saveexec_b32 s24, s24
	v_mov_b32_e32 v19, s23
	s_xor_b32 exec_lo, exec_lo, s24
	s_cbranch_execz .LBB6_10512
.LBB6_10536:                            ;   in Loop: Header=BB6_10494 Depth=2
	v_cmp_ne_u16_e32 vcc_lo, 0, v18
	v_mov_b32_e32 v19, 0
	s_and_not1_b32 s7, s7, exec_lo
	s_and_b32 s23, vcc_lo, exec_lo
	s_delay_alu instid0(SALU_CYCLE_1)
	s_or_b32 s7, s7, s23
	s_or_b32 exec_lo, exec_lo, s24
	s_and_saveexec_b32 s23, s7
	s_cbranch_execnz .LBB6_10513
	s_branch .LBB6_10514
.LBB6_10537:                            ;   in Loop: Header=BB6_5345 Depth=1
	s_or_b32 exec_lo, exec_lo, s10
	v_cmp_ne_u32_e64 s7, 0, v134
.LBB6_10538:                            ;   in Loop: Header=BB6_5345 Depth=1
	s_and_saveexec_b32 s10, s2
	s_cbranch_execz .LBB6_10560
; %bb.10539:                            ;   in Loop: Header=BB6_5345 Depth=1
	s_and_saveexec_b32 s21, s3
	s_delay_alu instid0(SALU_CYCLE_1)
	s_xor_b32 s21, exec_lo, s21
	s_cbranch_execz .LBB6_10557
; %bb.10540:                            ;   in Loop: Header=BB6_5345 Depth=1
	s_and_saveexec_b32 s22, s4
	s_cbranch_execz .LBB6_10556
; %bb.10541:                            ;   in Loop: Header=BB6_5345 Depth=1
	s_mov_b32 s24, exec_lo
	s_mov_b32 s23, exec_lo
	v_mbcnt_lo_u32_b32 v10, s24, 0
	s_waitcnt vmcnt(0) lgkmcnt(0)
	s_waitcnt_vscnt null, 0x0
	buffer_gl1_inv
	buffer_gl0_inv
	v_cmpx_eq_u32_e32 0, v10
	s_cbranch_execz .LBB6_10543
; %bb.10542:                            ;   in Loop: Header=BB6_5345 Depth=1
	s_bcnt1_i32_b32 s24, s24
	s_delay_alu instid0(SALU_CYCLE_1)
	v_mov_b32_e32 v29, s24
	ds_add_u64 v0, v[29:30]
	s_cbranch_execnz .LBB6_11065
.LBB6_10543:                            ;   in Loop: Header=BB6_5345 Depth=1
	s_or_b32 exec_lo, exec_lo, s23
	s_cbranch_execnz .LBB6_11045
; %bb.10544:                            ;   in Loop: Header=BB6_5345 Depth=1
	ds_load_b64 v[10:11], v0
	v_add_co_u32 v70, vcc_lo, v70, v87
	v_add_co_ci_u32_e32 v71, vcc_lo, 0, v71, vcc_lo
	s_mov_b32 s23, exec_lo
	s_waitcnt lgkmcnt(0)
	s_delay_alu instid0(VALU_DEP_1)
	v_cmpx_lt_u64_e64 v[10:11], v[70:71]
	s_cbranch_execz .LBB6_10555
; %bb.10545:                            ;   in Loop: Header=BB6_5345 Depth=1
	s_mov_b32 s24, 0
	s_mov_b32 s27, 0
                                        ; implicit-def: $sgpr25
                                        ; implicit-def: $sgpr26
	s_branch .LBB6_10547
.LBB6_10546:                            ;   in Loop: Header=BB6_10547 Depth=2
	s_or_b32 exec_lo, exec_lo, vcc_hi
	s_delay_alu instid0(SALU_CYCLE_1) | instskip(NEXT) | instid1(SALU_CYCLE_1)
	s_and_b32 s28, exec_lo, s29
	s_or_b32 s24, s28, s24
	s_and_not1_b32 s25, s25, exec_lo
	s_and_b32 s28, s26, exec_lo
	s_delay_alu instid0(SALU_CYCLE_1)
	s_or_b32 s25, s25, s28
	s_and_not1_b32 exec_lo, exec_lo, s24
	s_cbranch_execz .LBB6_10553
.LBB6_10547:                            ;   Parent Loop BB6_5345 Depth=1
                                        ; =>  This Inner Loop Header: Depth=2
	s_add_i32 s27, s27, 1
                                        ; implicit-def: $sgpr29
	s_delay_alu instid0(SALU_CYCLE_1) | instskip(SKIP_1) | instid1(SALU_CYCLE_1)
	s_cmpk_lg_i32 s27, 0x2710
	s_cselect_b32 s28, -1, 0
	s_and_b32 vcc_lo, exec_lo, s28
	s_cbranch_vccz .LBB6_10551
.LBB6_10548:                            ;   in Loop: Header=BB6_10547 Depth=2
	s_and_not1_b32 s26, s26, exec_lo
	s_and_b32 vcc_lo, s29, exec_lo
	s_mov_b32 s29, -1
	s_or_b32 s26, s26, vcc_lo
	s_and_saveexec_b32 vcc_hi, s28
	s_cbranch_execz .LBB6_10546
; %bb.10549:                            ;   in Loop: Header=BB6_10547 Depth=2
	s_sleep 1
	s_cbranch_execnz .LBB6_11081
; %bb.10550:                            ;   in Loop: Header=BB6_10547 Depth=2
	ds_load_b64 v[10:11], v0
	s_and_not1_b32 s26, s26, exec_lo
	s_waitcnt lgkmcnt(0)
	v_cmp_ge_u64_e32 vcc_lo, v[10:11], v[70:71]
	s_or_not1_b32 s29, vcc_lo, exec_lo
	s_branch .LBB6_10546
.LBB6_10551:                            ;   in Loop: Header=BB6_10547 Depth=2
	s_cbranch_execnz .LBB6_11087
; %bb.10552:                            ;   in Loop: Header=BB6_10547 Depth=2
	ds_load_b64 v[10:11], v0
	s_and_not1_b32 s28, s28, exec_lo
	s_mov_b32 s27, 0
	s_mov_b32 s29, -1
	s_waitcnt lgkmcnt(0)
	flat_load_b32 v10, v[10:11] glc
	s_waitcnt vmcnt(0) lgkmcnt(0)
	buffer_gl1_inv
	buffer_gl0_inv
	v_cmp_eq_u32_e32 vcc_lo, 0, v10
	s_and_b32 vcc_lo, vcc_lo, exec_lo
	s_delay_alu instid0(SALU_CYCLE_1)
	s_or_b32 s28, s28, vcc_lo
	s_branch .LBB6_10548
.LBB6_10553:                            ;   in Loop: Header=BB6_5345 Depth=1
	s_or_b32 exec_lo, exec_lo, s24
	s_and_saveexec_b32 s24, s25
	s_delay_alu instid0(SALU_CYCLE_1)
	s_xor_b32 s24, exec_lo, s24
	s_cbranch_execz .LBB6_10555
; %bb.10554:                            ;   in Loop: Header=BB6_5345 Depth=1
	ds_store_b32 v0, v132
	s_cbranch_execnz .LBB6_11111
.LBB6_10555:                            ;   in Loop: Header=BB6_5345 Depth=1
	s_or_b32 exec_lo, exec_lo, s23
	;;#ASMSTART
	s_wakeup
	;;#ASMEND
.LBB6_10556:                            ;   in Loop: Header=BB6_5345 Depth=1
	s_or_b32 exec_lo, exec_lo, s22
.LBB6_10557:                            ;   in Loop: Header=BB6_5345 Depth=1
	s_and_not1_saveexec_b32 s21, s21
	s_cbranch_execz .LBB6_10559
; %bb.10558:                            ;   in Loop: Header=BB6_5345 Depth=1
	s_waitcnt vmcnt(0) lgkmcnt(0)
	s_waitcnt_vscnt null, 0x0
	buffer_gl1_inv
	buffer_gl0_inv
	s_barrier
.LBB6_10559:                            ;   in Loop: Header=BB6_5345 Depth=1
	s_or_b32 exec_lo, exec_lo, s21
.LBB6_10560:                            ;   in Loop: Header=BB6_5345 Depth=1
	s_delay_alu instid0(SALU_CYCLE_1) | instskip(SKIP_1) | instid1(VALU_DEP_1)
	s_or_b32 exec_lo, exec_lo, s10
	v_and_b32_e32 v10, 16, v103
	v_cmp_ne_u32_e32 vcc_lo, 0, v10
	s_and_b32 s10, vcc_lo, s7
	s_delay_alu instid0(SALU_CYCLE_1)
	s_and_saveexec_b32 s7, s10
	s_cbranch_execz .LBB6_10562
; %bb.10561:                            ;   in Loop: Header=BB6_5345 Depth=1
	s_waitcnt vmcnt(0) lgkmcnt(0)
	s_waitcnt_vscnt null, 0x0
	buffer_gl1_inv
	buffer_gl0_inv
.LBB6_10562:                            ;   in Loop: Header=BB6_5345 Depth=1
	s_or_b32 exec_lo, exec_lo, s7
	v_and_b32_e32 v10, 32, v103
	s_mov_b32 s7, exec_lo
	s_delay_alu instid0(VALU_DEP_1)
	v_cmpx_ne_u32_e32 0, v10
	s_cbranch_execz .LBB6_10564
; %bb.10563:                            ;   in Loop: Header=BB6_5345 Depth=1
	v_add_co_u32 v8, vcc_lo, v8, 1
	v_add_co_ci_u32_e32 v9, vcc_lo, 0, v9, vcc_lo
	s_waitcnt vmcnt(0) lgkmcnt(0)
	s_waitcnt_vscnt null, 0x0
	flat_store_b64 v[64:65], v[8:9]
.LBB6_10564:                            ;   in Loop: Header=BB6_5345 Depth=1
	s_or_b32 exec_lo, exec_lo, s7
	v_mov_b32_e32 v14, v133
.LBB6_10565:                            ;   in Loop: Header=BB6_5345 Depth=1
	s_or_b32 exec_lo, exec_lo, s20
	s_and_saveexec_b32 s10, s19
	s_cbranch_execz .LBB6_10618
; %bb.10566:                            ;   in Loop: Header=BB6_5345 Depth=1
	v_and_b32_e32 v10, 4, v103
	s_mov_b32 s19, -1
	s_mov_b32 s7, exec_lo
	s_delay_alu instid0(VALU_DEP_1)
	v_cmpx_ne_u32_e32 0, v10
	s_cbranch_execz .LBB6_10580
; %bb.10567:                            ;   in Loop: Header=BB6_5345 Depth=1
	s_waitcnt lgkmcnt(0)
	v_add_co_u32 v10, vcc_lo, v8, 1
	v_add_co_ci_u32_e32 v11, vcc_lo, 0, v9, vcc_lo
	v_mov_b32_e32 v12, 1
	s_mov_b32 s19, exec_lo
	s_delay_alu instid0(VALU_DEP_2)
	v_cmpx_lt_u64_e64 v[68:69], v[10:11]
	s_cbranch_execz .LBB6_10579
; %bb.10568:                            ;   in Loop: Header=BB6_5345 Depth=1
	v_mov_b32_e32 v12, 0
	s_mov_b32 s20, 0
                                        ; implicit-def: $sgpr21
	s_branch .LBB6_10572
.LBB6_10569:                            ;   in Loop: Header=BB6_10572 Depth=2
	s_or_b32 exec_lo, exec_lo, s25
	v_mov_b32_e32 v13, 0
	s_or_not1_b32 s24, s24, exec_lo
.LBB6_10570:                            ;   in Loop: Header=BB6_10572 Depth=2
	s_or_b32 exec_lo, exec_lo, s23
	s_delay_alu instid0(VALU_DEP_1) | instskip(SKIP_2) | instid1(SALU_CYCLE_1)
	v_mov_b32_e32 v12, v13
	s_and_not1_b32 s21, s21, exec_lo
	s_and_b32 s23, s24, exec_lo
	s_or_b32 s21, s21, s23
.LBB6_10571:                            ;   in Loop: Header=BB6_10572 Depth=2
	s_or_b32 exec_lo, exec_lo, s22
	s_waitcnt vmcnt(0) lgkmcnt(0)
	v_cmp_ge_u64_e32 vcc_lo, v[68:69], v[10:11]
	s_xor_b32 s22, s21, -1
	s_delay_alu instid0(SALU_CYCLE_1) | instskip(NEXT) | instid1(SALU_CYCLE_1)
	s_or_b32 s22, s22, vcc_lo
	s_and_b32 s22, exec_lo, s22
	s_delay_alu instid0(SALU_CYCLE_1) | instskip(NEXT) | instid1(SALU_CYCLE_1)
	s_or_b32 s20, s22, s20
	s_and_not1_b32 exec_lo, exec_lo, s20
	s_cbranch_execz .LBB6_10578
.LBB6_10572:                            ;   Parent Loop BB6_5345 Depth=1
                                        ; =>  This Inner Loop Header: Depth=2
	s_sleep 1
	flat_load_b64 v[68:69], v[64:65] glc
	v_and_b32_e32 v13, 64, v103
	s_and_not1_b32 s21, s21, exec_lo
	s_mov_b32 s22, exec_lo
	s_delay_alu instid0(VALU_DEP_1)
	v_cmpx_eq_u32_e32 0, v13
	s_cbranch_execz .LBB6_10571
; %bb.10573:                            ;   in Loop: Header=BB6_10572 Depth=2
	v_add_nc_u32_e32 v13, 1, v12
	s_mov_b32 s24, -1
	s_mov_b32 s23, exec_lo
	v_cmpx_lt_i32_e32 0x270e, v12
	s_cbranch_execz .LBB6_10570
; %bb.10574:                            ;   in Loop: Header=BB6_10572 Depth=2
	s_cbranch_execnz .LBB6_10937
; %bb.10575:                            ;   in Loop: Header=BB6_10572 Depth=2
	ds_load_b64 v[12:13], v0
	s_mov_b32 s25, exec_lo
	s_waitcnt vmcnt(0) lgkmcnt(0)
	s_waitcnt_vscnt null, 0x0
	flat_load_b32 v12, v[12:13] glc
	s_waitcnt vmcnt(0) lgkmcnt(0)
	buffer_gl1_inv
	buffer_gl0_inv
	v_cmpx_ne_u32_e32 0, v12
	s_cbranch_execz .LBB6_10569
; %bb.10576:                            ;   in Loop: Header=BB6_10572 Depth=2
	ds_store_b32 v0, v12
	s_cbranch_execnz .LBB6_10971
; %bb.10577:                            ;   in Loop: Header=BB6_10572 Depth=2
	v_or_b32_e32 v103, 64, v103
	s_xor_b32 s24, exec_lo, -1
	s_branch .LBB6_10569
.LBB6_10578:                            ;   in Loop: Header=BB6_5345 Depth=1
	s_or_b32 exec_lo, exec_lo, s20
	v_and_b32_e32 v12, 4, v103
.LBB6_10579:                            ;   in Loop: Header=BB6_5345 Depth=1
	s_or_b32 exec_lo, exec_lo, s19
	s_delay_alu instid0(VALU_DEP_1)
	v_cmp_eq_u32_e32 vcc_lo, 0, v12
	;;#ASMSTART
	s_wakeup
	;;#ASMEND
	s_or_not1_b32 s19, vcc_lo, exec_lo
.LBB6_10580:                            ;   in Loop: Header=BB6_5345 Depth=1
	s_or_b32 exec_lo, exec_lo, s7
	s_xor_b32 s7, s19, -1
	s_delay_alu instid0(SALU_CYCLE_1)
	s_and_saveexec_b32 s19, s7
	s_cbranch_execz .LBB6_10590
; %bb.10581:                            ;   in Loop: Header=BB6_5345 Depth=1
	v_and_b32_e32 v10, 0x100, v103
	s_waitcnt lgkmcnt(0)
	v_and_b32_e32 v15, 7, v8
	s_mov_b32 s7, -1
	s_delay_alu instid0(VALU_DEP_2)
	v_cmp_ne_u32_e32 vcc_lo, 0, v10
                                        ; implicit-def: $vgpr10_vgpr11
	s_and_saveexec_b32 s20, vcc_lo
	s_cbranch_execz .LBB6_10585
; %bb.10582:                            ;   in Loop: Header=BB6_5345 Depth=1
	v_mad_u64_u32 v[12:13], null, v15, 24, v[6:7]
	flat_load_b32 v10, v[12:13]
	s_waitcnt vmcnt(0) lgkmcnt(0)
	v_cmp_ne_u32_e32 vcc_lo, 1, v10
	v_cmp_eq_u32_e64 s7, 1, v10
                                        ; implicit-def: $vgpr10_vgpr11
	s_delay_alu instid0(VALU_DEP_1)
	s_and_saveexec_b32 s21, s7
	s_cbranch_execz .LBB6_10584
; %bb.10583:                            ;   in Loop: Header=BB6_5345 Depth=1
	flat_load_b32 v10, v[12:13] offset:4 glc
	s_waitcnt vmcnt(0) lgkmcnt(0)
	v_ashrrev_i32_e32 v11, 31, v10
.LBB6_10584:                            ;   in Loop: Header=BB6_5345 Depth=1
	s_or_b32 exec_lo, exec_lo, s21
	s_delay_alu instid0(SALU_CYCLE_1)
	s_or_not1_b32 s7, vcc_lo, exec_lo
.LBB6_10585:                            ;   in Loop: Header=BB6_5345 Depth=1
	s_or_b32 exec_lo, exec_lo, s20
	s_and_saveexec_b32 s20, s7
; %bb.10586:                            ;   in Loop: Header=BB6_5345 Depth=1
	v_mad_i64_i32 v[10:11], null, v15, v113, 0
; %bb.10587:                            ;   in Loop: Header=BB6_5345 Depth=1
	s_or_b32 exec_lo, exec_lo, s20
	s_delay_alu instid0(VALU_DEP_1) | instskip(SKIP_1) | instid1(VALU_DEP_3)
	v_add_co_u32 v10, vcc_lo, v66, v10
	v_and_b32_e32 v12, 0x2000, v103
	v_add_co_ci_u32_e32 v11, vcc_lo, v67, v11, vcc_lo
	s_mov_b32 s7, exec_lo
	ds_store_b64 v0, v[10:11] offset:728
	v_cmpx_ne_u32_e32 0, v12
	s_cbranch_execz .LBB6_10589
; %bb.10588:                            ;   in Loop: Header=BB6_5345 Depth=1
	ds_load_b64 v[10:11], v0 offset:584
	s_waitcnt lgkmcnt(0)
	v_add_co_u32 v10, vcc_lo, v10, 1
	v_add_co_ci_u32_e32 v11, vcc_lo, 0, v11, vcc_lo
	ds_store_b64 v0, v[10:11] offset:584
.LBB6_10589:                            ;   in Loop: Header=BB6_5345 Depth=1
	s_or_b32 exec_lo, exec_lo, s7
	v_add_co_u32 v8, vcc_lo, v8, 1
	v_add_co_ci_u32_e32 v9, vcc_lo, 0, v9, vcc_lo
.LBB6_10590:                            ;   in Loop: Header=BB6_5345 Depth=1
	s_or_b32 exec_lo, exec_lo, s19
	s_and_saveexec_b32 s7, s2
	s_cbranch_execz .LBB6_10612
; %bb.10591:                            ;   in Loop: Header=BB6_5345 Depth=1
	s_and_saveexec_b32 s19, s3
	s_delay_alu instid0(SALU_CYCLE_1)
	s_xor_b32 s19, exec_lo, s19
	s_cbranch_execz .LBB6_10609
; %bb.10592:                            ;   in Loop: Header=BB6_5345 Depth=1
	s_and_saveexec_b32 s20, s4
	s_cbranch_execz .LBB6_10608
; %bb.10593:                            ;   in Loop: Header=BB6_5345 Depth=1
	s_mov_b32 s22, exec_lo
	s_mov_b32 s21, exec_lo
	v_mbcnt_lo_u32_b32 v10, s22, 0
	s_waitcnt vmcnt(0) lgkmcnt(0)
	s_waitcnt_vscnt null, 0x0
	buffer_gl1_inv
	buffer_gl0_inv
	v_cmpx_eq_u32_e32 0, v10
	s_cbranch_execz .LBB6_10595
; %bb.10594:                            ;   in Loop: Header=BB6_5345 Depth=1
	s_bcnt1_i32_b32 s22, s22
	s_delay_alu instid0(SALU_CYCLE_1)
	v_mov_b32_e32 v29, s22
	ds_add_u64 v0, v[29:30]
	s_cbranch_execnz .LBB6_10987
.LBB6_10595:                            ;   in Loop: Header=BB6_5345 Depth=1
	s_or_b32 exec_lo, exec_lo, s21
	s_cbranch_execnz .LBB6_10973
; %bb.10596:                            ;   in Loop: Header=BB6_5345 Depth=1
	ds_load_b64 v[10:11], v0
	v_add_co_u32 v70, vcc_lo, v70, v87
	v_add_co_ci_u32_e32 v71, vcc_lo, 0, v71, vcc_lo
	s_mov_b32 s21, exec_lo
	s_waitcnt lgkmcnt(0)
	s_delay_alu instid0(VALU_DEP_1)
	v_cmpx_lt_u64_e64 v[10:11], v[70:71]
	s_cbranch_execz .LBB6_10607
; %bb.10597:                            ;   in Loop: Header=BB6_5345 Depth=1
	s_mov_b32 s22, 0
	s_mov_b32 s25, 0
                                        ; implicit-def: $sgpr23
                                        ; implicit-def: $sgpr24
	s_branch .LBB6_10599
.LBB6_10598:                            ;   in Loop: Header=BB6_10599 Depth=2
	s_or_b32 exec_lo, exec_lo, s28
	s_delay_alu instid0(SALU_CYCLE_1) | instskip(NEXT) | instid1(SALU_CYCLE_1)
	s_and_b32 s26, exec_lo, s27
	s_or_b32 s22, s26, s22
	s_and_not1_b32 s23, s23, exec_lo
	s_and_b32 s26, s24, exec_lo
	s_delay_alu instid0(SALU_CYCLE_1)
	s_or_b32 s23, s23, s26
	s_and_not1_b32 exec_lo, exec_lo, s22
	s_cbranch_execz .LBB6_10605
.LBB6_10599:                            ;   Parent Loop BB6_5345 Depth=1
                                        ; =>  This Inner Loop Header: Depth=2
	s_add_i32 s25, s25, 1
                                        ; implicit-def: $sgpr27
	s_delay_alu instid0(SALU_CYCLE_1) | instskip(SKIP_1) | instid1(SALU_CYCLE_1)
	s_cmpk_lg_i32 s25, 0x2710
	s_cselect_b32 s26, -1, 0
	s_and_b32 vcc_lo, exec_lo, s26
	s_cbranch_vccz .LBB6_10603
.LBB6_10600:                            ;   in Loop: Header=BB6_10599 Depth=2
	s_and_not1_b32 s24, s24, exec_lo
	s_and_b32 s28, s27, exec_lo
	s_mov_b32 s27, -1
	s_or_b32 s24, s24, s28
	s_and_saveexec_b32 s28, s26
	s_cbranch_execz .LBB6_10598
; %bb.10601:                            ;   in Loop: Header=BB6_10599 Depth=2
	s_sleep 1
	s_cbranch_execnz .LBB6_11023
; %bb.10602:                            ;   in Loop: Header=BB6_10599 Depth=2
	ds_load_b64 v[10:11], v0
	s_and_not1_b32 s24, s24, exec_lo
	s_waitcnt lgkmcnt(0)
	v_cmp_ge_u64_e32 vcc_lo, v[10:11], v[70:71]
	s_or_not1_b32 s27, vcc_lo, exec_lo
	s_branch .LBB6_10598
.LBB6_10603:                            ;   in Loop: Header=BB6_10599 Depth=2
	s_cbranch_execnz .LBB6_11041
; %bb.10604:                            ;   in Loop: Header=BB6_10599 Depth=2
	ds_load_b64 v[10:11], v0
	s_and_not1_b32 s26, s26, exec_lo
	s_mov_b32 s25, 0
	s_mov_b32 s27, -1
	s_waitcnt lgkmcnt(0)
	flat_load_b32 v10, v[10:11] glc
	s_waitcnt vmcnt(0) lgkmcnt(0)
	buffer_gl1_inv
	buffer_gl0_inv
	v_cmp_eq_u32_e32 vcc_lo, 0, v10
	s_and_b32 s28, vcc_lo, exec_lo
	s_delay_alu instid0(SALU_CYCLE_1)
	s_or_b32 s26, s26, s28
	s_branch .LBB6_10600
.LBB6_10605:                            ;   in Loop: Header=BB6_5345 Depth=1
	s_or_b32 exec_lo, exec_lo, s22
	s_and_saveexec_b32 s22, s23
	s_delay_alu instid0(SALU_CYCLE_1)
	s_xor_b32 s22, exec_lo, s22
	s_cbranch_execz .LBB6_10607
; %bb.10606:                            ;   in Loop: Header=BB6_5345 Depth=1
	ds_store_b32 v0, v132
	s_cbranch_execnz .LBB6_11101
.LBB6_10607:                            ;   in Loop: Header=BB6_5345 Depth=1
	s_or_b32 exec_lo, exec_lo, s21
	;;#ASMSTART
	s_wakeup
	;;#ASMEND
.LBB6_10608:                            ;   in Loop: Header=BB6_5345 Depth=1
	s_or_b32 exec_lo, exec_lo, s20
.LBB6_10609:                            ;   in Loop: Header=BB6_5345 Depth=1
	s_and_not1_saveexec_b32 s19, s19
	s_cbranch_execz .LBB6_10611
; %bb.10610:                            ;   in Loop: Header=BB6_5345 Depth=1
	s_waitcnt vmcnt(0) lgkmcnt(0)
	s_waitcnt_vscnt null, 0x0
	buffer_gl1_inv
	buffer_gl0_inv
	s_barrier
.LBB6_10611:                            ;   in Loop: Header=BB6_5345 Depth=1
	s_or_b32 exec_lo, exec_lo, s19
.LBB6_10612:                            ;   in Loop: Header=BB6_5345 Depth=1
	s_delay_alu instid0(SALU_CYCLE_1)
	s_or_b32 exec_lo, exec_lo, s7
	s_cbranch_execnz .LBB6_10908
; %bb.10613:                            ;   in Loop: Header=BB6_5345 Depth=1
	ds_load_b32 v10, v0
	v_sub_nc_u32_e32 v11, v84, v14
	s_delay_alu instid0(VALU_DEP_1) | instskip(NEXT) | instid1(VALU_DEP_1)
	v_min_i32_e32 v11, v133, v11
	v_cmp_lt_i32_e32 vcc_lo, 0, v11
	s_waitcnt lgkmcnt(0)
	v_readfirstlane_b32 s7, v10
	v_and_b32_e32 v10, 16, v103
	s_delay_alu instid0(VALU_DEP_2) | instskip(NEXT) | instid1(VALU_DEP_1)
	s_cmp_eq_u32 s7, 0
	v_cmp_ne_u32_e64 s7, 0, v10
	s_cselect_b32 s19, -1, 0
	s_delay_alu instid0(SALU_CYCLE_1)
	s_and_b32 s19, vcc_lo, s19
	s_delay_alu instid0(VALU_DEP_1) | instid1(SALU_CYCLE_1)
	s_and_b32 s19, s7, s19
	s_delay_alu instid0(SALU_CYCLE_1)
	s_and_saveexec_b32 s7, s19
	s_cbranch_execz .LBB6_10615
; %bb.10614:                            ;   in Loop: Header=BB6_5345 Depth=1
	s_waitcnt vmcnt(0)
	s_waitcnt_vscnt null, 0x0
	buffer_gl1_inv
	buffer_gl0_inv
.LBB6_10615:                            ;   in Loop: Header=BB6_5345 Depth=1
	s_or_b32 exec_lo, exec_lo, s7
	v_and_b32_e32 v10, 32, v103
	s_mov_b32 s7, exec_lo
	s_delay_alu instid0(VALU_DEP_1)
	v_cmpx_ne_u32_e32 0, v10
	s_cbranch_execz .LBB6_10617
; %bb.10616:                            ;   in Loop: Header=BB6_5345 Depth=1
	v_add_co_u32 v8, vcc_lo, v8, 1
	v_add_co_ci_u32_e32 v9, vcc_lo, 0, v9, vcc_lo
	s_waitcnt vmcnt(0)
	s_waitcnt_vscnt null, 0x0
	flat_store_b64 v[64:65], v[8:9]
.LBB6_10617:                            ;   in Loop: Header=BB6_5345 Depth=1
	s_or_b32 exec_lo, exec_lo, s7
.LBB6_10618:                            ;   in Loop: Header=BB6_5345 Depth=1
	s_delay_alu instid0(SALU_CYCLE_1) | instskip(SKIP_2) | instid1(VALU_DEP_1)
	s_or_b32 exec_lo, exec_lo, s10
	v_add_co_u32 v82, vcc_lo, v82, v80
	v_add_co_ci_u32_e32 v83, vcc_lo, 0, v83, vcc_lo
	v_cmp_ge_u64_e32 vcc_lo, v[82:83], v[4:5]
	s_or_b32 s16, vcc_lo, s16
	s_delay_alu instid0(SALU_CYCLE_1)
	s_and_not1_b32 exec_lo, exec_lo, s16
	s_cbranch_execz .LBB6_10619
; %bb.11275:                            ;   in Loop: Header=BB6_5345 Depth=1
	s_getpc_b64 s[34:35]
.Lpost_getpc156:
	s_add_u32 s34, s34, (.LBB6_5345-.Lpost_getpc156)&4294967295
	s_addc_u32 s35, s35, (.LBB6_5345-.Lpost_getpc156)>>32
	s_setpc_b64 s[34:35]
.LBB6_10619:
	s_or_b32 exec_lo, exec_lo, s16
.LBB6_10620:
	s_delay_alu instid0(SALU_CYCLE_1)
	s_or_b32 exec_lo, exec_lo, s12
.LBB6_10621:
	s_delay_alu instid0(SALU_CYCLE_1)
	s_or_b32 exec_lo, exec_lo, s11
                                        ; implicit-def: $vgpr52_vgpr53
                                        ; implicit-def: $vgpr4_vgpr5
                                        ; implicit-def: $vgpr82_vgpr83
                                        ; implicit-def: $vgpr113
                                        ; implicit-def: $vgpr68_vgpr69
                                        ; implicit-def: $vgpr66_vgpr67
                                        ; implicit-def: $vgpr64_vgpr65
                                        ; implicit-def: $vgpr0
                                        ; implicit-def: $vgpr26
                                        ; implicit-def: $vgpr80_vgpr81
.LBB6_10622:
	s_and_not1_saveexec_b32 s12, s15
	s_cbranch_execz .LBB6_10820
; %bb.10623:
	v_mov_b32_e32 v70, 0
	v_mov_b32_e32 v71, 0
	s_mov_b32 s15, exec_lo
	v_cmpx_ne_u64_e32 0, v[4:5]
	s_cbranch_execz .LBB6_10819
; %bb.10624:
	v_cmp_ge_i32_e64 s1, v0, v1
	s_cbranch_execnz .LBB6_10849
; %bb.10625:
	v_ashrrev_i32_e32 v10, 31, v0
	s_waitcnt vmcnt(0) lgkmcnt(1)
	v_lshrrev_b32_e32 v19, 5, v1
	v_and_b32_e32 v12, 31, v31
	s_ashr_i32 s4, s14, 31
	v_and_b32_e32 v29, 0xffffffe0, v1
	v_lshrrev_b32_e32 v10, 27, v10
	s_lshr_b32 s4, s4, 24
	v_lshlrev_b32_e32 v21, 9, v19
	s_add_i32 s14, s14, s4
	v_cmp_eq_u32_e64 s4, 0, v12
	v_dual_mov_b32 v11, 0 :: v_dual_add_nc_u32 v10, v0, v10
	v_lshl_add_u32 v14, v19, 10, 0xfffffc00
	v_cmp_eq_u32_e32 vcc_lo, 32, v1
	v_cmp_ne_u32_e64 s2, 32, v1
	s_delay_alu instid0(VALU_DEP_4)
	v_dual_mov_b32 v34, 1 :: v_dual_and_b32 v13, 0xffffffe0, v10
	s_waitcnt lgkmcnt(0)
	v_ashrrev_i32_e32 v20, 5, v10
	v_lshl_add_u32 v10, v19, 12, 0xfffff000
	v_cmp_ne_u32_e64 s3, v112, v1
	v_sub_nc_u32_e32 v22, v0, v13
	v_ashrrev_i32_e32 v33, 31, v29
	v_lshlrev_b32_e32 v13, 12, v20
	v_ashrrev_i32_e32 v12, 31, v10
	v_add_co_u32 v24, s5, 0x1000, v10
	v_cmp_lt_i32_e64 s6, v22, v26
	s_delay_alu instid0(VALU_DEP_4) | instskip(NEXT) | instid1(VALU_DEP_4)
	v_lshl_add_u32 v23, v22, 4, v13
	v_add_co_ci_u32_e64 v25, s5, 0, v12, s5
	v_mov_b32_e32 v12, 0
	v_mov_b32_e32 v13, 0
	v_add_nc_u32_e32 v15, 0xfffffe00, v21
	v_cmp_gt_i32_e64 s5, 1, v22
	v_ashrrev_i32_e32 v26, 31, v23
	s_ashr_i32 s16, s14, 8
	v_dual_mov_b32 v71, v13 :: v_dual_mov_b32 v70, v12
	v_ashrrev_i32_e32 v10, 31, v15
	v_add_co_u32 v27, s7, 0x200, v15
	s_mov_b32 s14, 0
	s_xor_b32 s17, vcc_lo, -1
	s_delay_alu instid0(VALU_DEP_2) | instskip(SKIP_2) | instid1(VALU_DEP_1)
	v_add_co_ci_u32_e64 v28, s7, 0, v10, s7
	v_ashrrev_i32_e32 v10, 31, v14
	v_add_co_u32 v30, s7, 0x400, v14
	v_add_co_ci_u32_e64 v32, s7, 0, v10, s7
	v_cmp_ne_u64_e64 s7, 0, v[82:83]
.LBB6_10626:                            ; =>This Loop Header: Depth=1
                                        ;     Child Loop BB6_10636 Depth 2
                                        ;     Child Loop BB6_10663 Depth 2
	;; [unrolled: 1-line block ×10, first 2 shown]
	v_sub_co_u32 v14, vcc_lo, v4, v12
	v_sub_co_ci_u32_e32 v15, vcc_lo, v5, v13, vcc_lo
	v_mov_b32_e32 v17, 0
	s_delay_alu instid0(VALU_DEP_2) | instskip(SKIP_2) | instid1(VALU_DEP_2)
	v_cmp_lt_u64_e32 vcc_lo, v[80:81], v[14:15]
	v_cndmask_b32_e32 v14, v14, v80, vcc_lo
	v_cndmask_b32_e64 v15, v15, 0, vcc_lo
	v_add_nc_u32_e32 v10, 15, v14
	s_delay_alu instid0(VALU_DEP_2) | instskip(NEXT) | instid1(VALU_DEP_2)
	v_cmp_eq_u64_e32 vcc_lo, 0, v[14:15]
	v_and_b32_e32 v10, 0x7ffffff0, v10
	s_or_b32 s18, s1, vcc_lo
	s_delay_alu instid0(SALU_CYCLE_1) | instskip(NEXT) | instid1(VALU_DEP_1)
	s_xor_b32 s10, s18, -1
	v_max_i32_e32 v10, s16, v10
	s_and_saveexec_b32 s19, s10
	s_cbranch_execz .LBB6_10762
; %bb.10627:                            ;   in Loop: Header=BB6_10626 Depth=1
	s_and_saveexec_b32 s10, s0
	s_cbranch_execz .LBB6_10630
; %bb.10628:                            ;   in Loop: Header=BB6_10626 Depth=1
	s_cbranch_execnz .LBB6_10890
; %bb.10629:                            ;   in Loop: Header=BB6_10626 Depth=1
	ds_load_b64 v[15:16], v0
	s_waitcnt lgkmcnt(0)
	v_add_co_u32 v17, vcc_lo, v15, v52
	v_add_co_ci_u32_e32 v16, vcc_lo, v16, v53, vcc_lo
	v_mov_b32_e32 v15, v11
	s_delay_alu instid0(VALU_DEP_3) | instskip(NEXT) | instid1(VALU_DEP_3)
	v_add_co_u32 v17, vcc_lo, v17, v12
	v_add_co_ci_u32_e32 v18, vcc_lo, v16, v13, vcc_lo
	v_mov_b32_e32 v16, v11
	ds_store_b64 v0, v[17:18]
	ds_store_b64 v0, v[15:16]
.LBB6_10630:                            ;   in Loop: Header=BB6_10626 Depth=1
	s_or_b32 exec_lo, exec_lo, s10
	v_and_b32_e32 v15, 8, v103
	s_mov_b32 s11, -1
	s_mov_b32 s10, exec_lo
	s_delay_alu instid0(VALU_DEP_1)
	v_cmpx_ne_u32_e32 0, v15
	s_cbranch_execz .LBB6_10644
; %bb.10631:                            ;   in Loop: Header=BB6_10626 Depth=1
	v_add_co_u32 v17, vcc_lo, v68, 8
	v_add_co_ci_u32_e32 v18, vcc_lo, 0, v69, vcc_lo
	v_add_co_u32 v15, vcc_lo, v8, 1
	v_add_co_ci_u32_e32 v16, vcc_lo, 0, v9, vcc_lo
	s_delay_alu instid0(VALU_DEP_1)
	v_cmp_lt_u64_e32 vcc_lo, v[17:18], v[15:16]
	v_mov_b32_e32 v17, 1
	s_and_saveexec_b32 s11, vcc_lo
	s_cbranch_execz .LBB6_10643
; %bb.10632:                            ;   in Loop: Header=BB6_10626 Depth=1
	v_mov_b32_e32 v17, 0
	s_mov_b32 s20, 0
                                        ; implicit-def: $sgpr21
	s_branch .LBB6_10636
.LBB6_10633:                            ;   in Loop: Header=BB6_10636 Depth=2
	s_or_b32 exec_lo, exec_lo, s25
	v_mov_b32_e32 v18, 0
	s_or_not1_b32 s24, s24, exec_lo
.LBB6_10634:                            ;   in Loop: Header=BB6_10636 Depth=2
	s_or_b32 exec_lo, exec_lo, s23
	s_delay_alu instid0(VALU_DEP_1) | instskip(SKIP_2) | instid1(SALU_CYCLE_1)
	v_mov_b32_e32 v17, v18
	s_and_not1_b32 s21, s21, exec_lo
	s_and_b32 s23, s24, exec_lo
	s_or_b32 s21, s21, s23
.LBB6_10635:                            ;   in Loop: Header=BB6_10636 Depth=2
	s_or_b32 exec_lo, exec_lo, s22
	s_waitcnt vmcnt(0) lgkmcnt(0)
	v_add_co_u32 v35, vcc_lo, v68, 8
	v_add_co_ci_u32_e32 v36, vcc_lo, 0, v69, vcc_lo
	s_xor_b32 s22, s21, -1
	s_delay_alu instid0(VALU_DEP_1) | instskip(SKIP_1) | instid1(SALU_CYCLE_1)
	v_cmp_ge_u64_e32 vcc_lo, v[35:36], v[15:16]
	s_or_b32 s22, s22, vcc_lo
	s_and_b32 s22, exec_lo, s22
	s_delay_alu instid0(SALU_CYCLE_1) | instskip(NEXT) | instid1(SALU_CYCLE_1)
	s_or_b32 s20, s22, s20
	s_and_not1_b32 exec_lo, exec_lo, s20
	s_cbranch_execz .LBB6_10642
.LBB6_10636:                            ;   Parent Loop BB6_10626 Depth=1
                                        ; =>  This Inner Loop Header: Depth=2
	s_sleep 1
	flat_load_b64 v[68:69], v[64:65] glc
	v_and_b32_e32 v18, 64, v103
	s_and_not1_b32 s21, s21, exec_lo
	s_mov_b32 s22, exec_lo
	s_delay_alu instid0(VALU_DEP_1)
	v_cmpx_eq_u32_e32 0, v18
	s_cbranch_execz .LBB6_10635
; %bb.10637:                            ;   in Loop: Header=BB6_10636 Depth=2
	v_add_nc_u32_e32 v18, 1, v17
	s_mov_b32 s24, -1
	s_mov_b32 s23, exec_lo
	v_cmpx_lt_i32_e32 0x270e, v17
	s_cbranch_execz .LBB6_10634
; %bb.10638:                            ;   in Loop: Header=BB6_10636 Depth=2
	s_cbranch_execnz .LBB6_10896
; %bb.10639:                            ;   in Loop: Header=BB6_10636 Depth=2
	ds_load_b64 v[17:18], v0
	s_mov_b32 s25, exec_lo
	s_waitcnt vmcnt(0) lgkmcnt(0)
	s_waitcnt_vscnt null, 0x0
	flat_load_b32 v17, v[17:18] glc
	s_waitcnt vmcnt(0) lgkmcnt(0)
	buffer_gl1_inv
	buffer_gl0_inv
	v_cmpx_ne_u32_e32 0, v17
	s_cbranch_execz .LBB6_10633
; %bb.10640:                            ;   in Loop: Header=BB6_10636 Depth=2
	ds_store_b32 v0, v17
	s_cbranch_execnz .LBB6_10939
; %bb.10641:                            ;   in Loop: Header=BB6_10636 Depth=2
	v_or_b32_e32 v103, 64, v103
	s_xor_b32 s24, exec_lo, -1
	s_branch .LBB6_10633
.LBB6_10642:                            ;   in Loop: Header=BB6_10626 Depth=1
	s_or_b32 exec_lo, exec_lo, s20
	v_and_b32_e32 v17, 8, v103
.LBB6_10643:                            ;   in Loop: Header=BB6_10626 Depth=1
	s_or_b32 exec_lo, exec_lo, s11
	s_delay_alu instid0(VALU_DEP_1)
	v_cmp_eq_u32_e32 vcc_lo, 0, v17
	;;#ASMSTART
	s_wakeup
	;;#ASMEND
	s_or_not1_b32 s11, vcc_lo, exec_lo
.LBB6_10644:                            ;   in Loop: Header=BB6_10626 Depth=1
	s_or_b32 exec_lo, exec_lo, s10
	v_min_u32_e32 v10, v10, v14
	s_xor_b32 s10, s11, -1
	s_delay_alu instid0(SALU_CYCLE_1)
	s_and_saveexec_b32 s11, s10
	s_cbranch_execz .LBB6_10654
; %bb.10645:                            ;   in Loop: Header=BB6_10626 Depth=1
	v_and_b32_e32 v15, 0x100, v103
	v_and_b32_e32 v35, 7, v8
	s_mov_b32 s10, -1
	s_delay_alu instid0(VALU_DEP_2)
	v_cmp_ne_u32_e32 vcc_lo, 0, v15
                                        ; implicit-def: $vgpr15_vgpr16
	s_and_saveexec_b32 s20, vcc_lo
	s_cbranch_execz .LBB6_10649
; %bb.10646:                            ;   in Loop: Header=BB6_10626 Depth=1
	v_mad_u64_u32 v[17:18], null, v35, 24, v[6:7]
	flat_load_b32 v15, v[17:18]
	flat_store_b64 v[17:18], v[10:11] offset:8
	s_waitcnt vmcnt(0) lgkmcnt(1)
	v_cmp_ne_u32_e32 vcc_lo, 1, v15
	v_cmp_eq_u32_e64 s10, 1, v15
                                        ; implicit-def: $vgpr15_vgpr16
	s_delay_alu instid0(VALU_DEP_1)
	s_and_saveexec_b32 s21, s10
	s_cbranch_execz .LBB6_10648
; %bb.10647:                            ;   in Loop: Header=BB6_10626 Depth=1
	flat_load_b32 v15, v[17:18] offset:4 glc
	s_waitcnt vmcnt(0) lgkmcnt(0)
	v_ashrrev_i32_e32 v16, 31, v15
.LBB6_10648:                            ;   in Loop: Header=BB6_10626 Depth=1
	s_or_b32 exec_lo, exec_lo, s21
	s_delay_alu instid0(SALU_CYCLE_1)
	s_or_not1_b32 s10, vcc_lo, exec_lo
.LBB6_10649:                            ;   in Loop: Header=BB6_10626 Depth=1
	s_or_b32 exec_lo, exec_lo, s20
	s_and_saveexec_b32 s20, s10
; %bb.10650:                            ;   in Loop: Header=BB6_10626 Depth=1
	v_mad_i64_i32 v[15:16], null, v35, v113, 0
; %bb.10651:                            ;   in Loop: Header=BB6_10626 Depth=1
	s_or_b32 exec_lo, exec_lo, s20
	s_delay_alu instid0(VALU_DEP_1) | instskip(SKIP_1) | instid1(VALU_DEP_3)
	v_add_co_u32 v15, vcc_lo, v66, v15
	v_and_b32_e32 v17, 0x2000, v103
	v_add_co_ci_u32_e32 v16, vcc_lo, v67, v16, vcc_lo
	s_mov_b32 s10, exec_lo
	ds_store_b64 v0, v[15:16] offset:784
	v_cmpx_ne_u32_e32 0, v17
	s_cbranch_execz .LBB6_10653
; %bb.10652:                            ;   in Loop: Header=BB6_10626 Depth=1
	ds_load_b64 v[15:16], v0 offset:584
	s_waitcnt lgkmcnt(0)
	v_add_co_u32 v15, vcc_lo, v15, 1
	v_add_co_ci_u32_e32 v16, vcc_lo, 0, v16, vcc_lo
	ds_store_b64 v0, v[15:16] offset:584
.LBB6_10653:                            ;   in Loop: Header=BB6_10626 Depth=1
	s_or_b32 exec_lo, exec_lo, s10
	v_add_co_u32 v8, vcc_lo, v8, 1
	v_add_co_ci_u32_e32 v9, vcc_lo, 0, v9, vcc_lo
.LBB6_10654:                            ;   in Loop: Header=BB6_10626 Depth=1
	s_or_b32 exec_lo, exec_lo, s11
	s_and_saveexec_b32 s10, s2
	s_cbranch_execz .LBB6_10676
; %bb.10655:                            ;   in Loop: Header=BB6_10626 Depth=1
	s_and_saveexec_b32 s11, s3
	s_delay_alu instid0(SALU_CYCLE_1)
	s_xor_b32 s11, exec_lo, s11
	s_cbranch_execz .LBB6_10673
; %bb.10656:                            ;   in Loop: Header=BB6_10626 Depth=1
	s_and_saveexec_b32 s20, s4
	s_cbranch_execz .LBB6_10672
; %bb.10657:                            ;   in Loop: Header=BB6_10626 Depth=1
	s_mov_b32 s22, exec_lo
	s_mov_b32 s21, exec_lo
	v_mbcnt_lo_u32_b32 v15, s22, 0
	s_waitcnt lgkmcnt(0)
	s_waitcnt_vscnt null, 0x0
	buffer_gl1_inv
	buffer_gl0_inv
	v_cmpx_eq_u32_e32 0, v15
	s_cbranch_execz .LBB6_10659
; %bb.10658:                            ;   in Loop: Header=BB6_10626 Depth=1
	s_bcnt1_i32_b32 s22, s22
	s_delay_alu instid0(SALU_CYCLE_1)
	v_dual_mov_b32 v16, v11 :: v_dual_mov_b32 v15, s22
	ds_add_u64 v0, v[15:16]
	s_cbranch_execnz .LBB6_10951
.LBB6_10659:                            ;   in Loop: Header=BB6_10626 Depth=1
	s_or_b32 exec_lo, exec_lo, s21
	s_cbranch_execnz .LBB6_10941
; %bb.10660:                            ;   in Loop: Header=BB6_10626 Depth=1
	ds_load_b64 v[15:16], v0
	v_add_co_u32 v70, vcc_lo, v70, v19
	v_add_co_ci_u32_e32 v71, vcc_lo, 0, v71, vcc_lo
	s_mov_b32 s21, exec_lo
	s_waitcnt lgkmcnt(0)
	s_delay_alu instid0(VALU_DEP_1)
	v_cmpx_lt_u64_e64 v[15:16], v[70:71]
	s_cbranch_execz .LBB6_10671
; %bb.10661:                            ;   in Loop: Header=BB6_10626 Depth=1
	s_mov_b32 s22, 0
	s_mov_b32 s25, 0
                                        ; implicit-def: $sgpr23
                                        ; implicit-def: $sgpr24
	s_branch .LBB6_10663
.LBB6_10662:                            ;   in Loop: Header=BB6_10663 Depth=2
	s_or_b32 exec_lo, exec_lo, s28
	s_delay_alu instid0(SALU_CYCLE_1) | instskip(NEXT) | instid1(SALU_CYCLE_1)
	s_and_b32 s26, exec_lo, s27
	s_or_b32 s22, s26, s22
	s_and_not1_b32 s23, s23, exec_lo
	s_and_b32 s26, s24, exec_lo
	s_delay_alu instid0(SALU_CYCLE_1)
	s_or_b32 s23, s23, s26
	s_and_not1_b32 exec_lo, exec_lo, s22
	s_cbranch_execz .LBB6_10669
.LBB6_10663:                            ;   Parent Loop BB6_10626 Depth=1
                                        ; =>  This Inner Loop Header: Depth=2
	s_add_i32 s25, s25, 1
                                        ; implicit-def: $sgpr27
	s_delay_alu instid0(SALU_CYCLE_1) | instskip(SKIP_1) | instid1(SALU_CYCLE_1)
	s_cmpk_lg_i32 s25, 0x2710
	s_cselect_b32 s26, -1, 0
	s_and_b32 vcc_lo, exec_lo, s26
	s_cbranch_vccz .LBB6_10667
.LBB6_10664:                            ;   in Loop: Header=BB6_10663 Depth=2
	s_and_not1_b32 s24, s24, exec_lo
	s_and_b32 s28, s27, exec_lo
	s_mov_b32 s27, -1
	s_or_b32 s24, s24, s28
	s_and_saveexec_b32 s28, s26
	s_cbranch_execz .LBB6_10662
; %bb.10665:                            ;   in Loop: Header=BB6_10663 Depth=2
	s_sleep 1
	s_cbranch_execnz .LBB6_10983
; %bb.10666:                            ;   in Loop: Header=BB6_10663 Depth=2
	ds_load_b64 v[15:16], v0
	s_and_not1_b32 s24, s24, exec_lo
	s_waitcnt lgkmcnt(0)
	v_cmp_ge_u64_e32 vcc_lo, v[15:16], v[70:71]
	s_or_not1_b32 s27, vcc_lo, exec_lo
	s_branch .LBB6_10662
.LBB6_10667:                            ;   in Loop: Header=BB6_10663 Depth=2
	s_cbranch_execnz .LBB6_10993
; %bb.10668:                            ;   in Loop: Header=BB6_10663 Depth=2
	ds_load_b64 v[15:16], v0
	s_and_not1_b32 s26, s26, exec_lo
	s_mov_b32 s25, 0
	s_mov_b32 s27, -1
	s_waitcnt lgkmcnt(0)
	flat_load_b32 v15, v[15:16] glc
	s_waitcnt vmcnt(0) lgkmcnt(0)
	buffer_gl1_inv
	buffer_gl0_inv
	v_cmp_eq_u32_e32 vcc_lo, 0, v15
	s_and_b32 s28, vcc_lo, exec_lo
	s_delay_alu instid0(SALU_CYCLE_1)
	s_or_b32 s26, s26, s28
	s_branch .LBB6_10664
.LBB6_10669:                            ;   in Loop: Header=BB6_10626 Depth=1
	s_or_b32 exec_lo, exec_lo, s22
	s_and_saveexec_b32 s22, s23
	s_delay_alu instid0(SALU_CYCLE_1)
	s_xor_b32 s22, exec_lo, s22
	s_cbranch_execz .LBB6_10671
; %bb.10670:                            ;   in Loop: Header=BB6_10626 Depth=1
	ds_store_b32 v0, v34
	s_cbranch_execnz .LBB6_11091
.LBB6_10671:                            ;   in Loop: Header=BB6_10626 Depth=1
	s_or_b32 exec_lo, exec_lo, s21
	;;#ASMSTART
	s_wakeup
	;;#ASMEND
.LBB6_10672:                            ;   in Loop: Header=BB6_10626 Depth=1
	s_or_b32 exec_lo, exec_lo, s20
.LBB6_10673:                            ;   in Loop: Header=BB6_10626 Depth=1
	s_and_not1_saveexec_b32 s11, s11
	s_cbranch_execz .LBB6_10675
; %bb.10674:                            ;   in Loop: Header=BB6_10626 Depth=1
	s_waitcnt lgkmcnt(0)
	s_waitcnt_vscnt null, 0x0
	buffer_gl1_inv
	buffer_gl0_inv
	s_barrier
.LBB6_10675:                            ;   in Loop: Header=BB6_10626 Depth=1
	s_or_b32 exec_lo, exec_lo, s11
.LBB6_10676:                            ;   in Loop: Header=BB6_10626 Depth=1
	s_delay_alu instid0(SALU_CYCLE_1)
	s_or_b32 exec_lo, exec_lo, s10
	s_cbranch_execnz .LBB6_10888
; %bb.10677:                            ;   in Loop: Header=BB6_10626 Depth=1
	ds_load_b32 v15, v0
	v_and_b32_e32 v16, 0x4000, v103
	s_delay_alu instid0(VALU_DEP_1) | instskip(SKIP_1) | instid1(SALU_CYCLE_1)
	v_cmp_ne_u32_e32 vcc_lo, 0, v16
	s_and_b32 s11, s17, vcc_lo
	s_and_saveexec_b32 s10, s11
	s_cbranch_execz .LBB6_10699
; %bb.10678:                            ;   in Loop: Header=BB6_10626 Depth=1
	s_and_saveexec_b32 s11, s3
	s_delay_alu instid0(SALU_CYCLE_1)
	s_xor_b32 s11, exec_lo, s11
	s_cbranch_execz .LBB6_10696
; %bb.10679:                            ;   in Loop: Header=BB6_10626 Depth=1
	s_and_saveexec_b32 s20, s4
	s_cbranch_execz .LBB6_10695
; %bb.10680:                            ;   in Loop: Header=BB6_10626 Depth=1
	s_mov_b32 s22, exec_lo
	s_mov_b32 s21, exec_lo
	v_mbcnt_lo_u32_b32 v16, s22, 0
	s_waitcnt lgkmcnt(0)
	s_waitcnt_vscnt null, 0x0
	buffer_gl1_inv
	buffer_gl0_inv
	v_cmpx_eq_u32_e32 0, v16
	s_cbranch_execz .LBB6_10682
; %bb.10681:                            ;   in Loop: Header=BB6_10626 Depth=1
	s_bcnt1_i32_b32 s22, s22
	s_delay_alu instid0(SALU_CYCLE_1)
	v_dual_mov_b32 v17, v11 :: v_dual_mov_b32 v16, s22
	ds_add_u64 v0, v[16:17]
	s_cbranch_execnz .LBB6_10981
.LBB6_10682:                            ;   in Loop: Header=BB6_10626 Depth=1
	s_or_b32 exec_lo, exec_lo, s21
	s_cbranch_execnz .LBB6_10969
; %bb.10683:                            ;   in Loop: Header=BB6_10626 Depth=1
	ds_load_b64 v[16:17], v0
	v_add_co_u32 v70, vcc_lo, v70, v19
	v_add_co_ci_u32_e32 v71, vcc_lo, 0, v71, vcc_lo
	s_mov_b32 s21, exec_lo
	s_waitcnt lgkmcnt(0)
	s_delay_alu instid0(VALU_DEP_1)
	v_cmpx_lt_u64_e64 v[16:17], v[70:71]
	s_cbranch_execz .LBB6_10694
; %bb.10684:                            ;   in Loop: Header=BB6_10626 Depth=1
	s_mov_b32 s22, 0
	s_mov_b32 s25, 0
                                        ; implicit-def: $sgpr23
                                        ; implicit-def: $sgpr24
	s_branch .LBB6_10686
.LBB6_10685:                            ;   in Loop: Header=BB6_10686 Depth=2
	s_or_b32 exec_lo, exec_lo, s28
	s_delay_alu instid0(SALU_CYCLE_1) | instskip(NEXT) | instid1(SALU_CYCLE_1)
	s_and_b32 s26, exec_lo, s27
	s_or_b32 s22, s26, s22
	s_and_not1_b32 s23, s23, exec_lo
	s_and_b32 s26, s24, exec_lo
	s_delay_alu instid0(SALU_CYCLE_1)
	s_or_b32 s23, s23, s26
	s_and_not1_b32 exec_lo, exec_lo, s22
	s_cbranch_execz .LBB6_10692
.LBB6_10686:                            ;   Parent Loop BB6_10626 Depth=1
                                        ; =>  This Inner Loop Header: Depth=2
	s_add_i32 s25, s25, 1
                                        ; implicit-def: $sgpr27
	s_delay_alu instid0(SALU_CYCLE_1) | instskip(SKIP_1) | instid1(SALU_CYCLE_1)
	s_cmpk_lg_i32 s25, 0x2710
	s_cselect_b32 s26, -1, 0
	s_and_b32 vcc_lo, exec_lo, s26
	s_cbranch_vccz .LBB6_10690
.LBB6_10687:                            ;   in Loop: Header=BB6_10686 Depth=2
	s_and_not1_b32 s24, s24, exec_lo
	s_and_b32 s28, s27, exec_lo
	s_mov_b32 s27, -1
	s_or_b32 s24, s24, s28
	s_and_saveexec_b32 s28, s26
	s_cbranch_execz .LBB6_10685
; %bb.10688:                            ;   in Loop: Header=BB6_10686 Depth=2
	s_sleep 1
	s_cbranch_execnz .LBB6_11013
; %bb.10689:                            ;   in Loop: Header=BB6_10686 Depth=2
	ds_load_b64 v[16:17], v0
	s_and_not1_b32 s24, s24, exec_lo
	s_waitcnt lgkmcnt(0)
	v_cmp_ge_u64_e32 vcc_lo, v[16:17], v[70:71]
	s_or_not1_b32 s27, vcc_lo, exec_lo
	s_branch .LBB6_10685
.LBB6_10690:                            ;   in Loop: Header=BB6_10686 Depth=2
	s_cbranch_execnz .LBB6_11021
; %bb.10691:                            ;   in Loop: Header=BB6_10686 Depth=2
	ds_load_b64 v[16:17], v0
	s_and_not1_b32 s26, s26, exec_lo
	s_mov_b32 s25, 0
	s_mov_b32 s27, -1
	s_waitcnt lgkmcnt(0)
	flat_load_b32 v16, v[16:17] glc
	s_waitcnt vmcnt(0) lgkmcnt(0)
	buffer_gl1_inv
	buffer_gl0_inv
	v_cmp_eq_u32_e32 vcc_lo, 0, v16
	s_and_b32 s28, vcc_lo, exec_lo
	s_delay_alu instid0(SALU_CYCLE_1)
	s_or_b32 s26, s26, s28
	s_branch .LBB6_10687
.LBB6_10692:                            ;   in Loop: Header=BB6_10626 Depth=1
	s_or_b32 exec_lo, exec_lo, s22
	s_and_saveexec_b32 s22, s23
	s_delay_alu instid0(SALU_CYCLE_1)
	s_xor_b32 s22, exec_lo, s22
	s_cbranch_execz .LBB6_10694
; %bb.10693:                            ;   in Loop: Header=BB6_10626 Depth=1
	ds_store_b32 v0, v34
	s_cbranch_execnz .LBB6_11099
.LBB6_10694:                            ;   in Loop: Header=BB6_10626 Depth=1
	s_or_b32 exec_lo, exec_lo, s21
	;;#ASMSTART
	s_wakeup
	;;#ASMEND
.LBB6_10695:                            ;   in Loop: Header=BB6_10626 Depth=1
	s_or_b32 exec_lo, exec_lo, s20
.LBB6_10696:                            ;   in Loop: Header=BB6_10626 Depth=1
	s_and_not1_saveexec_b32 s11, s11
	s_cbranch_execz .LBB6_10698
; %bb.10697:                            ;   in Loop: Header=BB6_10626 Depth=1
	s_waitcnt lgkmcnt(0)
	s_waitcnt_vscnt null, 0x0
	buffer_gl1_inv
	buffer_gl0_inv
	s_barrier
.LBB6_10698:                            ;   in Loop: Header=BB6_10626 Depth=1
	s_or_b32 exec_lo, exec_lo, s11
.LBB6_10699:                            ;   in Loop: Header=BB6_10626 Depth=1
	s_delay_alu instid0(SALU_CYCLE_1)
	s_or_b32 exec_lo, exec_lo, s10
	s_cbranch_execnz .LBB6_10902
; %bb.10700:                            ;   in Loop: Header=BB6_10626 Depth=1
	ds_load_b64 v[16:17], v0
	s_waitcnt lgkmcnt(0)
	v_cmp_eq_u64_e32 vcc_lo, 0, v[16:17]
	s_or_b32 s10, vcc_lo, vcc_lo
	s_delay_alu instid0(SALU_CYCLE_1)
	s_and_b32 vcc_lo, exec_lo, s10
	s_mov_b32 s10, 0
	s_cbranch_vccnz .LBB6_10733
; %bb.10701:                            ;   in Loop: Header=BB6_10626 Depth=1
	s_mov_b32 s10, -1
	s_and_saveexec_b32 s11, s5
	s_cbranch_execz .LBB6_10703
; %bb.10702:                            ;   in Loop: Header=BB6_10626 Depth=1
	ds_load_b32 v16, v0 offset:720
	s_waitcnt lgkmcnt(0)
	v_and_b32_e32 v16, 15, v16
	s_delay_alu instid0(VALU_DEP_1)
	v_cmp_eq_u32_e32 vcc_lo, 0, v16
	s_or_not1_b32 s10, vcc_lo, exec_lo
.LBB6_10703:                            ;   in Loop: Header=BB6_10626 Depth=1
	s_or_b32 exec_lo, exec_lo, s11
	s_and_saveexec_b32 s11, s6
	s_cbranch_execz .LBB6_10705
; %bb.10704:                            ;   in Loop: Header=BB6_10626 Depth=1
	ds_load_b32 v16, v0 offset:784
	s_waitcnt lgkmcnt(0)
	v_and_b32_e32 v16, 15, v16
	s_delay_alu instid0(VALU_DEP_1) | instskip(SKIP_3) | instid1(SALU_CYCLE_1)
	v_cmp_eq_u32_e32 vcc_lo, 0, v16
	s_and_b32 s20, s10, vcc_lo
	s_and_not1_b32 s10, s10, exec_lo
	s_and_b32 s20, s20, exec_lo
	s_or_b32 s10, s10, s20
.LBB6_10705:                            ;   in Loop: Header=BB6_10626 Depth=1
	s_or_b32 exec_lo, exec_lo, s11
	v_cmp_eq_u32_e32 vcc_lo, 0, v15
	s_xor_b32 s10, s10, -1
	v_mov_b32_e32 v49, v20
	v_cndmask_b32_e64 v16, 0, 1, s10
	;;#ASMSTART
	;;#ASMEND
	v_dual_cndmask_b32 v35, 0, v10 :: v_dual_mov_b32 v38, v0
	s_delay_alu instid0(VALU_DEP_2) | instskip(SKIP_2) | instid1(VALU_DEP_3)
	v_cmp_ne_u32_e32 vcc_lo, 0, v16
	v_mov_b32_e32 v37, 0
	s_mov_b32 s10, -1
	v_mov_b32_e32 v36, v35
	s_cbranch_vccnz .LBB6_10721
; %bb.10706:                            ;   in Loop: Header=BB6_10626 Depth=1
	v_lshrrev_b32_e32 v15, 12, v35
	s_mov_b32 s10, exec_lo
	s_delay_alu instid0(VALU_DEP_1) | instskip(NEXT) | instid1(VALU_DEP_1)
	v_sub_nc_u32_e32 v39, v15, v20
	v_cmpx_lt_i32_e32 0, v39
	s_cbranch_execz .LBB6_10711
; %bb.10707:                            ;   in Loop: Header=BB6_10626 Depth=1
	s_cbranch_execnz .LBB6_10997
; %bb.10708:                            ;   in Loop: Header=BB6_10626 Depth=1
	ds_load_b64 v[15:16], v0
	s_mov_b32 s11, 0
	s_waitcnt lgkmcnt(0)
	v_dual_mov_b32 v18, v16 :: v_dual_mov_b32 v17, v15
.LBB6_10709:                            ;   Parent Loop BB6_10626 Depth=1
                                        ; =>  This Inner Loop Header: Depth=2
	s_delay_alu instid0(VALU_DEP_1) | instskip(NEXT) | instid1(VALU_DEP_2)
	v_add_co_u32 v36, vcc_lo, v23, v17
	v_add_co_ci_u32_e32 v37, vcc_lo, v26, v18, vcc_lo
	v_sub_nc_u32_e32 v39, v39, v19
	s_clause 0x7
	global_load_b128 v[48:51], v[36:37], off slc dlc
	global_load_b128 v[84:87], v[36:37], off offset:512 slc dlc
	global_load_b128 v[96:99], v[36:37], off offset:1024 slc dlc
	;; [unrolled: 1-line block ×7, first 2 shown]
	v_add_co_u32 v36, vcc_lo, v23, v15
	v_add_co_ci_u32_e32 v37, vcc_lo, v26, v16, vcc_lo
	v_add_co_u32 v17, vcc_lo, v17, v24
	v_add_co_ci_u32_e32 v18, vcc_lo, v18, v25, vcc_lo
	;; [unrolled: 2-line block ×3, first 2 shown]
	v_cmp_gt_i32_e32 vcc_lo, 1, v39
	s_waitcnt vmcnt(7)
	global_store_b128 v[36:37], v[48:51], off glc slc dlc
	s_waitcnt vmcnt(6)
	global_store_b128 v[36:37], v[84:87], off offset:512 glc slc dlc
	s_waitcnt vmcnt(5)
	global_store_b128 v[36:37], v[96:99], off offset:1024 glc slc dlc
	;; [unrolled: 2-line block ×7, first 2 shown]
	s_or_b32 s11, vcc_lo, s11
	s_delay_alu instid0(SALU_CYCLE_1)
	s_and_not1_b32 exec_lo, exec_lo, s11
	s_cbranch_execnz .LBB6_10709
; %bb.10710:                            ;   in Loop: Header=BB6_10626 Depth=1
	s_or_b32 exec_lo, exec_lo, s11
.LBB6_10711:                            ;   in Loop: Header=BB6_10626 Depth=1
	s_delay_alu instid0(SALU_CYCLE_1) | instskip(SKIP_3) | instid1(VALU_DEP_1)
	s_or_b32 exec_lo, exec_lo, s10
	v_dual_mov_b32 v37, 0 :: v_dual_and_b32 v48, 0x3ffff000, v35
	s_mov_b32 s10, 0
	s_mov_b32 s20, exec_lo
                                        ; implicit-def: $vgpr36
                                        ; implicit-def: $vgpr38
                                        ; implicit-def: $vgpr49
	v_cmpx_ne_u32_e64 v48, v35
	s_cbranch_execz .LBB6_10720
; %bb.10712:                            ;   in Loop: Header=BB6_10626 Depth=1
	v_lshlrev_b32_e32 v15, 5, v39
	v_and_b32_e32 v18, 0xe00, v35
	v_bfe_u32 v38, v35, 9, 3
	s_mov_b32 s21, exec_lo
	s_delay_alu instid0(VALU_DEP_3) | instskip(NEXT) | instid1(VALU_DEP_1)
	v_sub_nc_u32_e32 v15, v22, v15
	v_ashrrev_i32_e32 v16, 31, v15
	s_delay_alu instid0(VALU_DEP_1) | instskip(NEXT) | instid1(VALU_DEP_1)
	v_lshrrev_b32_e32 v16, 27, v16
	v_add_nc_u32_e32 v16, v15, v16
	s_delay_alu instid0(VALU_DEP_1) | instskip(SKIP_1) | instid1(VALU_DEP_2)
	v_and_b32_e32 v17, 0xffffffe0, v16
	v_ashrrev_i32_e32 v16, 5, v16
	v_sub_nc_u32_e32 v17, v15, v17
	v_and_b32_e32 v15, 0xfff, v35
	s_delay_alu instid0(VALU_DEP_2) | instskip(NEXT) | instid1(VALU_DEP_2)
	v_lshlrev_b32_e32 v36, 4, v17
	v_sub_nc_u32_e32 v18, v15, v18
	s_delay_alu instid0(VALU_DEP_2) | instskip(NEXT) | instid1(VALU_DEP_2)
	v_lshl_add_u32 v37, v16, 9, v36
	v_cmp_lt_i32_e32 vcc_lo, 15, v18
	s_delay_alu instid0(VALU_DEP_2) | instskip(SKIP_1) | instid1(VALU_DEP_1)
	v_sub_nc_u32_e32 v36, v15, v37
	v_add_co_ci_u32_e64 v38, s10, 0, v38, vcc_lo
	v_sub_nc_u32_e32 v39, v38, v16
	s_delay_alu instid0(VALU_DEP_3)
	v_cmpx_lt_i32_e32 15, v36
	s_cbranch_execz .LBB6_10717
; %bb.10713:                            ;   in Loop: Header=BB6_10626 Depth=1
	s_cbranch_execnz .LBB6_11039
; %bb.10714:                            ;   in Loop: Header=BB6_10626 Depth=1
	ds_load_b64 v[15:16], v0
	v_add_nc_u32_e32 v37, v37, v48
	s_mov_b32 s22, 0
	s_delay_alu instid0(VALU_DEP_1)
	v_ashrrev_i32_e32 v38, 31, v37
.LBB6_10715:                            ;   Parent Loop BB6_10626 Depth=1
                                        ; =>  This Inner Loop Header: Depth=2
	s_waitcnt lgkmcnt(0)
	v_add_co_u32 v84, s10, v15, v37
	s_delay_alu instid0(VALU_DEP_1)
	v_add_co_ci_u32_e64 v85, s10, v16, v38, s10
	v_sub_nc_u32_e32 v36, v36, v21
	v_add_co_u32 v37, s11, v37, v27
	global_load_b128 v[48:51], v[84:85], off slc dlc
	v_sub_nc_u32_e32 v39, v39, v19
	v_cmp_gt_i32_e64 s10, 16, v36
	v_add_co_ci_u32_e64 v38, s11, v38, v28, s11
	s_delay_alu instid0(VALU_DEP_2)
	s_or_b32 s22, s10, s22
	s_waitcnt vmcnt(0)
	global_store_b128 v[84:85], v[48:51], off glc slc dlc
	s_and_not1_b32 exec_lo, exec_lo, s22
	s_cbranch_execnz .LBB6_10715
; %bb.10716:                            ;   in Loop: Header=BB6_10626 Depth=1
	s_or_b32 exec_lo, exec_lo, s22
.LBB6_10717:                            ;   in Loop: Header=BB6_10626 Depth=1
	s_delay_alu instid0(SALU_CYCLE_1) | instskip(SKIP_3) | instid1(VALU_DEP_1)
	s_or_b32 exec_lo, exec_lo, s21
	v_and_b32_e32 v15, 15, v35
	s_mov_b32 s11, 0
	s_mov_b32 s21, exec_lo
                                        ; implicit-def: $vgpr38
                                        ; implicit-def: $vgpr49
	v_dual_mov_b32 v37, 0 :: v_dual_cndmask_b32 v36, v18, v15
	s_delay_alu instid0(VALU_DEP_1)
	v_cmpx_ne_u32_e32 0, v36
	s_cbranch_execz .LBB6_10719
; %bb.10718:                            ;   in Loop: Header=BB6_10626 Depth=1
	v_cmp_lt_i32_e64 s10, 0, v39
	v_sub_nc_u32_e32 v15, v18, v15
	s_mov_b32 s11, exec_lo
	s_delay_alu instid0(VALU_DEP_2) | instskip(NEXT) | instid1(VALU_DEP_1)
	v_cndmask_b32_e64 v16, 0, v19, s10
	v_sub_nc_u32_e32 v16, v16, v39
	s_delay_alu instid0(VALU_DEP_1) | instskip(SKIP_1) | instid1(VALU_DEP_2)
	v_lshl_add_u32 v38, v16, 5, v17
	v_and_b32_e32 v17, 0x3ffffe00, v35
	v_ashrrev_i32_e32 v16, 31, v38
	s_delay_alu instid0(VALU_DEP_1) | instskip(NEXT) | instid1(VALU_DEP_1)
	v_lshrrev_b32_e32 v16, 27, v16
	v_dual_cndmask_b32 v15, 0, v15 :: v_dual_add_nc_u32 v16, v38, v16
	s_delay_alu instid0(VALU_DEP_1) | instskip(NEXT) | instid1(VALU_DEP_2)
	v_add_nc_u32_e32 v37, v15, v17
	v_ashrrev_i32_e32 v49, 5, v16
.LBB6_10719:                            ;   in Loop: Header=BB6_10626 Depth=1
	s_or_b32 exec_lo, exec_lo, s21
	s_delay_alu instid0(SALU_CYCLE_1)
	s_and_b32 s10, s11, exec_lo
.LBB6_10720:                            ;   in Loop: Header=BB6_10626 Depth=1
	s_or_b32 exec_lo, exec_lo, s20
.LBB6_10721:                            ;   in Loop: Header=BB6_10626 Depth=1
	s_and_saveexec_b32 s11, s10
	s_cbranch_execz .LBB6_10732
; %bb.10722:                            ;   in Loop: Header=BB6_10626 Depth=1
	s_delay_alu instid0(VALU_DEP_1) | instskip(SKIP_1) | instid1(VALU_DEP_1)
	v_ashrrev_i32_e32 v15, 31, v36
	s_mov_b32 s10, exec_lo
	v_lshrrev_b32_e32 v15, 22, v15
	s_delay_alu instid0(VALU_DEP_1) | instskip(NEXT) | instid1(VALU_DEP_1)
	v_add_nc_u32_e32 v15, v36, v15
	v_ashrrev_i32_e32 v48, 10, v15
	s_delay_alu instid0(VALU_DEP_1) | instskip(NEXT) | instid1(VALU_DEP_1)
	v_sub_nc_u32_e32 v39, v48, v49
	v_cmpx_lt_i32_e32 0, v39
	s_cbranch_execz .LBB6_10727
; %bb.10723:                            ;   in Loop: Header=BB6_10626 Depth=1
	s_cbranch_execnz .LBB6_10985
; %bb.10724:                            ;   in Loop: Header=BB6_10626 Depth=1
	v_ashrrev_i32_e32 v15, 31, v38
	s_mov_b32 s20, 0
	s_delay_alu instid0(VALU_DEP_1) | instskip(NEXT) | instid1(VALU_DEP_1)
	v_lshrrev_b32_e32 v15, 27, v15
	v_add_nc_u32_e32 v17, v38, v15
	ds_load_b64 v[15:16], v0
	v_lshlrev_b32_e32 v18, 10, v49
	v_and_b32_e32 v17, 0xffffffe0, v17
	s_delay_alu instid0(VALU_DEP_1) | instskip(NEXT) | instid1(VALU_DEP_1)
	v_sub_nc_u32_e32 v17, v38, v17
	v_add3_u32 v49, v37, v17, v18
	s_delay_alu instid0(VALU_DEP_1)
	v_ashrrev_i32_e32 v50, 31, v49
	s_waitcnt lgkmcnt(0)
	v_dual_mov_b32 v18, v16 :: v_dual_mov_b32 v17, v15
.LBB6_10725:                            ;   Parent Loop BB6_10626 Depth=1
                                        ; =>  This Inner Loop Header: Depth=2
	s_delay_alu instid0(VALU_DEP_1) | instskip(NEXT) | instid1(VALU_DEP_2)
	v_add_co_u32 v84, vcc_lo, v49, v17
	v_add_co_ci_u32_e32 v85, vcc_lo, v50, v18, vcc_lo
	v_sub_nc_u32_e32 v39, v39, v19
	s_clause 0x1f
	flat_load_u8 v51, v[84:85] slc dlc
	flat_load_u8 v86, v[84:85] offset:32 slc dlc
	flat_load_u8 v87, v[84:85] offset:64 slc dlc
	;; [unrolled: 1-line block ×31, first 2 shown]
	v_add_co_u32 v84, vcc_lo, v49, v15
	v_add_co_ci_u32_e32 v85, vcc_lo, v50, v16, vcc_lo
	v_add_co_u32 v17, vcc_lo, v17, v30
	v_add_co_ci_u32_e32 v18, vcc_lo, v18, v32, vcc_lo
	v_add_co_u32 v15, vcc_lo, v15, v30
	v_add_co_ci_u32_e32 v16, vcc_lo, v16, v32, vcc_lo
	v_cmp_gt_i32_e32 vcc_lo, 1, v39
	s_waitcnt vmcnt(31) lgkmcnt(31)
	flat_store_b8 v[84:85], v51 glc slc dlc
	s_waitcnt vmcnt(30) lgkmcnt(31)
	flat_store_b8 v[84:85], v86 offset:32 glc slc dlc
	s_waitcnt vmcnt(29) lgkmcnt(31)
	flat_store_b8 v[84:85], v87 offset:64 glc slc dlc
	;; [unrolled: 2-line block ×31, first 2 shown]
	s_or_b32 s20, vcc_lo, s20
	s_delay_alu instid0(SALU_CYCLE_1)
	s_and_not1_b32 exec_lo, exec_lo, s20
	s_cbranch_execnz .LBB6_10725
; %bb.10726:                            ;   in Loop: Header=BB6_10626 Depth=1
	s_or_b32 exec_lo, exec_lo, s20
.LBB6_10727:                            ;   in Loop: Header=BB6_10626 Depth=1
	s_delay_alu instid0(SALU_CYCLE_1) | instskip(SKIP_1) | instid1(VALU_DEP_1)
	s_or_b32 exec_lo, exec_lo, s10
	v_lshlrev_b32_e32 v15, 10, v48
	v_cmp_ne_u32_e32 vcc_lo, v36, v15
	s_and_b32 exec_lo, exec_lo, vcc_lo
	s_cbranch_execz .LBB6_10732
; %bb.10728:                            ;   in Loop: Header=BB6_10626 Depth=1
	v_ashrrev_i32_e32 v16, 31, v38
	v_lshlrev_b32_e32 v17, 5, v39
	s_delay_alu instid0(VALU_DEP_2) | instskip(NEXT) | instid1(VALU_DEP_1)
	v_lshrrev_b32_e32 v16, 27, v16
	v_add_nc_u32_e32 v16, v38, v16
	s_delay_alu instid0(VALU_DEP_1) | instskip(NEXT) | instid1(VALU_DEP_1)
	v_and_b32_e32 v16, 0xffffffe0, v16
	v_sub_nc_u32_e32 v16, v38, v16
	s_delay_alu instid0(VALU_DEP_1) | instskip(NEXT) | instid1(VALU_DEP_1)
	v_sub_nc_u32_e32 v16, v16, v17
	v_add_nc_u32_e32 v18, v15, v16
	s_delay_alu instid0(VALU_DEP_1) | instskip(NEXT) | instid1(VALU_DEP_1)
	v_sub_nc_u32_e32 v17, v36, v18
	v_cmp_lt_i32_e32 vcc_lo, 0, v17
	s_and_b32 exec_lo, exec_lo, vcc_lo
	s_cbranch_execz .LBB6_10732
; %bb.10729:                            ;   in Loop: Header=BB6_10626 Depth=1
	s_cbranch_execnz .LBB6_11025
; %bb.10730:                            ;   in Loop: Header=BB6_10626 Depth=1
	ds_load_b64 v[15:16], v0
	v_add_nc_u32_e32 v18, v18, v37
	s_mov_b32 s20, 0
	s_delay_alu instid0(VALU_DEP_1)
	v_ashrrev_i32_e32 v36, 31, v18
.LBB6_10731:                            ;   Parent Loop BB6_10626 Depth=1
                                        ; =>  This Inner Loop Header: Depth=2
	s_waitcnt lgkmcnt(0)
	v_add_co_u32 v37, vcc_lo, v15, v18
	s_delay_alu instid0(VALU_DEP_2)
	v_add_co_ci_u32_e32 v38, vcc_lo, v16, v36, vcc_lo
	v_sub_nc_u32_e32 v17, v17, v29
	v_add_co_u32 v18, s10, v18, v29
	flat_load_u8 v39, v[37:38] slc dlc
	v_add_co_ci_u32_e64 v36, s10, v36, v33, s10
	v_cmp_gt_i32_e32 vcc_lo, 1, v17
	s_or_b32 s20, vcc_lo, s20
	s_waitcnt vmcnt(0) lgkmcnt(0)
	flat_store_b8 v[37:38], v39 glc slc dlc
	s_and_not1_b32 exec_lo, exec_lo, s20
	s_cbranch_execnz .LBB6_10731
.LBB6_10732:                            ;   in Loop: Header=BB6_10626 Depth=1
	s_or_b32 exec_lo, exec_lo, s11
	v_cmp_ne_u32_e64 s10, 0, v35
.LBB6_10733:                            ;   in Loop: Header=BB6_10626 Depth=1
	s_and_saveexec_b32 s11, s2
	s_cbranch_execz .LBB6_10755
; %bb.10734:                            ;   in Loop: Header=BB6_10626 Depth=1
	s_and_saveexec_b32 s20, s3
	s_delay_alu instid0(SALU_CYCLE_1)
	s_xor_b32 s20, exec_lo, s20
	s_cbranch_execz .LBB6_10752
; %bb.10735:                            ;   in Loop: Header=BB6_10626 Depth=1
	s_and_saveexec_b32 s21, s4
	s_cbranch_execz .LBB6_10751
; %bb.10736:                            ;   in Loop: Header=BB6_10626 Depth=1
	s_mov_b32 s23, exec_lo
	s_mov_b32 s22, exec_lo
	v_mbcnt_lo_u32_b32 v15, s23, 0
	s_waitcnt lgkmcnt(0)
	s_waitcnt_vscnt null, 0x0
	buffer_gl1_inv
	buffer_gl0_inv
	v_cmpx_eq_u32_e32 0, v15
	s_cbranch_execz .LBB6_10738
; %bb.10737:                            ;   in Loop: Header=BB6_10626 Depth=1
	s_bcnt1_i32_b32 s23, s23
	s_delay_alu instid0(SALU_CYCLE_1)
	v_dual_mov_b32 v16, v11 :: v_dual_mov_b32 v15, s23
	ds_add_u64 v0, v[15:16]
	s_cbranch_execnz .LBB6_11015
.LBB6_10738:                            ;   in Loop: Header=BB6_10626 Depth=1
	s_or_b32 exec_lo, exec_lo, s22
	s_cbranch_execnz .LBB6_11001
; %bb.10739:                            ;   in Loop: Header=BB6_10626 Depth=1
	ds_load_b64 v[15:16], v0
	v_add_co_u32 v70, vcc_lo, v70, v19
	v_add_co_ci_u32_e32 v71, vcc_lo, 0, v71, vcc_lo
	s_mov_b32 s22, exec_lo
	s_waitcnt lgkmcnt(0)
	s_delay_alu instid0(VALU_DEP_1)
	v_cmpx_lt_u64_e64 v[15:16], v[70:71]
	s_cbranch_execz .LBB6_10750
; %bb.10740:                            ;   in Loop: Header=BB6_10626 Depth=1
	s_mov_b32 s23, 0
	s_mov_b32 s26, 0
                                        ; implicit-def: $sgpr24
                                        ; implicit-def: $sgpr25
	s_branch .LBB6_10742
.LBB6_10741:                            ;   in Loop: Header=BB6_10742 Depth=2
	s_or_b32 exec_lo, exec_lo, s29
	s_delay_alu instid0(SALU_CYCLE_1) | instskip(NEXT) | instid1(SALU_CYCLE_1)
	s_and_b32 s27, exec_lo, s28
	s_or_b32 s23, s27, s23
	s_and_not1_b32 s24, s24, exec_lo
	s_and_b32 s27, s25, exec_lo
	s_delay_alu instid0(SALU_CYCLE_1)
	s_or_b32 s24, s24, s27
	s_and_not1_b32 exec_lo, exec_lo, s23
	s_cbranch_execz .LBB6_10748
.LBB6_10742:                            ;   Parent Loop BB6_10626 Depth=1
                                        ; =>  This Inner Loop Header: Depth=2
	s_add_i32 s26, s26, 1
                                        ; implicit-def: $sgpr28
	s_delay_alu instid0(SALU_CYCLE_1) | instskip(SKIP_1) | instid1(SALU_CYCLE_1)
	s_cmpk_lg_i32 s26, 0x2710
	s_cselect_b32 s27, -1, 0
	s_and_b32 vcc_lo, exec_lo, s27
	s_cbranch_vccz .LBB6_10746
.LBB6_10743:                            ;   in Loop: Header=BB6_10742 Depth=2
	s_and_not1_b32 s25, s25, exec_lo
	s_and_b32 s29, s28, exec_lo
	s_mov_b32 s28, -1
	s_or_b32 s25, s25, s29
	s_and_saveexec_b32 s29, s27
	s_cbranch_execz .LBB6_10741
; %bb.10744:                            ;   in Loop: Header=BB6_10742 Depth=2
	s_sleep 1
	s_cbranch_execnz .LBB6_11059
; %bb.10745:                            ;   in Loop: Header=BB6_10742 Depth=2
	ds_load_b64 v[15:16], v0
	s_and_not1_b32 s25, s25, exec_lo
	s_waitcnt lgkmcnt(0)
	v_cmp_ge_u64_e32 vcc_lo, v[15:16], v[70:71]
	s_or_not1_b32 s28, vcc_lo, exec_lo
	s_branch .LBB6_10741
.LBB6_10746:                            ;   in Loop: Header=BB6_10742 Depth=2
	s_cbranch_execnz .LBB6_11071
; %bb.10747:                            ;   in Loop: Header=BB6_10742 Depth=2
	ds_load_b64 v[15:16], v0
	s_and_not1_b32 s27, s27, exec_lo
	s_mov_b32 s26, 0
	s_mov_b32 s28, -1
	s_waitcnt lgkmcnt(0)
	flat_load_b32 v15, v[15:16] glc
	s_waitcnt vmcnt(0) lgkmcnt(0)
	buffer_gl1_inv
	buffer_gl0_inv
	v_cmp_eq_u32_e32 vcc_lo, 0, v15
	s_and_b32 s29, vcc_lo, exec_lo
	s_delay_alu instid0(SALU_CYCLE_1)
	s_or_b32 s27, s27, s29
	s_branch .LBB6_10743
.LBB6_10748:                            ;   in Loop: Header=BB6_10626 Depth=1
	s_or_b32 exec_lo, exec_lo, s23
	s_and_saveexec_b32 s23, s24
	s_delay_alu instid0(SALU_CYCLE_1)
	s_xor_b32 s23, exec_lo, s23
	s_cbranch_execz .LBB6_10750
; %bb.10749:                            ;   in Loop: Header=BB6_10626 Depth=1
	ds_store_b32 v0, v34
	s_cbranch_execnz .LBB6_11109
.LBB6_10750:                            ;   in Loop: Header=BB6_10626 Depth=1
	s_or_b32 exec_lo, exec_lo, s22
	;;#ASMSTART
	s_wakeup
	;;#ASMEND
.LBB6_10751:                            ;   in Loop: Header=BB6_10626 Depth=1
	s_or_b32 exec_lo, exec_lo, s21
.LBB6_10752:                            ;   in Loop: Header=BB6_10626 Depth=1
	s_and_not1_saveexec_b32 s20, s20
	s_cbranch_execz .LBB6_10754
; %bb.10753:                            ;   in Loop: Header=BB6_10626 Depth=1
	s_waitcnt lgkmcnt(0)
	s_waitcnt_vscnt null, 0x0
	buffer_gl1_inv
	buffer_gl0_inv
	s_barrier
.LBB6_10754:                            ;   in Loop: Header=BB6_10626 Depth=1
	s_or_b32 exec_lo, exec_lo, s20
.LBB6_10755:                            ;   in Loop: Header=BB6_10626 Depth=1
	s_delay_alu instid0(SALU_CYCLE_1) | instskip(SKIP_1) | instid1(VALU_DEP_1)
	s_or_b32 exec_lo, exec_lo, s11
	v_and_b32_e32 v15, 16, v103
	v_cmp_ne_u32_e32 vcc_lo, 0, v15
	s_and_b32 s11, vcc_lo, s10
	s_delay_alu instid0(SALU_CYCLE_1)
	s_and_saveexec_b32 s10, s11
	s_cbranch_execz .LBB6_10757
; %bb.10756:                            ;   in Loop: Header=BB6_10626 Depth=1
	s_waitcnt lgkmcnt(0)
	s_waitcnt_vscnt null, 0x0
	buffer_gl1_inv
	buffer_gl0_inv
.LBB6_10757:                            ;   in Loop: Header=BB6_10626 Depth=1
	s_or_b32 exec_lo, exec_lo, s10
	s_delay_alu instid0(SALU_CYCLE_1)
	s_mov_b32 s10, exec_lo
	v_cmpx_ne_u32_e32 0, v15
	s_cbranch_execz .LBB6_10761
; %bb.10758:                            ;   in Loop: Header=BB6_10626 Depth=1
	s_and_saveexec_b32 s11, s7
	s_cbranch_execz .LBB6_10760
; %bb.10759:                            ;   in Loop: Header=BB6_10626 Depth=1
	s_waitcnt lgkmcnt(0)
	s_waitcnt_vscnt null, 0x0
	flat_store_b32 v[82:83], v34
.LBB6_10760:                            ;   in Loop: Header=BB6_10626 Depth=1
	s_or_b32 exec_lo, exec_lo, s11
	v_add_co_u32 v8, vcc_lo, v8, 1
	v_add_co_ci_u32_e32 v9, vcc_lo, 0, v9, vcc_lo
	s_waitcnt lgkmcnt(0)
	s_waitcnt_vscnt null, 0x0
	flat_store_b64 v[64:65], v[8:9]
.LBB6_10761:                            ;   in Loop: Header=BB6_10626 Depth=1
	s_or_b32 exec_lo, exec_lo, s10
	v_mov_b32_e32 v17, v10
.LBB6_10762:                            ;   in Loop: Header=BB6_10626 Depth=1
	s_or_b32 exec_lo, exec_lo, s19
	s_and_saveexec_b32 s11, s18
	s_cbranch_execz .LBB6_10817
; %bb.10763:                            ;   in Loop: Header=BB6_10626 Depth=1
	v_and_b32_e32 v15, 8, v103
	s_mov_b32 s18, -1
	s_mov_b32 s10, exec_lo
	s_delay_alu instid0(VALU_DEP_1)
	v_cmpx_ne_u32_e32 0, v15
	s_cbranch_execz .LBB6_10777
; %bb.10764:                            ;   in Loop: Header=BB6_10626 Depth=1
	v_add_co_u32 v35, vcc_lo, v68, 8
	v_add_co_ci_u32_e32 v36, vcc_lo, 0, v69, vcc_lo
	v_add_co_u32 v15, vcc_lo, v8, 1
	v_add_co_ci_u32_e32 v16, vcc_lo, 0, v9, vcc_lo
	v_mov_b32_e32 v18, 1
	s_mov_b32 s18, exec_lo
	s_delay_alu instid0(VALU_DEP_2)
	v_cmpx_lt_u64_e64 v[35:36], v[15:16]
	s_cbranch_execz .LBB6_10776
; %bb.10765:                            ;   in Loop: Header=BB6_10626 Depth=1
	v_mov_b32_e32 v18, 0
	s_mov_b32 s19, 0
                                        ; implicit-def: $sgpr20
	s_branch .LBB6_10769
.LBB6_10766:                            ;   in Loop: Header=BB6_10769 Depth=2
	s_or_b32 exec_lo, exec_lo, s24
	v_mov_b32_e32 v35, 0
	s_or_not1_b32 s23, s23, exec_lo
.LBB6_10767:                            ;   in Loop: Header=BB6_10769 Depth=2
	s_or_b32 exec_lo, exec_lo, s22
	s_delay_alu instid0(VALU_DEP_1) | instskip(SKIP_2) | instid1(SALU_CYCLE_1)
	v_mov_b32_e32 v18, v35
	s_and_not1_b32 s20, s20, exec_lo
	s_and_b32 s22, s23, exec_lo
	s_or_b32 s20, s20, s22
.LBB6_10768:                            ;   in Loop: Header=BB6_10769 Depth=2
	s_or_b32 exec_lo, exec_lo, s21
	s_waitcnt vmcnt(0) lgkmcnt(0)
	v_add_co_u32 v35, vcc_lo, v68, 8
	v_add_co_ci_u32_e32 v36, vcc_lo, 0, v69, vcc_lo
	s_xor_b32 s21, s20, -1
	s_delay_alu instid0(VALU_DEP_1) | instskip(SKIP_1) | instid1(SALU_CYCLE_1)
	v_cmp_ge_u64_e32 vcc_lo, v[35:36], v[15:16]
	s_or_b32 s21, s21, vcc_lo
	s_and_b32 s21, exec_lo, s21
	s_delay_alu instid0(SALU_CYCLE_1) | instskip(NEXT) | instid1(SALU_CYCLE_1)
	s_or_b32 s19, s21, s19
	s_and_not1_b32 exec_lo, exec_lo, s19
	s_cbranch_execz .LBB6_10775
.LBB6_10769:                            ;   Parent Loop BB6_10626 Depth=1
                                        ; =>  This Inner Loop Header: Depth=2
	s_sleep 1
	flat_load_b64 v[68:69], v[64:65] glc
	v_and_b32_e32 v35, 64, v103
	s_and_not1_b32 s20, s20, exec_lo
	s_mov_b32 s21, exec_lo
	s_delay_alu instid0(VALU_DEP_1)
	v_cmpx_eq_u32_e32 0, v35
	s_cbranch_execz .LBB6_10768
; %bb.10770:                            ;   in Loop: Header=BB6_10769 Depth=2
	v_add_nc_u32_e32 v35, 1, v18
	s_mov_b32 s23, -1
	s_mov_b32 s22, exec_lo
	v_cmpx_lt_i32_e32 0x270e, v18
	s_cbranch_execz .LBB6_10767
; %bb.10771:                            ;   in Loop: Header=BB6_10769 Depth=2
	s_cbranch_execnz .LBB6_10906
; %bb.10772:                            ;   in Loop: Header=BB6_10769 Depth=2
	ds_load_b64 v[35:36], v0
	s_mov_b32 s24, exec_lo
	s_waitcnt vmcnt(0) lgkmcnt(0)
	s_waitcnt_vscnt null, 0x0
	flat_load_b32 v18, v[35:36] glc
	s_waitcnt vmcnt(0) lgkmcnt(0)
	buffer_gl1_inv
	buffer_gl0_inv
	v_cmpx_ne_u32_e32 0, v18
	s_cbranch_execz .LBB6_10766
; %bb.10773:                            ;   in Loop: Header=BB6_10769 Depth=2
	ds_store_b32 v0, v18
	s_cbranch_execnz .LBB6_10943
; %bb.10774:                            ;   in Loop: Header=BB6_10769 Depth=2
	v_or_b32_e32 v103, 64, v103
	s_xor_b32 s23, exec_lo, -1
	s_branch .LBB6_10766
.LBB6_10775:                            ;   in Loop: Header=BB6_10626 Depth=1
	s_or_b32 exec_lo, exec_lo, s19
	v_and_b32_e32 v18, 8, v103
.LBB6_10776:                            ;   in Loop: Header=BB6_10626 Depth=1
	s_or_b32 exec_lo, exec_lo, s18
	s_delay_alu instid0(VALU_DEP_1)
	v_cmp_eq_u32_e32 vcc_lo, 0, v18
	;;#ASMSTART
	s_wakeup
	;;#ASMEND
	s_or_not1_b32 s18, vcc_lo, exec_lo
.LBB6_10777:                            ;   in Loop: Header=BB6_10626 Depth=1
	s_or_b32 exec_lo, exec_lo, s10
	v_sub_nc_u32_e32 v14, v14, v17
	s_xor_b32 s10, s18, -1
	s_delay_alu instid0(VALU_DEP_1)
	v_min_i32_e32 v14, v10, v14
	s_and_saveexec_b32 s18, s10
	s_cbranch_execz .LBB6_10787
; %bb.10778:                            ;   in Loop: Header=BB6_10626 Depth=1
	v_and_b32_e32 v10, 0x100, v103
	s_mov_b32 s10, -1
                                        ; implicit-def: $vgpr15_vgpr16
	s_delay_alu instid0(VALU_DEP_1)
	v_cmp_ne_u32_e32 vcc_lo, 0, v10
	v_and_b32_e32 v10, 7, v8
	s_and_saveexec_b32 s19, vcc_lo
	s_cbranch_execz .LBB6_10782
; %bb.10779:                            ;   in Loop: Header=BB6_10626 Depth=1
	s_delay_alu instid0(VALU_DEP_1)
	v_mad_u64_u32 v[17:18], null, v10, 24, v[6:7]
	v_ashrrev_i32_e32 v15, 31, v14
	flat_load_b32 v16, v[17:18]
	flat_store_b64 v[17:18], v[14:15] offset:8
	s_waitcnt vmcnt(0) lgkmcnt(1)
	v_cmp_ne_u32_e32 vcc_lo, 1, v16
	v_cmp_eq_u32_e64 s10, 1, v16
                                        ; implicit-def: $vgpr15_vgpr16
	s_delay_alu instid0(VALU_DEP_1)
	s_and_saveexec_b32 s20, s10
	s_cbranch_execz .LBB6_10781
; %bb.10780:                            ;   in Loop: Header=BB6_10626 Depth=1
	flat_load_b32 v15, v[17:18] offset:4 glc
	s_waitcnt vmcnt(0) lgkmcnt(0)
	v_ashrrev_i32_e32 v16, 31, v15
.LBB6_10781:                            ;   in Loop: Header=BB6_10626 Depth=1
	s_or_b32 exec_lo, exec_lo, s20
	s_delay_alu instid0(SALU_CYCLE_1)
	s_or_not1_b32 s10, vcc_lo, exec_lo
.LBB6_10782:                            ;   in Loop: Header=BB6_10626 Depth=1
	s_or_b32 exec_lo, exec_lo, s19
	s_and_saveexec_b32 s19, s10
; %bb.10783:                            ;   in Loop: Header=BB6_10626 Depth=1
	v_mad_i64_i32 v[15:16], null, v10, v113, 0
; %bb.10784:                            ;   in Loop: Header=BB6_10626 Depth=1
	s_or_b32 exec_lo, exec_lo, s19
	s_delay_alu instid0(VALU_DEP_1) | instskip(SKIP_1) | instid1(VALU_DEP_3)
	v_add_co_u32 v15, vcc_lo, v66, v15
	v_and_b32_e32 v10, 0x2000, v103
	v_add_co_ci_u32_e32 v16, vcc_lo, v67, v16, vcc_lo
	s_mov_b32 s10, exec_lo
	ds_store_b64 v0, v[15:16] offset:784
	v_cmpx_ne_u32_e32 0, v10
	s_cbranch_execz .LBB6_10786
; %bb.10785:                            ;   in Loop: Header=BB6_10626 Depth=1
	ds_load_b64 v[15:16], v0 offset:584
	s_waitcnt lgkmcnt(0)
	v_add_co_u32 v15, vcc_lo, v15, 1
	v_add_co_ci_u32_e32 v16, vcc_lo, 0, v16, vcc_lo
	ds_store_b64 v0, v[15:16] offset:584
.LBB6_10786:                            ;   in Loop: Header=BB6_10626 Depth=1
	s_or_b32 exec_lo, exec_lo, s10
	v_add_co_u32 v8, vcc_lo, v8, 1
	v_add_co_ci_u32_e32 v9, vcc_lo, 0, v9, vcc_lo
.LBB6_10787:                            ;   in Loop: Header=BB6_10626 Depth=1
	s_or_b32 exec_lo, exec_lo, s18
	s_and_saveexec_b32 s10, s2
	s_cbranch_execz .LBB6_10809
; %bb.10788:                            ;   in Loop: Header=BB6_10626 Depth=1
	s_and_saveexec_b32 s18, s3
	s_delay_alu instid0(SALU_CYCLE_1)
	s_xor_b32 s18, exec_lo, s18
	s_cbranch_execz .LBB6_10806
; %bb.10789:                            ;   in Loop: Header=BB6_10626 Depth=1
	s_and_saveexec_b32 s19, s4
	s_cbranch_execz .LBB6_10805
; %bb.10790:                            ;   in Loop: Header=BB6_10626 Depth=1
	s_mov_b32 s21, exec_lo
	s_mov_b32 s20, exec_lo
	v_mbcnt_lo_u32_b32 v10, s21, 0
	s_waitcnt lgkmcnt(0)
	s_waitcnt_vscnt null, 0x0
	buffer_gl1_inv
	buffer_gl0_inv
	v_cmpx_eq_u32_e32 0, v10
	s_cbranch_execz .LBB6_10792
; %bb.10791:                            ;   in Loop: Header=BB6_10626 Depth=1
	s_bcnt1_i32_b32 s21, s21
	s_delay_alu instid0(SALU_CYCLE_1)
	v_mov_b32_e32 v10, s21
	ds_add_u64 v0, v[10:11]
	s_cbranch_execnz .LBB6_10963
.LBB6_10792:                            ;   in Loop: Header=BB6_10626 Depth=1
	s_or_b32 exec_lo, exec_lo, s20
	s_cbranch_execnz .LBB6_10947
; %bb.10793:                            ;   in Loop: Header=BB6_10626 Depth=1
	ds_load_b64 v[15:16], v0
	v_add_co_u32 v70, vcc_lo, v70, v19
	v_add_co_ci_u32_e32 v71, vcc_lo, 0, v71, vcc_lo
	s_mov_b32 s20, exec_lo
	s_waitcnt lgkmcnt(0)
	s_delay_alu instid0(VALU_DEP_1)
	v_cmpx_lt_u64_e64 v[15:16], v[70:71]
	s_cbranch_execz .LBB6_10804
; %bb.10794:                            ;   in Loop: Header=BB6_10626 Depth=1
	s_mov_b32 s21, 0
	s_mov_b32 s24, 0
                                        ; implicit-def: $sgpr22
                                        ; implicit-def: $sgpr23
	s_branch .LBB6_10796
.LBB6_10795:                            ;   in Loop: Header=BB6_10796 Depth=2
	s_or_b32 exec_lo, exec_lo, s27
	s_delay_alu instid0(SALU_CYCLE_1) | instskip(NEXT) | instid1(SALU_CYCLE_1)
	s_and_b32 s25, exec_lo, s26
	s_or_b32 s21, s25, s21
	s_and_not1_b32 s22, s22, exec_lo
	s_and_b32 s25, s23, exec_lo
	s_delay_alu instid0(SALU_CYCLE_1)
	s_or_b32 s22, s22, s25
	s_and_not1_b32 exec_lo, exec_lo, s21
	s_cbranch_execz .LBB6_10802
.LBB6_10796:                            ;   Parent Loop BB6_10626 Depth=1
                                        ; =>  This Inner Loop Header: Depth=2
	s_add_i32 s24, s24, 1
                                        ; implicit-def: $sgpr26
	s_delay_alu instid0(SALU_CYCLE_1) | instskip(SKIP_1) | instid1(SALU_CYCLE_1)
	s_cmpk_lg_i32 s24, 0x2710
	s_cselect_b32 s25, -1, 0
	s_and_b32 vcc_lo, exec_lo, s25
	s_cbranch_vccz .LBB6_10800
.LBB6_10797:                            ;   in Loop: Header=BB6_10796 Depth=2
	s_and_not1_b32 s23, s23, exec_lo
	s_and_b32 s27, s26, exec_lo
	s_mov_b32 s26, -1
	s_or_b32 s23, s23, s27
	s_and_saveexec_b32 s27, s25
	s_cbranch_execz .LBB6_10795
; %bb.10798:                            ;   in Loop: Header=BB6_10796 Depth=2
	s_sleep 1
	s_cbranch_execnz .LBB6_10999
; %bb.10799:                            ;   in Loop: Header=BB6_10796 Depth=2
	ds_load_b64 v[15:16], v0
	s_and_not1_b32 s23, s23, exec_lo
	s_waitcnt lgkmcnt(0)
	v_cmp_ge_u64_e32 vcc_lo, v[15:16], v[70:71]
	s_or_not1_b32 s26, vcc_lo, exec_lo
	s_branch .LBB6_10795
.LBB6_10800:                            ;   in Loop: Header=BB6_10796 Depth=2
	s_cbranch_execnz .LBB6_11003
; %bb.10801:                            ;   in Loop: Header=BB6_10796 Depth=2
	ds_load_b64 v[15:16], v0
	s_and_not1_b32 s25, s25, exec_lo
	s_mov_b32 s24, 0
	s_mov_b32 s26, -1
	s_waitcnt lgkmcnt(0)
	flat_load_b32 v10, v[15:16] glc
	s_waitcnt vmcnt(0) lgkmcnt(0)
	buffer_gl1_inv
	buffer_gl0_inv
	v_cmp_eq_u32_e32 vcc_lo, 0, v10
	s_and_b32 s27, vcc_lo, exec_lo
	s_delay_alu instid0(SALU_CYCLE_1)
	s_or_b32 s25, s25, s27
	s_branch .LBB6_10797
.LBB6_10802:                            ;   in Loop: Header=BB6_10626 Depth=1
	s_or_b32 exec_lo, exec_lo, s21
	s_and_saveexec_b32 s21, s22
	s_delay_alu instid0(SALU_CYCLE_1)
	s_xor_b32 s21, exec_lo, s21
	s_cbranch_execz .LBB6_10804
; %bb.10803:                            ;   in Loop: Header=BB6_10626 Depth=1
	ds_store_b32 v0, v34
	s_cbranch_execnz .LBB6_11093
.LBB6_10804:                            ;   in Loop: Header=BB6_10626 Depth=1
	s_or_b32 exec_lo, exec_lo, s20
	;;#ASMSTART
	s_wakeup
	;;#ASMEND
.LBB6_10805:                            ;   in Loop: Header=BB6_10626 Depth=1
	s_or_b32 exec_lo, exec_lo, s19
.LBB6_10806:                            ;   in Loop: Header=BB6_10626 Depth=1
	s_and_not1_saveexec_b32 s18, s18
	s_cbranch_execz .LBB6_10808
; %bb.10807:                            ;   in Loop: Header=BB6_10626 Depth=1
	s_waitcnt lgkmcnt(0)
	s_waitcnt_vscnt null, 0x0
	buffer_gl1_inv
	buffer_gl0_inv
	s_barrier
.LBB6_10808:                            ;   in Loop: Header=BB6_10626 Depth=1
	s_or_b32 exec_lo, exec_lo, s18
.LBB6_10809:                            ;   in Loop: Header=BB6_10626 Depth=1
	s_delay_alu instid0(SALU_CYCLE_1)
	s_or_b32 exec_lo, exec_lo, s10
	s_cbranch_execnz .LBB6_10892
; %bb.10810:                            ;   in Loop: Header=BB6_10626 Depth=1
	ds_load_b32 v10, v0
	v_cmp_lt_i32_e32 vcc_lo, 0, v14
	s_waitcnt lgkmcnt(0)
	v_readfirstlane_b32 s10, v10
	v_and_b32_e32 v10, 16, v103
	s_delay_alu instid0(VALU_DEP_2) | instskip(NEXT) | instid1(VALU_DEP_1)
	s_cmp_eq_u32 s10, 0
	v_cmp_ne_u32_e64 s10, 0, v10
	s_cselect_b32 s18, -1, 0
	s_delay_alu instid0(SALU_CYCLE_1)
	s_and_b32 s18, vcc_lo, s18
	s_delay_alu instid0(VALU_DEP_1) | instid1(SALU_CYCLE_1)
	s_and_b32 s18, s10, s18
	s_delay_alu instid0(SALU_CYCLE_1)
	s_and_saveexec_b32 s10, s18
	s_cbranch_execz .LBB6_10812
; %bb.10811:                            ;   in Loop: Header=BB6_10626 Depth=1
	s_waitcnt_vscnt null, 0x0
	buffer_gl1_inv
	buffer_gl0_inv
.LBB6_10812:                            ;   in Loop: Header=BB6_10626 Depth=1
	s_or_b32 exec_lo, exec_lo, s10
	s_delay_alu instid0(SALU_CYCLE_1)
	s_mov_b32 s10, exec_lo
	v_cmpx_ne_u32_e32 0, v10
	s_cbranch_execz .LBB6_10816
; %bb.10813:                            ;   in Loop: Header=BB6_10626 Depth=1
	s_and_saveexec_b32 s18, s7
	s_cbranch_execz .LBB6_10815
; %bb.10814:                            ;   in Loop: Header=BB6_10626 Depth=1
	s_waitcnt_vscnt null, 0x0
	flat_store_b32 v[82:83], v34
.LBB6_10815:                            ;   in Loop: Header=BB6_10626 Depth=1
	s_or_b32 exec_lo, exec_lo, s18
	v_add_co_u32 v8, vcc_lo, v8, 1
	v_add_co_ci_u32_e32 v9, vcc_lo, 0, v9, vcc_lo
	s_waitcnt lgkmcnt(0)
	s_waitcnt_vscnt null, 0x0
	flat_store_b64 v[64:65], v[8:9]
.LBB6_10816:                            ;   in Loop: Header=BB6_10626 Depth=1
	s_or_b32 exec_lo, exec_lo, s10
.LBB6_10817:                            ;   in Loop: Header=BB6_10626 Depth=1
	s_delay_alu instid0(SALU_CYCLE_1) | instskip(SKIP_2) | instid1(VALU_DEP_1)
	s_or_b32 exec_lo, exec_lo, s11
	v_add_co_u32 v12, vcc_lo, v12, v80
	v_add_co_ci_u32_e32 v13, vcc_lo, 0, v13, vcc_lo
	v_cmp_ge_u64_e32 vcc_lo, v[12:13], v[4:5]
	s_or_b32 s14, vcc_lo, s14
	s_delay_alu instid0(SALU_CYCLE_1)
	s_and_not1_b32 exec_lo, exec_lo, s14
	s_cbranch_execnz .LBB6_10626
; %bb.10818:
	s_or_b32 exec_lo, exec_lo, s14
.LBB6_10819:
	s_delay_alu instid0(SALU_CYCLE_1)
	s_or_b32 exec_lo, exec_lo, s15
.LBB6_10820:
	s_delay_alu instid0(SALU_CYCLE_1) | instskip(SKIP_2) | instid1(VALU_DEP_1)
	s_or_b32 exec_lo, exec_lo, s12
	v_and_b32_e32 v0, 0x800, v103
	s_mov_b32 s0, exec_lo
	v_cmpx_eq_u32_e32 0, v0
	s_cbranch_execz .LBB6_11035
; %bb.10821:
	v_and_b32_e32 v0, 48, v103
	s_mov_b32 s1, exec_lo
	s_delay_alu instid0(VALU_DEP_1)
	v_cmpx_ne_u32_e32 0, v0
	s_cbranch_execz .LBB6_10823
; %bb.10822:
	s_waitcnt lgkmcnt(0)
	flat_store_b64 v[54:55], v[8:9] offset:104
.LBB6_10823:
	s_or_b32 exec_lo, exec_lo, s1
	v_and_b32_e32 v0, 0x88, v103
	s_mov_b32 s1, exec_lo
	s_delay_alu instid0(VALU_DEP_1)
	v_cmpx_eq_u32_e32 0x88, v0
	s_cbranch_execz .LBB6_10873
; %bb.10824:
	s_waitcnt lgkmcnt(0)
	v_add_nc_u32_e32 v0, -1, v8
	s_mov_b32 s2, 0
                                        ; implicit-def: $sgpr3
	s_delay_alu instid0(VALU_DEP_1) | instskip(NEXT) | instid1(VALU_DEP_1)
	v_and_b32_e32 v0, 7, v0
	v_mad_u64_u32 v[4:5], null, v0, 24, v[6:7]
	v_mov_b32_e32 v0, 0
	s_delay_alu instid0(VALU_DEP_2) | instskip(NEXT) | instid1(VALU_DEP_3)
	v_add_co_u32 v4, vcc_lo, v4, 8
	v_add_co_ci_u32_e32 v5, vcc_lo, 0, v5, vcc_lo
	s_branch .LBB6_10857
.LBB6_10825:
	s_trap 2
	s_sendmsg_rtn_b32 s0, sendmsg(MSG_RTN_GET_DOORBELL)
	s_mov_b32 ttmp2, m0
	s_waitcnt lgkmcnt(0)
	s_and_b32 s0, s0, 0x3ff
	s_delay_alu instid0(SALU_CYCLE_1) | instskip(NEXT) | instid1(SALU_CYCLE_1)
	s_bitset1_b32 s0, 10
	s_mov_b32 m0, s0
	s_sendmsg sendmsg(MSG_INTERRUPT)
	s_mov_b32 m0, ttmp2
.LBB6_10826:                            ; =>This Inner Loop Header: Depth=1
	s_sethalt 5
	s_branch .LBB6_10826
.LBB6_10827:
	v_bfe_u32 v10, v6, 8, 8
	v_not_b32_e32 v8, v8
	s_mov_b32 s1, exec_lo
                                        ; implicit-def: $vgpr17_vgpr18
                                        ; implicit-def: $vgpr4_vgpr5
                                        ; implicit-def: $vgpr52_vgpr53
	s_delay_alu instid0(VALU_DEP_2)
	v_cmpx_ne_u32_e64 v10, v9
	s_xor_b32 s1, exec_lo, s1
	s_cbranch_execz .LBB6_10829
; %bb.10828:
	s_clause 0x1
	flat_load_b128 v[4:7], v[2:3] offset:72
	flat_load_b64 v[10:11], v[2:3] offset:96
	v_add_nc_u32_e32 v8, v9, v8
	s_delay_alu instid0(VALU_DEP_1) | instskip(SKIP_1) | instid1(VALU_DEP_1)
	v_ashrrev_i32_e32 v9, 31, v8
	s_waitcnt vmcnt(1) lgkmcnt(1)
	v_mul_lo_u32 v9, v6, v9
	v_mad_u64_u32 v[52:53], null, v6, v8, v[4:5]
	v_mul_lo_u32 v4, v7, v8
	s_waitcnt vmcnt(0) lgkmcnt(0)
	v_lshrrev_b64 v[17:18], 12, v[10:11]
                                        ; implicit-def: $vgpr10
                                        ; implicit-def: $vgpr8
	s_delay_alu instid0(VALU_DEP_2)
	v_add3_u32 v53, v4, v53, v9
	v_dual_mov_b32 v4, v6 :: v_dual_mov_b32 v5, v7
.LBB6_10829:
	s_and_not1_saveexec_b32 s1, s1
	s_cbranch_execz .LBB6_10831
; %bb.10830:
	s_clause 0x1
	flat_load_b128 v[17:20], v[2:3] offset:72
	flat_load_b128 v[4:7], v[2:3] offset:88
	s_waitcnt vmcnt(0) lgkmcnt(0)
	v_add_nc_u32_e32 v6, v10, v8
	s_delay_alu instid0(VALU_DEP_1) | instskip(NEXT) | instid1(VALU_DEP_1)
	v_ashrrev_i32_e32 v8, 31, v6
	v_mul_lo_u32 v8, v19, v8
	v_mad_u64_u32 v[52:53], null, v19, v6, v[17:18]
	v_mul_lo_u32 v6, v20, v6
	v_lshrrev_b32_e32 v17, 1, v7
	s_delay_alu instid0(VALU_DEP_2)
	v_add3_u32 v53, v6, v53, v8
.LBB6_10831:
	s_or_b32 exec_lo, exec_lo, s1
	s_and_not1_saveexec_b32 s0, s0
	s_cbranch_execnz .LBB6_10832
; %bb.11277:
	s_getpc_b64 s[34:35]
.Lpost_getpc157:
	s_add_u32 s34, s34, (.LBB6_3-.Lpost_getpc157)&4294967295
	s_addc_u32 s35, s35, (.LBB6_3-.Lpost_getpc157)>>32
	s_setpc_b64 s[34:35]
.LBB6_10832:
	s_clause 0x1
	flat_load_b64 v[6:7], v[2:3] offset:96
	flat_load_b64 v[4:5], v[2:3] offset:72
	v_mov_b32_e32 v52, 0
	v_mov_b32_e32 v53, 0
	s_waitcnt vmcnt(1) lgkmcnt(1)
	v_lshlrev_b64 v[17:18], 9, v[6:7]
	s_or_b32 exec_lo, exec_lo, s0
	s_cbranch_execnz .LBB6_10833
; %bb.11279:
	s_getpc_b64 s[34:35]
.Lpost_getpc158:
	s_add_u32 s34, s34, (.LBB6_4-.Lpost_getpc158)&4294967295
	s_addc_u32 s35, s35, (.LBB6_4-.Lpost_getpc158)>>32
	s_setpc_b64 s[34:35]
.LBB6_10833:
	s_trap 2
	s_sendmsg_rtn_b32 s0, sendmsg(MSG_RTN_GET_DOORBELL)
	s_mov_b32 ttmp2, m0
	s_waitcnt lgkmcnt(0)
	s_and_b32 s0, s0, 0x3ff
	s_delay_alu instid0(SALU_CYCLE_1) | instskip(NEXT) | instid1(SALU_CYCLE_1)
	s_bitset1_b32 s0, 10
	s_mov_b32 m0, s0
	s_sendmsg sendmsg(MSG_INTERRUPT)
	s_mov_b32 m0, ttmp2
.LBB6_10834:                            ; =>This Inner Loop Header: Depth=1
	s_sethalt 5
	s_branch .LBB6_10834
.LBB6_10835:
	s_trap 2
	s_sendmsg_rtn_b32 s0, sendmsg(MSG_RTN_GET_DOORBELL)
	s_mov_b32 ttmp2, m0
	s_waitcnt lgkmcnt(0)
	s_and_b32 s0, s0, 0x3ff
	s_delay_alu instid0(SALU_CYCLE_1) | instskip(NEXT) | instid1(SALU_CYCLE_1)
	s_bitset1_b32 s0, 10
	s_mov_b32 m0, s0
	s_sendmsg sendmsg(MSG_INTERRUPT)
	s_mov_b32 m0, ttmp2
.LBB6_10836:                            ; =>This Inner Loop Header: Depth=1
	s_sethalt 5
	s_branch .LBB6_10836
.LBB6_10837:
	s_trap 2
	s_sendmsg_rtn_b32 s0, sendmsg(MSG_RTN_GET_DOORBELL)
	s_mov_b32 ttmp2, m0
	s_waitcnt lgkmcnt(0)
	s_and_b32 s0, s0, 0x3ff
	s_delay_alu instid0(SALU_CYCLE_1) | instskip(NEXT) | instid1(SALU_CYCLE_1)
	s_bitset1_b32 s0, 10
	s_mov_b32 m0, s0
	s_sendmsg sendmsg(MSG_INTERRUPT)
	s_mov_b32 m0, ttmp2
.LBB6_10838:                            ; =>This Inner Loop Header: Depth=1
	s_sethalt 5
	s_branch .LBB6_10838
.LBB6_10839:
	s_trap 2
	s_sendmsg_rtn_b32 s0, sendmsg(MSG_RTN_GET_DOORBELL)
	s_mov_b32 ttmp2, m0
	s_waitcnt lgkmcnt(0)
	s_and_b32 s0, s0, 0x3ff
	s_delay_alu instid0(SALU_CYCLE_1) | instskip(NEXT) | instid1(SALU_CYCLE_1)
	s_bitset1_b32 s0, 10
	s_mov_b32 m0, s0
	s_sendmsg sendmsg(MSG_INTERRUPT)
	s_mov_b32 m0, ttmp2
.LBB6_10840:                            ; =>This Inner Loop Header: Depth=1
	s_sethalt 5
	s_branch .LBB6_10840
.LBB6_10841:
	s_trap 2
	s_sendmsg_rtn_b32 s0, sendmsg(MSG_RTN_GET_DOORBELL)
	s_mov_b32 ttmp2, m0
	s_waitcnt lgkmcnt(0)
	s_and_b32 s0, s0, 0x3ff
	s_delay_alu instid0(SALU_CYCLE_1) | instskip(NEXT) | instid1(SALU_CYCLE_1)
	s_bitset1_b32 s0, 10
	s_mov_b32 m0, s0
	s_sendmsg sendmsg(MSG_INTERRUPT)
	s_mov_b32 m0, ttmp2
.LBB6_10842:                            ; =>This Inner Loop Header: Depth=1
	s_sethalt 5
	s_branch .LBB6_10842
.LBB6_10843:
	s_trap 2
	s_sendmsg_rtn_b32 s0, sendmsg(MSG_RTN_GET_DOORBELL)
	s_mov_b32 ttmp2, m0
	s_waitcnt lgkmcnt(0)
	s_and_b32 s0, s0, 0x3ff
	s_delay_alu instid0(SALU_CYCLE_1) | instskip(NEXT) | instid1(SALU_CYCLE_1)
	s_bitset1_b32 s0, 10
	s_mov_b32 m0, s0
	s_sendmsg sendmsg(MSG_INTERRUPT)
	s_mov_b32 m0, ttmp2
.LBB6_10844:                            ; =>This Inner Loop Header: Depth=1
	s_sethalt 5
	s_branch .LBB6_10844
.LBB6_10845:
	s_trap 2
	s_sendmsg_rtn_b32 s0, sendmsg(MSG_RTN_GET_DOORBELL)
	s_mov_b32 ttmp2, m0
	s_waitcnt lgkmcnt(0)
	s_and_b32 s0, s0, 0x3ff
	s_delay_alu instid0(SALU_CYCLE_1) | instskip(NEXT) | instid1(SALU_CYCLE_1)
	s_bitset1_b32 s0, 10
	s_mov_b32 m0, s0
	s_sendmsg sendmsg(MSG_INTERRUPT)
	s_mov_b32 m0, ttmp2
.LBB6_10846:                            ; =>This Inner Loop Header: Depth=1
	s_sethalt 5
	s_branch .LBB6_10846
.LBB6_10847:
	s_trap 2
	s_sendmsg_rtn_b32 s0, sendmsg(MSG_RTN_GET_DOORBELL)
	s_mov_b32 ttmp2, m0
	s_waitcnt lgkmcnt(0)
	s_and_b32 s0, s0, 0x3ff
	s_delay_alu instid0(SALU_CYCLE_1) | instskip(NEXT) | instid1(SALU_CYCLE_1)
	s_bitset1_b32 s0, 10
	s_mov_b32 m0, s0
	s_sendmsg sendmsg(MSG_INTERRUPT)
	s_mov_b32 m0, ttmp2
.LBB6_10848:                            ; =>This Inner Loop Header: Depth=1
	s_sethalt 5
	s_branch .LBB6_10848
.LBB6_10849:
	s_trap 2
	s_sendmsg_rtn_b32 s0, sendmsg(MSG_RTN_GET_DOORBELL)
	s_mov_b32 ttmp2, m0
	s_waitcnt lgkmcnt(0)
	s_and_b32 s0, s0, 0x3ff
	s_delay_alu instid0(SALU_CYCLE_1) | instskip(NEXT) | instid1(SALU_CYCLE_1)
	s_bitset1_b32 s0, 10
	s_mov_b32 m0, s0
	s_sendmsg sendmsg(MSG_INTERRUPT)
	s_mov_b32 m0, ttmp2
.LBB6_10850:                            ; =>This Inner Loop Header: Depth=1
	s_sethalt 5
	s_branch .LBB6_10850
.LBB6_10851:
	s_trap 2
	s_sendmsg_rtn_b32 s0, sendmsg(MSG_RTN_GET_DOORBELL)
	s_mov_b32 ttmp2, m0
	s_waitcnt lgkmcnt(0)
	s_and_b32 s0, s0, 0x3ff
	s_delay_alu instid0(SALU_CYCLE_1) | instskip(NEXT) | instid1(SALU_CYCLE_1)
	s_bitset1_b32 s0, 10
	s_mov_b32 m0, s0
	s_sendmsg sendmsg(MSG_INTERRUPT)
	s_mov_b32 m0, ttmp2
.LBB6_10852:                            ; =>This Inner Loop Header: Depth=1
	s_sethalt 5
	s_branch .LBB6_10852
.LBB6_10853:                            ;   in Loop: Header=BB6_10857 Depth=1
	s_or_b32 exec_lo, exec_lo, s10
	v_mov_b32_e32 v6, 0
	s_or_not1_b32 s7, s7, exec_lo
.LBB6_10854:                            ;   in Loop: Header=BB6_10857 Depth=1
	s_or_b32 exec_lo, exec_lo, s6
	s_delay_alu instid0(VALU_DEP_1)
	v_mov_b32_e32 v0, v6
	s_and_b32 s6, s7, exec_lo
.LBB6_10855:                            ;   in Loop: Header=BB6_10857 Depth=1
	s_or_b32 exec_lo, exec_lo, s5
	s_xor_b32 s5, s6, -1
	s_and_not1_b32 s3, s3, exec_lo
	s_and_b32 s5, s5, exec_lo
	s_delay_alu instid0(SALU_CYCLE_1)
	s_or_b32 s3, s3, s5
.LBB6_10856:                            ;   in Loop: Header=BB6_10857 Depth=1
	s_or_b32 exec_lo, exec_lo, s4
	s_delay_alu instid0(SALU_CYCLE_1) | instskip(NEXT) | instid1(SALU_CYCLE_1)
	s_and_b32 s4, exec_lo, s3
	s_or_b32 s2, s4, s2
	s_delay_alu instid0(SALU_CYCLE_1)
	s_and_not1_b32 exec_lo, exec_lo, s2
	s_cbranch_execz .LBB6_10872
.LBB6_10857:                            ; =>This Inner Loop Header: Depth=1
	flat_load_b64 v[6:7], v[4:5] glc dlc
	s_waitcnt vmcnt(0)
	s_or_b32 s3, s3, exec_lo
	s_mov_b32 s4, exec_lo
	s_waitcnt lgkmcnt(0)
	v_cmpx_ne_u64_e32 -1, v[6:7]
	s_cbranch_execz .LBB6_10856
; %bb.10858:                            ;   in Loop: Header=BB6_10857 Depth=1
	v_and_b32_e32 v6, 64, v103
	s_mov_b32 s6, 0
	s_mov_b32 s5, exec_lo
	s_delay_alu instid0(VALU_DEP_1)
	v_cmpx_eq_u32_e32 0, v6
	s_cbranch_execz .LBB6_10855
; %bb.10859:                            ;   in Loop: Header=BB6_10857 Depth=1
	v_add_nc_u32_e32 v6, 1, v0
	s_mov_b32 s7, -1
	s_mov_b32 s6, exec_lo
	v_cmpx_lt_i32_e32 0x270e, v0
	s_cbranch_execz .LBB6_10854
; %bb.10860:                            ;   in Loop: Header=BB6_10857 Depth=1
	s_cbranch_execnz .LBB6_10864
; %bb.10861:                            ;   in Loop: Header=BB6_10857 Depth=1
	ds_load_b64 v[6:7], v0
	s_mov_b32 s10, exec_lo
	s_waitcnt lgkmcnt(0)
	s_waitcnt_vscnt null, 0x0
	flat_load_b32 v0, v[6:7] glc
	s_waitcnt vmcnt(0) lgkmcnt(0)
	buffer_gl1_inv
	buffer_gl0_inv
	v_cmpx_ne_u32_e32 0, v0
	s_cbranch_execz .LBB6_10853
; %bb.10862:                            ;   in Loop: Header=BB6_10857 Depth=1
	ds_store_b32 v0, v0
	s_cbranch_execnz .LBB6_10886
; %bb.10863:                            ;   in Loop: Header=BB6_10857 Depth=1
	v_or_b32_e32 v103, 64, v103
	s_xor_b32 s7, exec_lo, -1
	s_branch .LBB6_10853
.LBB6_10864:
	s_trap 2
	s_sendmsg_rtn_b32 s0, sendmsg(MSG_RTN_GET_DOORBELL)
	s_mov_b32 ttmp2, m0
	s_waitcnt lgkmcnt(0)
	s_and_b32 s0, s0, 0x3ff
	s_delay_alu instid0(SALU_CYCLE_1) | instskip(NEXT) | instid1(SALU_CYCLE_1)
	s_bitset1_b32 s0, 10
	s_mov_b32 m0, s0
	s_sendmsg sendmsg(MSG_INTERRUPT)
	s_mov_b32 m0, ttmp2
.LBB6_10865:                            ; =>This Inner Loop Header: Depth=1
	s_sethalt 5
	s_branch .LBB6_10865
.LBB6_10866:
	s_trap 2
	s_sendmsg_rtn_b32 s0, sendmsg(MSG_RTN_GET_DOORBELL)
	s_mov_b32 ttmp2, m0
	s_waitcnt lgkmcnt(0)
	s_and_b32 s0, s0, 0x3ff
	s_delay_alu instid0(SALU_CYCLE_1) | instskip(NEXT) | instid1(SALU_CYCLE_1)
	s_bitset1_b32 s0, 10
	s_mov_b32 m0, s0
	s_sendmsg sendmsg(MSG_INTERRUPT)
	s_mov_b32 m0, ttmp2
.LBB6_10867:                            ; =>This Inner Loop Header: Depth=1
	s_sethalt 5
	s_branch .LBB6_10867
.LBB6_10868:
	s_trap 2
	s_sendmsg_rtn_b32 s0, sendmsg(MSG_RTN_GET_DOORBELL)
	s_mov_b32 ttmp2, m0
	s_waitcnt lgkmcnt(0)
	s_and_b32 s0, s0, 0x3ff
	s_delay_alu instid0(SALU_CYCLE_1) | instskip(NEXT) | instid1(SALU_CYCLE_1)
	s_bitset1_b32 s0, 10
	s_mov_b32 m0, s0
	s_sendmsg sendmsg(MSG_INTERRUPT)
	s_mov_b32 m0, ttmp2
.LBB6_10869:                            ; =>This Inner Loop Header: Depth=1
	s_sethalt 5
	s_branch .LBB6_10869
.LBB6_10870:
	s_trap 2
	s_sendmsg_rtn_b32 s0, sendmsg(MSG_RTN_GET_DOORBELL)
	s_mov_b32 ttmp2, m0
	s_waitcnt lgkmcnt(0)
	s_and_b32 s0, s0, 0x3ff
	s_delay_alu instid0(SALU_CYCLE_1) | instskip(NEXT) | instid1(SALU_CYCLE_1)
	s_bitset1_b32 s0, 10
	s_mov_b32 m0, s0
	s_sendmsg sendmsg(MSG_INTERRUPT)
	s_mov_b32 m0, ttmp2
.LBB6_10871:                            ; =>This Inner Loop Header: Depth=1
	s_sethalt 5
	s_branch .LBB6_10871
.LBB6_10872:
	s_or_b32 exec_lo, exec_lo, s2
.LBB6_10873:
	s_delay_alu instid0(SALU_CYCLE_1) | instskip(SKIP_2) | instid1(VALU_DEP_1)
	s_or_b32 exec_lo, exec_lo, s1
	v_and_b32_e32 v0, 0x2000, v103
	s_mov_b32 s1, exec_lo
	v_cmpx_ne_u32_e32 0, v0
	s_cbranch_execz .LBB6_10876
; %bb.10874:
	s_cbranch_execnz .LBB6_10884
; %bb.10875:
	ds_load_b64 v[4:5], v0
	s_waitcnt lgkmcnt(0)
	flat_store_b64 v[2:3], v[4:5] offset:16
.LBB6_10876:
	s_or_b32 exec_lo, exec_lo, s1
	v_cmp_ne_u32_e32 vcc_lo, 32, v1
	s_and_b32 exec_lo, exec_lo, vcc_lo
	s_cbranch_execz .LBB6_11035
; %bb.10877:
	s_mov_b32 s1, exec_lo
	v_cmpx_ne_u32_e64 v112, v1
	s_xor_b32 s1, exec_lo, s1
	s_cbranch_execz .LBB6_11033
; %bb.10878:
	v_and_b32_e32 v0, 31, v31
	s_mov_b32 s2, exec_lo
	s_delay_alu instid0(VALU_DEP_1)
	v_cmpx_eq_u32_e32 0, v0
	s_cbranch_execz .LBB6_11032
; %bb.10879:
	s_mov_b32 s4, exec_lo
	s_mov_b32 s3, exec_lo
	v_mbcnt_lo_u32_b32 v0, s4, 0
	s_waitcnt vmcnt(0) lgkmcnt(0)
	s_waitcnt_vscnt null, 0x0
	buffer_gl1_inv
	buffer_gl0_inv
	v_cmpx_eq_u32_e32 0, v0
	s_cbranch_execz .LBB6_10881
; %bb.10880:
	s_bcnt1_i32_b32 s4, s4
	s_delay_alu instid0(SALU_CYCLE_1)
	v_dual_mov_b32 v3, 0 :: v_dual_mov_b32 v2, s4
	ds_add_u64 v0, v[2:3]
	s_cbranch_execnz .LBB6_10929
.LBB6_10881:
	s_or_b32 exec_lo, exec_lo, s3
	s_cbranch_execnz .LBB6_10912
; %bb.10882:
	v_ashrrev_i32_e32 v0, 31, v1
	s_mov_b32 s3, exec_lo
	s_delay_alu instid0(VALU_DEP_1) | instskip(NEXT) | instid1(VALU_DEP_1)
	v_lshrrev_b32_e32 v0, 27, v0
	v_add_nc_u32_e32 v0, v1, v0
	ds_load_b64 v[2:3], v0
	v_ashrrev_i32_e32 v0, 5, v0
	s_delay_alu instid0(VALU_DEP_1) | instskip(SKIP_1) | instid1(VALU_DEP_2)
	v_ashrrev_i32_e32 v1, 31, v0
	v_add_co_u32 v0, vcc_lo, v70, v0
	v_add_co_ci_u32_e32 v1, vcc_lo, v71, v1, vcc_lo
	s_waitcnt lgkmcnt(0)
	s_delay_alu instid0(VALU_DEP_1)
	v_cmpx_lt_u64_e64 v[2:3], v[0:1]
	s_cbranch_execz .LBB6_11031
; %bb.10883:
	s_mov_b32 s4, 0
	s_mov_b32 s7, 0
                                        ; implicit-def: $sgpr5
                                        ; implicit-def: $sgpr6
	s_branch .LBB6_10919
.LBB6_10884:
	s_trap 2
	s_sendmsg_rtn_b32 s0, sendmsg(MSG_RTN_GET_DOORBELL)
	s_mov_b32 ttmp2, m0
	s_waitcnt lgkmcnt(0)
	s_and_b32 s0, s0, 0x3ff
	s_delay_alu instid0(SALU_CYCLE_1) | instskip(NEXT) | instid1(SALU_CYCLE_1)
	s_bitset1_b32 s0, 10
	s_mov_b32 m0, s0
	s_sendmsg sendmsg(MSG_INTERRUPT)
	s_mov_b32 m0, ttmp2
.LBB6_10885:                            ; =>This Inner Loop Header: Depth=1
	s_sethalt 5
	s_branch .LBB6_10885
.LBB6_10886:
	s_trap 2
	s_sendmsg_rtn_b32 s0, sendmsg(MSG_RTN_GET_DOORBELL)
	s_mov_b32 ttmp2, m0
	s_waitcnt lgkmcnt(0)
	s_and_b32 s0, s0, 0x3ff
	s_delay_alu instid0(SALU_CYCLE_1) | instskip(NEXT) | instid1(SALU_CYCLE_1)
	s_bitset1_b32 s0, 10
	s_mov_b32 m0, s0
	s_sendmsg sendmsg(MSG_INTERRUPT)
	s_mov_b32 m0, ttmp2
.LBB6_10887:                            ; =>This Inner Loop Header: Depth=1
	s_sethalt 5
	s_branch .LBB6_10887
.LBB6_10888:
	s_trap 2
	s_sendmsg_rtn_b32 s0, sendmsg(MSG_RTN_GET_DOORBELL)
	s_mov_b32 ttmp2, m0
	s_waitcnt lgkmcnt(0)
	s_and_b32 s0, s0, 0x3ff
	s_delay_alu instid0(SALU_CYCLE_1) | instskip(NEXT) | instid1(SALU_CYCLE_1)
	s_bitset1_b32 s0, 10
	s_mov_b32 m0, s0
	s_sendmsg sendmsg(MSG_INTERRUPT)
	s_mov_b32 m0, ttmp2
.LBB6_10889:                            ; =>This Inner Loop Header: Depth=1
	s_sethalt 5
	s_branch .LBB6_10889
.LBB6_10890:
	s_trap 2
	s_sendmsg_rtn_b32 s0, sendmsg(MSG_RTN_GET_DOORBELL)
	s_mov_b32 ttmp2, m0
	s_waitcnt lgkmcnt(0)
	s_and_b32 s0, s0, 0x3ff
	s_delay_alu instid0(SALU_CYCLE_1) | instskip(NEXT) | instid1(SALU_CYCLE_1)
	s_bitset1_b32 s0, 10
	s_mov_b32 m0, s0
	s_sendmsg sendmsg(MSG_INTERRUPT)
	s_mov_b32 m0, ttmp2
.LBB6_10891:                            ; =>This Inner Loop Header: Depth=1
	s_sethalt 5
	s_branch .LBB6_10891
.LBB6_10892:
	s_trap 2
	s_sendmsg_rtn_b32 s0, sendmsg(MSG_RTN_GET_DOORBELL)
	s_mov_b32 ttmp2, m0
	s_waitcnt lgkmcnt(0)
	s_and_b32 s0, s0, 0x3ff
	s_delay_alu instid0(SALU_CYCLE_1) | instskip(NEXT) | instid1(SALU_CYCLE_1)
	s_bitset1_b32 s0, 10
	s_mov_b32 m0, s0
	s_sendmsg sendmsg(MSG_INTERRUPT)
	s_mov_b32 m0, ttmp2
.LBB6_10893:                            ; =>This Inner Loop Header: Depth=1
	s_sethalt 5
	s_branch .LBB6_10893
.LBB6_10894:
	s_trap 2
	s_sendmsg_rtn_b32 s0, sendmsg(MSG_RTN_GET_DOORBELL)
	s_mov_b32 ttmp2, m0
	s_waitcnt lgkmcnt(0)
	s_and_b32 s0, s0, 0x3ff
	s_delay_alu instid0(SALU_CYCLE_1) | instskip(NEXT) | instid1(SALU_CYCLE_1)
	s_bitset1_b32 s0, 10
	s_mov_b32 m0, s0
	s_sendmsg sendmsg(MSG_INTERRUPT)
	s_mov_b32 m0, ttmp2
.LBB6_10895:                            ; =>This Inner Loop Header: Depth=1
	s_sethalt 5
	s_branch .LBB6_10895
.LBB6_10896:
	s_trap 2
	s_sendmsg_rtn_b32 s0, sendmsg(MSG_RTN_GET_DOORBELL)
	s_mov_b32 ttmp2, m0
	s_waitcnt lgkmcnt(0)
	s_and_b32 s0, s0, 0x3ff
	s_delay_alu instid0(SALU_CYCLE_1) | instskip(NEXT) | instid1(SALU_CYCLE_1)
	s_bitset1_b32 s0, 10
	s_mov_b32 m0, s0
	s_sendmsg sendmsg(MSG_INTERRUPT)
	s_mov_b32 m0, ttmp2
.LBB6_10897:                            ; =>This Inner Loop Header: Depth=1
	s_sethalt 5
	s_branch .LBB6_10897
.LBB6_10898:
	s_trap 2
	s_sendmsg_rtn_b32 s0, sendmsg(MSG_RTN_GET_DOORBELL)
	s_mov_b32 ttmp2, m0
	s_waitcnt lgkmcnt(0)
	s_and_b32 s0, s0, 0x3ff
	s_delay_alu instid0(SALU_CYCLE_1) | instskip(NEXT) | instid1(SALU_CYCLE_1)
	s_bitset1_b32 s0, 10
	s_mov_b32 m0, s0
	s_sendmsg sendmsg(MSG_INTERRUPT)
	s_mov_b32 m0, ttmp2
.LBB6_10899:                            ; =>This Inner Loop Header: Depth=1
	s_sethalt 5
	s_branch .LBB6_10899
.LBB6_10900:
	s_trap 2
	s_sendmsg_rtn_b32 s0, sendmsg(MSG_RTN_GET_DOORBELL)
	s_mov_b32 ttmp2, m0
	s_waitcnt lgkmcnt(0)
	s_and_b32 s0, s0, 0x3ff
	s_delay_alu instid0(SALU_CYCLE_1) | instskip(NEXT) | instid1(SALU_CYCLE_1)
	s_bitset1_b32 s0, 10
	s_mov_b32 m0, s0
	s_sendmsg sendmsg(MSG_INTERRUPT)
	s_mov_b32 m0, ttmp2
.LBB6_10901:                            ; =>This Inner Loop Header: Depth=1
	s_sethalt 5
	s_branch .LBB6_10901
.LBB6_10902:
	s_trap 2
	s_sendmsg_rtn_b32 s0, sendmsg(MSG_RTN_GET_DOORBELL)
	s_mov_b32 ttmp2, m0
	s_waitcnt lgkmcnt(0)
	s_and_b32 s0, s0, 0x3ff
	s_delay_alu instid0(SALU_CYCLE_1) | instskip(NEXT) | instid1(SALU_CYCLE_1)
	s_bitset1_b32 s0, 10
	s_mov_b32 m0, s0
	s_sendmsg sendmsg(MSG_INTERRUPT)
	s_mov_b32 m0, ttmp2
.LBB6_10903:                            ; =>This Inner Loop Header: Depth=1
	s_sethalt 5
	s_branch .LBB6_10903
.LBB6_10904:
	s_trap 2
	s_sendmsg_rtn_b32 s0, sendmsg(MSG_RTN_GET_DOORBELL)
	s_mov_b32 ttmp2, m0
	s_waitcnt lgkmcnt(0)
	s_and_b32 s0, s0, 0x3ff
	s_delay_alu instid0(SALU_CYCLE_1) | instskip(NEXT) | instid1(SALU_CYCLE_1)
	s_bitset1_b32 s0, 10
	s_mov_b32 m0, s0
	s_sendmsg sendmsg(MSG_INTERRUPT)
	s_mov_b32 m0, ttmp2
.LBB6_10905:                            ; =>This Inner Loop Header: Depth=1
	s_sethalt 5
	s_branch .LBB6_10905
.LBB6_10906:
	s_trap 2
	s_sendmsg_rtn_b32 s0, sendmsg(MSG_RTN_GET_DOORBELL)
	s_mov_b32 ttmp2, m0
	s_waitcnt lgkmcnt(0)
	s_and_b32 s0, s0, 0x3ff
	s_delay_alu instid0(SALU_CYCLE_1) | instskip(NEXT) | instid1(SALU_CYCLE_1)
	s_bitset1_b32 s0, 10
	s_mov_b32 m0, s0
	s_sendmsg sendmsg(MSG_INTERRUPT)
	s_mov_b32 m0, ttmp2
.LBB6_10907:                            ; =>This Inner Loop Header: Depth=1
	s_sethalt 5
	s_branch .LBB6_10907
.LBB6_10908:
	s_trap 2
	s_sendmsg_rtn_b32 s0, sendmsg(MSG_RTN_GET_DOORBELL)
	s_mov_b32 ttmp2, m0
	s_waitcnt lgkmcnt(0)
	s_and_b32 s0, s0, 0x3ff
	s_delay_alu instid0(SALU_CYCLE_1) | instskip(NEXT) | instid1(SALU_CYCLE_1)
	s_bitset1_b32 s0, 10
	s_mov_b32 m0, s0
	s_sendmsg sendmsg(MSG_INTERRUPT)
	s_mov_b32 m0, ttmp2
.LBB6_10909:                            ; =>This Inner Loop Header: Depth=1
	s_sethalt 5
	s_branch .LBB6_10909
.LBB6_10910:
	s_trap 2
	s_sendmsg_rtn_b32 s0, sendmsg(MSG_RTN_GET_DOORBELL)
	s_mov_b32 ttmp2, m0
	s_waitcnt lgkmcnt(0)
	s_and_b32 s0, s0, 0x3ff
	s_delay_alu instid0(SALU_CYCLE_1) | instskip(NEXT) | instid1(SALU_CYCLE_1)
	s_bitset1_b32 s0, 10
	s_mov_b32 m0, s0
	s_sendmsg sendmsg(MSG_INTERRUPT)
	s_mov_b32 m0, ttmp2
.LBB6_10911:                            ; =>This Inner Loop Header: Depth=1
	s_sethalt 5
	s_branch .LBB6_10911
.LBB6_10912:
	s_trap 2
	s_sendmsg_rtn_b32 s0, sendmsg(MSG_RTN_GET_DOORBELL)
	s_mov_b32 ttmp2, m0
	s_waitcnt lgkmcnt(0)
	s_and_b32 s0, s0, 0x3ff
	s_delay_alu instid0(SALU_CYCLE_1) | instskip(NEXT) | instid1(SALU_CYCLE_1)
	s_bitset1_b32 s0, 10
	s_mov_b32 m0, s0
	s_sendmsg sendmsg(MSG_INTERRUPT)
	s_mov_b32 m0, ttmp2
.LBB6_10913:                            ; =>This Inner Loop Header: Depth=1
	s_sethalt 5
	s_branch .LBB6_10913
.LBB6_10914:
	s_trap 2
	s_sendmsg_rtn_b32 s0, sendmsg(MSG_RTN_GET_DOORBELL)
	s_mov_b32 ttmp2, m0
	s_waitcnt lgkmcnt(0)
	s_and_b32 s0, s0, 0x3ff
	s_delay_alu instid0(SALU_CYCLE_1) | instskip(NEXT) | instid1(SALU_CYCLE_1)
	s_bitset1_b32 s0, 10
	s_mov_b32 m0, s0
	s_sendmsg sendmsg(MSG_INTERRUPT)
	s_mov_b32 m0, ttmp2
.LBB6_10915:                            ; =>This Inner Loop Header: Depth=1
	s_sethalt 5
	s_branch .LBB6_10915
.LBB6_10916:
	s_trap 2
	s_sendmsg_rtn_b32 s0, sendmsg(MSG_RTN_GET_DOORBELL)
	s_mov_b32 ttmp2, m0
	s_waitcnt lgkmcnt(0)
	s_and_b32 s0, s0, 0x3ff
	s_delay_alu instid0(SALU_CYCLE_1) | instskip(NEXT) | instid1(SALU_CYCLE_1)
	s_bitset1_b32 s0, 10
	s_mov_b32 m0, s0
	s_sendmsg sendmsg(MSG_INTERRUPT)
	s_mov_b32 m0, ttmp2
.LBB6_10917:                            ; =>This Inner Loop Header: Depth=1
	s_sethalt 5
	s_branch .LBB6_10917
.LBB6_10918:                            ;   in Loop: Header=BB6_10919 Depth=1
	s_or_b32 exec_lo, exec_lo, s12
	s_delay_alu instid0(SALU_CYCLE_1) | instskip(NEXT) | instid1(SALU_CYCLE_1)
	s_and_b32 s10, exec_lo, s11
	s_or_b32 s4, s10, s4
	s_and_not1_b32 s5, s5, exec_lo
	s_and_b32 s10, s6, exec_lo
	s_delay_alu instid0(SALU_CYCLE_1)
	s_or_b32 s5, s5, s10
	s_and_not1_b32 exec_lo, exec_lo, s4
	s_cbranch_execz .LBB6_11029
.LBB6_10919:                            ; =>This Inner Loop Header: Depth=1
	s_add_i32 s7, s7, 1
                                        ; implicit-def: $sgpr11
	s_delay_alu instid0(SALU_CYCLE_1) | instskip(SKIP_1) | instid1(SALU_CYCLE_1)
	s_cmpk_lg_i32 s7, 0x2710
	s_cselect_b32 s10, -1, 0
	s_and_b32 vcc_lo, exec_lo, s10
	s_cbranch_vccz .LBB6_10923
.LBB6_10920:                            ;   in Loop: Header=BB6_10919 Depth=1
	s_and_not1_b32 s6, s6, exec_lo
	s_and_b32 s12, s11, exec_lo
	s_mov_b32 s11, -1
	s_or_b32 s6, s6, s12
	s_and_saveexec_b32 s12, s10
	s_cbranch_execz .LBB6_10918
; %bb.10921:                            ;   in Loop: Header=BB6_10919 Depth=1
	s_sleep 1
	s_cbranch_execnz .LBB6_10945
; %bb.10922:                            ;   in Loop: Header=BB6_10919 Depth=1
	ds_load_b64 v[2:3], v0
	s_and_not1_b32 s6, s6, exec_lo
	s_waitcnt lgkmcnt(0)
	v_cmp_ge_u64_e32 vcc_lo, v[2:3], v[0:1]
	s_or_not1_b32 s11, vcc_lo, exec_lo
	s_branch .LBB6_10918
.LBB6_10923:                            ;   in Loop: Header=BB6_10919 Depth=1
	s_cbranch_execnz .LBB6_10953
; %bb.10924:                            ;   in Loop: Header=BB6_10919 Depth=1
	ds_load_b64 v[2:3], v0
	s_and_not1_b32 s10, s10, exec_lo
	s_mov_b32 s7, 0
	s_mov_b32 s11, -1
	s_waitcnt lgkmcnt(0)
	flat_load_b32 v2, v[2:3] glc
	s_waitcnt vmcnt(0) lgkmcnt(0)
	buffer_gl1_inv
	buffer_gl0_inv
	v_cmp_eq_u32_e32 vcc_lo, 0, v2
	s_and_b32 s12, vcc_lo, exec_lo
	s_delay_alu instid0(SALU_CYCLE_1)
	s_or_b32 s10, s10, s12
	s_branch .LBB6_10920
.LBB6_10925:
	s_trap 2
	s_sendmsg_rtn_b32 s0, sendmsg(MSG_RTN_GET_DOORBELL)
	s_mov_b32 ttmp2, m0
	s_waitcnt lgkmcnt(0)
	s_and_b32 s0, s0, 0x3ff
	s_delay_alu instid0(SALU_CYCLE_1) | instskip(NEXT) | instid1(SALU_CYCLE_1)
	s_bitset1_b32 s0, 10
	s_mov_b32 m0, s0
	s_sendmsg sendmsg(MSG_INTERRUPT)
	s_mov_b32 m0, ttmp2
.LBB6_10926:                            ; =>This Inner Loop Header: Depth=1
	s_sethalt 5
	s_branch .LBB6_10926
.LBB6_10927:
	s_trap 2
	s_sendmsg_rtn_b32 s0, sendmsg(MSG_RTN_GET_DOORBELL)
	s_mov_b32 ttmp2, m0
	s_waitcnt lgkmcnt(0)
	s_and_b32 s0, s0, 0x3ff
	s_delay_alu instid0(SALU_CYCLE_1) | instskip(NEXT) | instid1(SALU_CYCLE_1)
	s_bitset1_b32 s0, 10
	s_mov_b32 m0, s0
	s_sendmsg sendmsg(MSG_INTERRUPT)
	s_mov_b32 m0, ttmp2
.LBB6_10928:                            ; =>This Inner Loop Header: Depth=1
	s_sethalt 5
	s_branch .LBB6_10928
.LBB6_10929:
	s_trap 2
	s_sendmsg_rtn_b32 s0, sendmsg(MSG_RTN_GET_DOORBELL)
	s_mov_b32 ttmp2, m0
	s_waitcnt lgkmcnt(0)
	s_and_b32 s0, s0, 0x3ff
	s_delay_alu instid0(SALU_CYCLE_1) | instskip(NEXT) | instid1(SALU_CYCLE_1)
	s_bitset1_b32 s0, 10
	s_mov_b32 m0, s0
	s_sendmsg sendmsg(MSG_INTERRUPT)
	s_mov_b32 m0, ttmp2
.LBB6_10930:                            ; =>This Inner Loop Header: Depth=1
	s_sethalt 5
	s_branch .LBB6_10930
.LBB6_10931:
	s_trap 2
	s_sendmsg_rtn_b32 s0, sendmsg(MSG_RTN_GET_DOORBELL)
	s_mov_b32 ttmp2, m0
	s_waitcnt lgkmcnt(0)
	s_and_b32 s0, s0, 0x3ff
	s_delay_alu instid0(SALU_CYCLE_1) | instskip(NEXT) | instid1(SALU_CYCLE_1)
	s_bitset1_b32 s0, 10
	s_mov_b32 m0, s0
	s_sendmsg sendmsg(MSG_INTERRUPT)
	s_mov_b32 m0, ttmp2
.LBB6_10932:                            ; =>This Inner Loop Header: Depth=1
	s_sethalt 5
	s_branch .LBB6_10932
.LBB6_10933:
	s_trap 2
	s_sendmsg_rtn_b32 s0, sendmsg(MSG_RTN_GET_DOORBELL)
	s_mov_b32 ttmp2, m0
	s_waitcnt lgkmcnt(0)
	s_and_b32 s0, s0, 0x3ff
	s_delay_alu instid0(SALU_CYCLE_1) | instskip(NEXT) | instid1(SALU_CYCLE_1)
	s_bitset1_b32 s0, 10
	s_mov_b32 m0, s0
	s_sendmsg sendmsg(MSG_INTERRUPT)
	s_mov_b32 m0, ttmp2
.LBB6_10934:                            ; =>This Inner Loop Header: Depth=1
	s_sethalt 5
	s_branch .LBB6_10934
.LBB6_10935:
	s_trap 2
	s_sendmsg_rtn_b32 s0, sendmsg(MSG_RTN_GET_DOORBELL)
	s_mov_b32 ttmp2, m0
	s_waitcnt lgkmcnt(0)
	s_and_b32 s0, s0, 0x3ff
	s_delay_alu instid0(SALU_CYCLE_1) | instskip(NEXT) | instid1(SALU_CYCLE_1)
	s_bitset1_b32 s0, 10
	s_mov_b32 m0, s0
	s_sendmsg sendmsg(MSG_INTERRUPT)
	s_mov_b32 m0, ttmp2
.LBB6_10936:                            ; =>This Inner Loop Header: Depth=1
	s_sethalt 5
	s_branch .LBB6_10936
.LBB6_10937:
	s_trap 2
	s_sendmsg_rtn_b32 s0, sendmsg(MSG_RTN_GET_DOORBELL)
	s_mov_b32 ttmp2, m0
	s_waitcnt lgkmcnt(0)
	s_and_b32 s0, s0, 0x3ff
	s_delay_alu instid0(SALU_CYCLE_1) | instskip(NEXT) | instid1(SALU_CYCLE_1)
	s_bitset1_b32 s0, 10
	s_mov_b32 m0, s0
	s_sendmsg sendmsg(MSG_INTERRUPT)
	s_mov_b32 m0, ttmp2
.LBB6_10938:                            ; =>This Inner Loop Header: Depth=1
	s_sethalt 5
	s_branch .LBB6_10938
.LBB6_10939:
	s_trap 2
	s_sendmsg_rtn_b32 s0, sendmsg(MSG_RTN_GET_DOORBELL)
	s_mov_b32 ttmp2, m0
	s_waitcnt lgkmcnt(0)
	s_and_b32 s0, s0, 0x3ff
	s_delay_alu instid0(SALU_CYCLE_1) | instskip(NEXT) | instid1(SALU_CYCLE_1)
	s_bitset1_b32 s0, 10
	s_mov_b32 m0, s0
	s_sendmsg sendmsg(MSG_INTERRUPT)
	s_mov_b32 m0, ttmp2
.LBB6_10940:                            ; =>This Inner Loop Header: Depth=1
	s_sethalt 5
	s_branch .LBB6_10940
.LBB6_10941:
	s_trap 2
	s_sendmsg_rtn_b32 s0, sendmsg(MSG_RTN_GET_DOORBELL)
	s_mov_b32 ttmp2, m0
	s_waitcnt lgkmcnt(0)
	s_and_b32 s0, s0, 0x3ff
	s_delay_alu instid0(SALU_CYCLE_1) | instskip(NEXT) | instid1(SALU_CYCLE_1)
	s_bitset1_b32 s0, 10
	s_mov_b32 m0, s0
	s_sendmsg sendmsg(MSG_INTERRUPT)
	s_mov_b32 m0, ttmp2
.LBB6_10942:                            ; =>This Inner Loop Header: Depth=1
	s_sethalt 5
	s_branch .LBB6_10942
.LBB6_10943:
	s_trap 2
	s_sendmsg_rtn_b32 s0, sendmsg(MSG_RTN_GET_DOORBELL)
	s_mov_b32 ttmp2, m0
	s_waitcnt lgkmcnt(0)
	s_and_b32 s0, s0, 0x3ff
	s_delay_alu instid0(SALU_CYCLE_1) | instskip(NEXT) | instid1(SALU_CYCLE_1)
	s_bitset1_b32 s0, 10
	s_mov_b32 m0, s0
	s_sendmsg sendmsg(MSG_INTERRUPT)
	s_mov_b32 m0, ttmp2
.LBB6_10944:                            ; =>This Inner Loop Header: Depth=1
	s_sethalt 5
	s_branch .LBB6_10944
.LBB6_10945:
	s_trap 2
	s_sendmsg_rtn_b32 s0, sendmsg(MSG_RTN_GET_DOORBELL)
	s_mov_b32 ttmp2, m0
	s_waitcnt lgkmcnt(0)
	s_and_b32 s0, s0, 0x3ff
	s_delay_alu instid0(SALU_CYCLE_1) | instskip(NEXT) | instid1(SALU_CYCLE_1)
	s_bitset1_b32 s0, 10
	s_mov_b32 m0, s0
	s_sendmsg sendmsg(MSG_INTERRUPT)
	s_mov_b32 m0, ttmp2
.LBB6_10946:                            ; =>This Inner Loop Header: Depth=1
	s_sethalt 5
	s_branch .LBB6_10946
.LBB6_10947:
	s_trap 2
	s_sendmsg_rtn_b32 s0, sendmsg(MSG_RTN_GET_DOORBELL)
	s_mov_b32 ttmp2, m0
	s_waitcnt lgkmcnt(0)
	s_and_b32 s0, s0, 0x3ff
	s_delay_alu instid0(SALU_CYCLE_1) | instskip(NEXT) | instid1(SALU_CYCLE_1)
	s_bitset1_b32 s0, 10
	s_mov_b32 m0, s0
	s_sendmsg sendmsg(MSG_INTERRUPT)
	s_mov_b32 m0, ttmp2
.LBB6_10948:                            ; =>This Inner Loop Header: Depth=1
	s_sethalt 5
	s_branch .LBB6_10948
.LBB6_10949:
	s_trap 2
	s_sendmsg_rtn_b32 s0, sendmsg(MSG_RTN_GET_DOORBELL)
	s_mov_b32 ttmp2, m0
	s_waitcnt lgkmcnt(0)
	s_and_b32 s0, s0, 0x3ff
	s_delay_alu instid0(SALU_CYCLE_1) | instskip(NEXT) | instid1(SALU_CYCLE_1)
	s_bitset1_b32 s0, 10
	s_mov_b32 m0, s0
	s_sendmsg sendmsg(MSG_INTERRUPT)
	s_mov_b32 m0, ttmp2
.LBB6_10950:                            ; =>This Inner Loop Header: Depth=1
	s_sethalt 5
	s_branch .LBB6_10950
.LBB6_10951:
	s_trap 2
	s_sendmsg_rtn_b32 s0, sendmsg(MSG_RTN_GET_DOORBELL)
	s_mov_b32 ttmp2, m0
	s_waitcnt lgkmcnt(0)
	s_and_b32 s0, s0, 0x3ff
	s_delay_alu instid0(SALU_CYCLE_1) | instskip(NEXT) | instid1(SALU_CYCLE_1)
	s_bitset1_b32 s0, 10
	s_mov_b32 m0, s0
	s_sendmsg sendmsg(MSG_INTERRUPT)
	s_mov_b32 m0, ttmp2
.LBB6_10952:                            ; =>This Inner Loop Header: Depth=1
	s_sethalt 5
	s_branch .LBB6_10952
.LBB6_10953:
	s_trap 2
	s_sendmsg_rtn_b32 s0, sendmsg(MSG_RTN_GET_DOORBELL)
	s_mov_b32 ttmp2, m0
	s_waitcnt lgkmcnt(0)
	s_and_b32 s0, s0, 0x3ff
	s_delay_alu instid0(SALU_CYCLE_1) | instskip(NEXT) | instid1(SALU_CYCLE_1)
	s_bitset1_b32 s0, 10
	s_mov_b32 m0, s0
	s_sendmsg sendmsg(MSG_INTERRUPT)
	s_mov_b32 m0, ttmp2
.LBB6_10954:                            ; =>This Inner Loop Header: Depth=1
	s_sethalt 5
	s_branch .LBB6_10954
.LBB6_10955:
	s_trap 2
	s_sendmsg_rtn_b32 s0, sendmsg(MSG_RTN_GET_DOORBELL)
	s_mov_b32 ttmp2, m0
	s_waitcnt lgkmcnt(0)
	s_and_b32 s0, s0, 0x3ff
	s_delay_alu instid0(SALU_CYCLE_1) | instskip(NEXT) | instid1(SALU_CYCLE_1)
	s_bitset1_b32 s0, 10
	s_mov_b32 m0, s0
	s_sendmsg sendmsg(MSG_INTERRUPT)
	s_mov_b32 m0, ttmp2
.LBB6_10956:                            ; =>This Inner Loop Header: Depth=1
	s_sethalt 5
	s_branch .LBB6_10956
.LBB6_10957:
	s_trap 2
	s_sendmsg_rtn_b32 s0, sendmsg(MSG_RTN_GET_DOORBELL)
	s_mov_b32 ttmp2, m0
	s_waitcnt lgkmcnt(0)
	s_and_b32 s0, s0, 0x3ff
	s_delay_alu instid0(SALU_CYCLE_1) | instskip(NEXT) | instid1(SALU_CYCLE_1)
	s_bitset1_b32 s0, 10
	s_mov_b32 m0, s0
	s_sendmsg sendmsg(MSG_INTERRUPT)
	s_mov_b32 m0, ttmp2
.LBB6_10958:                            ; =>This Inner Loop Header: Depth=1
	s_sethalt 5
	s_branch .LBB6_10958
.LBB6_10959:
	s_trap 2
	s_sendmsg_rtn_b32 s0, sendmsg(MSG_RTN_GET_DOORBELL)
	s_mov_b32 ttmp2, m0
	s_waitcnt lgkmcnt(0)
	s_and_b32 s0, s0, 0x3ff
	s_delay_alu instid0(SALU_CYCLE_1) | instskip(NEXT) | instid1(SALU_CYCLE_1)
	s_bitset1_b32 s0, 10
	s_mov_b32 m0, s0
	s_sendmsg sendmsg(MSG_INTERRUPT)
	s_mov_b32 m0, ttmp2
.LBB6_10960:                            ; =>This Inner Loop Header: Depth=1
	s_sethalt 5
	s_branch .LBB6_10960
.LBB6_10961:
	s_trap 2
	s_sendmsg_rtn_b32 s0, sendmsg(MSG_RTN_GET_DOORBELL)
	s_mov_b32 ttmp2, m0
	s_waitcnt lgkmcnt(0)
	s_and_b32 s0, s0, 0x3ff
	s_delay_alu instid0(SALU_CYCLE_1) | instskip(NEXT) | instid1(SALU_CYCLE_1)
	s_bitset1_b32 s0, 10
	s_mov_b32 m0, s0
	s_sendmsg sendmsg(MSG_INTERRUPT)
	s_mov_b32 m0, ttmp2
.LBB6_10962:                            ; =>This Inner Loop Header: Depth=1
	s_sethalt 5
	s_branch .LBB6_10962
.LBB6_10963:
	s_trap 2
	s_sendmsg_rtn_b32 s0, sendmsg(MSG_RTN_GET_DOORBELL)
	s_mov_b32 ttmp2, m0
	s_waitcnt lgkmcnt(0)
	s_and_b32 s0, s0, 0x3ff
	s_delay_alu instid0(SALU_CYCLE_1) | instskip(NEXT) | instid1(SALU_CYCLE_1)
	s_bitset1_b32 s0, 10
	s_mov_b32 m0, s0
	s_sendmsg sendmsg(MSG_INTERRUPT)
	s_mov_b32 m0, ttmp2
.LBB6_10964:                            ; =>This Inner Loop Header: Depth=1
	s_sethalt 5
	s_branch .LBB6_10964
.LBB6_10965:
	s_trap 2
	s_sendmsg_rtn_b32 s0, sendmsg(MSG_RTN_GET_DOORBELL)
	s_mov_b32 ttmp2, m0
	s_waitcnt lgkmcnt(0)
	s_and_b32 s0, s0, 0x3ff
	s_delay_alu instid0(SALU_CYCLE_1) | instskip(NEXT) | instid1(SALU_CYCLE_1)
	s_bitset1_b32 s0, 10
	s_mov_b32 m0, s0
	s_sendmsg sendmsg(MSG_INTERRUPT)
	s_mov_b32 m0, ttmp2
.LBB6_10966:                            ; =>This Inner Loop Header: Depth=1
	s_sethalt 5
	s_branch .LBB6_10966
.LBB6_10967:
	s_trap 2
	s_sendmsg_rtn_b32 s0, sendmsg(MSG_RTN_GET_DOORBELL)
	s_mov_b32 ttmp2, m0
	s_waitcnt lgkmcnt(0)
	s_and_b32 s0, s0, 0x3ff
	s_delay_alu instid0(SALU_CYCLE_1) | instskip(NEXT) | instid1(SALU_CYCLE_1)
	s_bitset1_b32 s0, 10
	s_mov_b32 m0, s0
	s_sendmsg sendmsg(MSG_INTERRUPT)
	s_mov_b32 m0, ttmp2
.LBB6_10968:                            ; =>This Inner Loop Header: Depth=1
	s_sethalt 5
	s_branch .LBB6_10968
.LBB6_10969:
	s_trap 2
	s_sendmsg_rtn_b32 s0, sendmsg(MSG_RTN_GET_DOORBELL)
	s_mov_b32 ttmp2, m0
	s_waitcnt lgkmcnt(0)
	s_and_b32 s0, s0, 0x3ff
	s_delay_alu instid0(SALU_CYCLE_1) | instskip(NEXT) | instid1(SALU_CYCLE_1)
	s_bitset1_b32 s0, 10
	s_mov_b32 m0, s0
	s_sendmsg sendmsg(MSG_INTERRUPT)
	s_mov_b32 m0, ttmp2
.LBB6_10970:                            ; =>This Inner Loop Header: Depth=1
	s_sethalt 5
	s_branch .LBB6_10970
.LBB6_10971:
	s_trap 2
	s_sendmsg_rtn_b32 s0, sendmsg(MSG_RTN_GET_DOORBELL)
	s_mov_b32 ttmp2, m0
	s_waitcnt lgkmcnt(0)
	s_and_b32 s0, s0, 0x3ff
	s_delay_alu instid0(SALU_CYCLE_1) | instskip(NEXT) | instid1(SALU_CYCLE_1)
	s_bitset1_b32 s0, 10
	s_mov_b32 m0, s0
	s_sendmsg sendmsg(MSG_INTERRUPT)
	s_mov_b32 m0, ttmp2
.LBB6_10972:                            ; =>This Inner Loop Header: Depth=1
	s_sethalt 5
	s_branch .LBB6_10972
.LBB6_10973:
	s_trap 2
	s_sendmsg_rtn_b32 s0, sendmsg(MSG_RTN_GET_DOORBELL)
	s_mov_b32 ttmp2, m0
	s_waitcnt lgkmcnt(0)
	s_and_b32 s0, s0, 0x3ff
	s_delay_alu instid0(SALU_CYCLE_1) | instskip(NEXT) | instid1(SALU_CYCLE_1)
	s_bitset1_b32 s0, 10
	s_mov_b32 m0, s0
	s_sendmsg sendmsg(MSG_INTERRUPT)
	s_mov_b32 m0, ttmp2
.LBB6_10974:                            ; =>This Inner Loop Header: Depth=1
	s_sethalt 5
	s_branch .LBB6_10974
.LBB6_10975:
	s_trap 2
	s_sendmsg_rtn_b32 s0, sendmsg(MSG_RTN_GET_DOORBELL)
	s_mov_b32 ttmp2, m0
	s_waitcnt lgkmcnt(0)
	s_and_b32 s0, s0, 0x3ff
	s_delay_alu instid0(SALU_CYCLE_1) | instskip(NEXT) | instid1(SALU_CYCLE_1)
	s_bitset1_b32 s0, 10
	s_mov_b32 m0, s0
	s_sendmsg sendmsg(MSG_INTERRUPT)
	s_mov_b32 m0, ttmp2
.LBB6_10976:                            ; =>This Inner Loop Header: Depth=1
	s_sethalt 5
	s_branch .LBB6_10976
.LBB6_10977:
	s_trap 2
	s_sendmsg_rtn_b32 s0, sendmsg(MSG_RTN_GET_DOORBELL)
	s_mov_b32 ttmp2, m0
	s_waitcnt lgkmcnt(0)
	s_and_b32 s0, s0, 0x3ff
	s_delay_alu instid0(SALU_CYCLE_1) | instskip(NEXT) | instid1(SALU_CYCLE_1)
	s_bitset1_b32 s0, 10
	s_mov_b32 m0, s0
	s_sendmsg sendmsg(MSG_INTERRUPT)
	s_mov_b32 m0, ttmp2
.LBB6_10978:                            ; =>This Inner Loop Header: Depth=1
	s_sethalt 5
	s_branch .LBB6_10978
.LBB6_10979:
	s_trap 2
	s_sendmsg_rtn_b32 s0, sendmsg(MSG_RTN_GET_DOORBELL)
	s_mov_b32 ttmp2, m0
	s_waitcnt lgkmcnt(0)
	s_and_b32 s0, s0, 0x3ff
	s_delay_alu instid0(SALU_CYCLE_1) | instskip(NEXT) | instid1(SALU_CYCLE_1)
	s_bitset1_b32 s0, 10
	s_mov_b32 m0, s0
	s_sendmsg sendmsg(MSG_INTERRUPT)
	s_mov_b32 m0, ttmp2
.LBB6_10980:                            ; =>This Inner Loop Header: Depth=1
	s_sethalt 5
	s_branch .LBB6_10980
.LBB6_10981:
	s_trap 2
	s_sendmsg_rtn_b32 s0, sendmsg(MSG_RTN_GET_DOORBELL)
	s_mov_b32 ttmp2, m0
	s_waitcnt lgkmcnt(0)
	s_and_b32 s0, s0, 0x3ff
	s_delay_alu instid0(SALU_CYCLE_1) | instskip(NEXT) | instid1(SALU_CYCLE_1)
	s_bitset1_b32 s0, 10
	s_mov_b32 m0, s0
	s_sendmsg sendmsg(MSG_INTERRUPT)
	s_mov_b32 m0, ttmp2
.LBB6_10982:                            ; =>This Inner Loop Header: Depth=1
	s_sethalt 5
	s_branch .LBB6_10982
.LBB6_10983:
	s_trap 2
	s_sendmsg_rtn_b32 s0, sendmsg(MSG_RTN_GET_DOORBELL)
	s_mov_b32 ttmp2, m0
	s_waitcnt lgkmcnt(0)
	s_and_b32 s0, s0, 0x3ff
	s_delay_alu instid0(SALU_CYCLE_1) | instskip(NEXT) | instid1(SALU_CYCLE_1)
	s_bitset1_b32 s0, 10
	s_mov_b32 m0, s0
	s_sendmsg sendmsg(MSG_INTERRUPT)
	s_mov_b32 m0, ttmp2
.LBB6_10984:                            ; =>This Inner Loop Header: Depth=1
	s_sethalt 5
	s_branch .LBB6_10984
.LBB6_10985:
	s_trap 2
	s_sendmsg_rtn_b32 s0, sendmsg(MSG_RTN_GET_DOORBELL)
	s_mov_b32 ttmp2, m0
	s_waitcnt lgkmcnt(0)
	s_and_b32 s0, s0, 0x3ff
	s_delay_alu instid0(SALU_CYCLE_1) | instskip(NEXT) | instid1(SALU_CYCLE_1)
	s_bitset1_b32 s0, 10
	s_mov_b32 m0, s0
	s_sendmsg sendmsg(MSG_INTERRUPT)
	s_mov_b32 m0, ttmp2
.LBB6_10986:                            ; =>This Inner Loop Header: Depth=1
	s_sethalt 5
	s_branch .LBB6_10986
.LBB6_10987:
	s_trap 2
	s_sendmsg_rtn_b32 s0, sendmsg(MSG_RTN_GET_DOORBELL)
	s_mov_b32 ttmp2, m0
	s_waitcnt lgkmcnt(0)
	s_and_b32 s0, s0, 0x3ff
	s_delay_alu instid0(SALU_CYCLE_1) | instskip(NEXT) | instid1(SALU_CYCLE_1)
	s_bitset1_b32 s0, 10
	s_mov_b32 m0, s0
	s_sendmsg sendmsg(MSG_INTERRUPT)
	s_mov_b32 m0, ttmp2
.LBB6_10988:                            ; =>This Inner Loop Header: Depth=1
	s_sethalt 5
	s_branch .LBB6_10988
.LBB6_10989:
	s_trap 2
	s_sendmsg_rtn_b32 s0, sendmsg(MSG_RTN_GET_DOORBELL)
	s_mov_b32 ttmp2, m0
	s_waitcnt lgkmcnt(0)
	s_and_b32 s0, s0, 0x3ff
	s_delay_alu instid0(SALU_CYCLE_1) | instskip(NEXT) | instid1(SALU_CYCLE_1)
	s_bitset1_b32 s0, 10
	s_mov_b32 m0, s0
	s_sendmsg sendmsg(MSG_INTERRUPT)
	s_mov_b32 m0, ttmp2
.LBB6_10990:                            ; =>This Inner Loop Header: Depth=1
	s_sethalt 5
	s_branch .LBB6_10990
.LBB6_10991:
	s_trap 2
	s_sendmsg_rtn_b32 s0, sendmsg(MSG_RTN_GET_DOORBELL)
	s_mov_b32 ttmp2, m0
	s_waitcnt lgkmcnt(0)
	s_and_b32 s0, s0, 0x3ff
	s_delay_alu instid0(SALU_CYCLE_1) | instskip(NEXT) | instid1(SALU_CYCLE_1)
	s_bitset1_b32 s0, 10
	s_mov_b32 m0, s0
	s_sendmsg sendmsg(MSG_INTERRUPT)
	s_mov_b32 m0, ttmp2
.LBB6_10992:                            ; =>This Inner Loop Header: Depth=1
	s_sethalt 5
	s_branch .LBB6_10992
.LBB6_10993:
	s_trap 2
	s_sendmsg_rtn_b32 s0, sendmsg(MSG_RTN_GET_DOORBELL)
	s_mov_b32 ttmp2, m0
	s_waitcnt lgkmcnt(0)
	s_and_b32 s0, s0, 0x3ff
	s_delay_alu instid0(SALU_CYCLE_1) | instskip(NEXT) | instid1(SALU_CYCLE_1)
	s_bitset1_b32 s0, 10
	s_mov_b32 m0, s0
	s_sendmsg sendmsg(MSG_INTERRUPT)
	s_mov_b32 m0, ttmp2
.LBB6_10994:                            ; =>This Inner Loop Header: Depth=1
	s_sethalt 5
	s_branch .LBB6_10994
.LBB6_10995:
	s_trap 2
	s_sendmsg_rtn_b32 s0, sendmsg(MSG_RTN_GET_DOORBELL)
	s_mov_b32 ttmp2, m0
	s_waitcnt lgkmcnt(0)
	s_and_b32 s0, s0, 0x3ff
	s_delay_alu instid0(SALU_CYCLE_1) | instskip(NEXT) | instid1(SALU_CYCLE_1)
	s_bitset1_b32 s0, 10
	s_mov_b32 m0, s0
	s_sendmsg sendmsg(MSG_INTERRUPT)
	s_mov_b32 m0, ttmp2
.LBB6_10996:                            ; =>This Inner Loop Header: Depth=1
	s_sethalt 5
	s_branch .LBB6_10996
.LBB6_10997:
	s_trap 2
	s_sendmsg_rtn_b32 s0, sendmsg(MSG_RTN_GET_DOORBELL)
	s_mov_b32 ttmp2, m0
	s_waitcnt lgkmcnt(0)
	s_and_b32 s0, s0, 0x3ff
	s_delay_alu instid0(SALU_CYCLE_1) | instskip(NEXT) | instid1(SALU_CYCLE_1)
	s_bitset1_b32 s0, 10
	s_mov_b32 m0, s0
	s_sendmsg sendmsg(MSG_INTERRUPT)
	s_mov_b32 m0, ttmp2
.LBB6_10998:                            ; =>This Inner Loop Header: Depth=1
	s_sethalt 5
	s_branch .LBB6_10998
.LBB6_10999:
	s_trap 2
	s_sendmsg_rtn_b32 s0, sendmsg(MSG_RTN_GET_DOORBELL)
	s_mov_b32 ttmp2, m0
	s_waitcnt lgkmcnt(0)
	s_and_b32 s0, s0, 0x3ff
	s_delay_alu instid0(SALU_CYCLE_1) | instskip(NEXT) | instid1(SALU_CYCLE_1)
	s_bitset1_b32 s0, 10
	s_mov_b32 m0, s0
	s_sendmsg sendmsg(MSG_INTERRUPT)
	s_mov_b32 m0, ttmp2
.LBB6_11000:                            ; =>This Inner Loop Header: Depth=1
	s_sethalt 5
	s_branch .LBB6_11000
.LBB6_11001:
	s_trap 2
	s_sendmsg_rtn_b32 s0, sendmsg(MSG_RTN_GET_DOORBELL)
	s_mov_b32 ttmp2, m0
	s_waitcnt lgkmcnt(0)
	s_and_b32 s0, s0, 0x3ff
	s_delay_alu instid0(SALU_CYCLE_1) | instskip(NEXT) | instid1(SALU_CYCLE_1)
	s_bitset1_b32 s0, 10
	s_mov_b32 m0, s0
	s_sendmsg sendmsg(MSG_INTERRUPT)
	s_mov_b32 m0, ttmp2
.LBB6_11002:                            ; =>This Inner Loop Header: Depth=1
	s_sethalt 5
	s_branch .LBB6_11002
.LBB6_11003:
	s_trap 2
	s_sendmsg_rtn_b32 s0, sendmsg(MSG_RTN_GET_DOORBELL)
	s_mov_b32 ttmp2, m0
	s_waitcnt lgkmcnt(0)
	s_and_b32 s0, s0, 0x3ff
	s_delay_alu instid0(SALU_CYCLE_1) | instskip(NEXT) | instid1(SALU_CYCLE_1)
	s_bitset1_b32 s0, 10
	s_mov_b32 m0, s0
	s_sendmsg sendmsg(MSG_INTERRUPT)
	s_mov_b32 m0, ttmp2
.LBB6_11004:                            ; =>This Inner Loop Header: Depth=1
	s_sethalt 5
	s_branch .LBB6_11004
.LBB6_11005:
	s_trap 2
	s_sendmsg_rtn_b32 s0, sendmsg(MSG_RTN_GET_DOORBELL)
	s_mov_b32 ttmp2, m0
	s_waitcnt lgkmcnt(0)
	s_and_b32 s0, s0, 0x3ff
	s_delay_alu instid0(SALU_CYCLE_1) | instskip(NEXT) | instid1(SALU_CYCLE_1)
	s_bitset1_b32 s0, 10
	s_mov_b32 m0, s0
	s_sendmsg sendmsg(MSG_INTERRUPT)
	s_mov_b32 m0, ttmp2
.LBB6_11006:                            ; =>This Inner Loop Header: Depth=1
	s_sethalt 5
	s_branch .LBB6_11006
.LBB6_11007:
	s_trap 2
	s_sendmsg_rtn_b32 s0, sendmsg(MSG_RTN_GET_DOORBELL)
	s_mov_b32 ttmp2, m0
	s_waitcnt lgkmcnt(0)
	s_and_b32 s0, s0, 0x3ff
	s_delay_alu instid0(SALU_CYCLE_1) | instskip(NEXT) | instid1(SALU_CYCLE_1)
	s_bitset1_b32 s0, 10
	s_mov_b32 m0, s0
	s_sendmsg sendmsg(MSG_INTERRUPT)
	s_mov_b32 m0, ttmp2
.LBB6_11008:                            ; =>This Inner Loop Header: Depth=1
	s_sethalt 5
	s_branch .LBB6_11008
.LBB6_11009:
	s_trap 2
	s_sendmsg_rtn_b32 s0, sendmsg(MSG_RTN_GET_DOORBELL)
	s_mov_b32 ttmp2, m0
	s_waitcnt lgkmcnt(0)
	s_and_b32 s0, s0, 0x3ff
	s_delay_alu instid0(SALU_CYCLE_1) | instskip(NEXT) | instid1(SALU_CYCLE_1)
	s_bitset1_b32 s0, 10
	s_mov_b32 m0, s0
	s_sendmsg sendmsg(MSG_INTERRUPT)
	s_mov_b32 m0, ttmp2
.LBB6_11010:                            ; =>This Inner Loop Header: Depth=1
	s_sethalt 5
	s_branch .LBB6_11010
.LBB6_11011:
	s_trap 2
	s_sendmsg_rtn_b32 s0, sendmsg(MSG_RTN_GET_DOORBELL)
	s_mov_b32 ttmp2, m0
	s_waitcnt lgkmcnt(0)
	s_and_b32 s0, s0, 0x3ff
	s_delay_alu instid0(SALU_CYCLE_1) | instskip(NEXT) | instid1(SALU_CYCLE_1)
	s_bitset1_b32 s0, 10
	s_mov_b32 m0, s0
	s_sendmsg sendmsg(MSG_INTERRUPT)
	s_mov_b32 m0, ttmp2
.LBB6_11012:                            ; =>This Inner Loop Header: Depth=1
	s_sethalt 5
	s_branch .LBB6_11012
.LBB6_11013:
	s_trap 2
	s_sendmsg_rtn_b32 s0, sendmsg(MSG_RTN_GET_DOORBELL)
	s_mov_b32 ttmp2, m0
	s_waitcnt lgkmcnt(0)
	s_and_b32 s0, s0, 0x3ff
	s_delay_alu instid0(SALU_CYCLE_1) | instskip(NEXT) | instid1(SALU_CYCLE_1)
	s_bitset1_b32 s0, 10
	s_mov_b32 m0, s0
	s_sendmsg sendmsg(MSG_INTERRUPT)
	s_mov_b32 m0, ttmp2
.LBB6_11014:                            ; =>This Inner Loop Header: Depth=1
	s_sethalt 5
	s_branch .LBB6_11014
.LBB6_11015:
	s_trap 2
	s_sendmsg_rtn_b32 s0, sendmsg(MSG_RTN_GET_DOORBELL)
	s_mov_b32 ttmp2, m0
	s_waitcnt lgkmcnt(0)
	s_and_b32 s0, s0, 0x3ff
	s_delay_alu instid0(SALU_CYCLE_1) | instskip(NEXT) | instid1(SALU_CYCLE_1)
	s_bitset1_b32 s0, 10
	s_mov_b32 m0, s0
	s_sendmsg sendmsg(MSG_INTERRUPT)
	s_mov_b32 m0, ttmp2
.LBB6_11016:                            ; =>This Inner Loop Header: Depth=1
	s_sethalt 5
	s_branch .LBB6_11016
.LBB6_11017:
	s_trap 2
	s_sendmsg_rtn_b32 s0, sendmsg(MSG_RTN_GET_DOORBELL)
	s_mov_b32 ttmp2, m0
	s_waitcnt lgkmcnt(0)
	s_and_b32 s0, s0, 0x3ff
	s_delay_alu instid0(SALU_CYCLE_1) | instskip(NEXT) | instid1(SALU_CYCLE_1)
	s_bitset1_b32 s0, 10
	s_mov_b32 m0, s0
	s_sendmsg sendmsg(MSG_INTERRUPT)
	s_mov_b32 m0, ttmp2
.LBB6_11018:                            ; =>This Inner Loop Header: Depth=1
	s_sethalt 5
	s_branch .LBB6_11018
.LBB6_11019:
	s_trap 2
	s_sendmsg_rtn_b32 s0, sendmsg(MSG_RTN_GET_DOORBELL)
	s_mov_b32 ttmp2, m0
	s_waitcnt lgkmcnt(0)
	s_and_b32 s0, s0, 0x3ff
	s_delay_alu instid0(SALU_CYCLE_1) | instskip(NEXT) | instid1(SALU_CYCLE_1)
	s_bitset1_b32 s0, 10
	s_mov_b32 m0, s0
	s_sendmsg sendmsg(MSG_INTERRUPT)
	s_mov_b32 m0, ttmp2
.LBB6_11020:                            ; =>This Inner Loop Header: Depth=1
	s_sethalt 5
	s_branch .LBB6_11020
.LBB6_11021:
	s_trap 2
	s_sendmsg_rtn_b32 s0, sendmsg(MSG_RTN_GET_DOORBELL)
	s_mov_b32 ttmp2, m0
	s_waitcnt lgkmcnt(0)
	s_and_b32 s0, s0, 0x3ff
	s_delay_alu instid0(SALU_CYCLE_1) | instskip(NEXT) | instid1(SALU_CYCLE_1)
	s_bitset1_b32 s0, 10
	s_mov_b32 m0, s0
	s_sendmsg sendmsg(MSG_INTERRUPT)
	s_mov_b32 m0, ttmp2
.LBB6_11022:                            ; =>This Inner Loop Header: Depth=1
	s_sethalt 5
	s_branch .LBB6_11022
.LBB6_11023:
	s_trap 2
	s_sendmsg_rtn_b32 s0, sendmsg(MSG_RTN_GET_DOORBELL)
	s_mov_b32 ttmp2, m0
	s_waitcnt lgkmcnt(0)
	s_and_b32 s0, s0, 0x3ff
	s_delay_alu instid0(SALU_CYCLE_1) | instskip(NEXT) | instid1(SALU_CYCLE_1)
	s_bitset1_b32 s0, 10
	s_mov_b32 m0, s0
	s_sendmsg sendmsg(MSG_INTERRUPT)
	s_mov_b32 m0, ttmp2
.LBB6_11024:                            ; =>This Inner Loop Header: Depth=1
	s_sethalt 5
	s_branch .LBB6_11024
.LBB6_11025:
	s_trap 2
	s_sendmsg_rtn_b32 s0, sendmsg(MSG_RTN_GET_DOORBELL)
	s_mov_b32 ttmp2, m0
	s_waitcnt lgkmcnt(0)
	s_and_b32 s0, s0, 0x3ff
	s_delay_alu instid0(SALU_CYCLE_1) | instskip(NEXT) | instid1(SALU_CYCLE_1)
	s_bitset1_b32 s0, 10
	s_mov_b32 m0, s0
	s_sendmsg sendmsg(MSG_INTERRUPT)
	s_mov_b32 m0, ttmp2
.LBB6_11026:                            ; =>This Inner Loop Header: Depth=1
	s_sethalt 5
	s_branch .LBB6_11026
.LBB6_11027:
	s_trap 2
	s_sendmsg_rtn_b32 s0, sendmsg(MSG_RTN_GET_DOORBELL)
	s_mov_b32 ttmp2, m0
	s_waitcnt lgkmcnt(0)
	s_and_b32 s0, s0, 0x3ff
	s_delay_alu instid0(SALU_CYCLE_1) | instskip(NEXT) | instid1(SALU_CYCLE_1)
	s_bitset1_b32 s0, 10
	s_mov_b32 m0, s0
	s_sendmsg sendmsg(MSG_INTERRUPT)
	s_mov_b32 m0, ttmp2
.LBB6_11028:                            ; =>This Inner Loop Header: Depth=1
	s_sethalt 5
	s_branch .LBB6_11028
.LBB6_11029:
	s_or_b32 exec_lo, exec_lo, s4
	s_and_saveexec_b32 s4, s5
	s_delay_alu instid0(SALU_CYCLE_1)
	s_xor_b32 s4, exec_lo, s4
	s_cbranch_execz .LBB6_11031
; %bb.11030:
	v_mov_b32_e32 v0, 1
	ds_store_b32 v0, v0
	s_cbranch_execnz .LBB6_11077
.LBB6_11031:
	s_or_b32 exec_lo, exec_lo, s3
	;;#ASMSTART
	s_wakeup
	;;#ASMEND
.LBB6_11032:
	s_or_b32 exec_lo, exec_lo, s2
.LBB6_11033:
	s_and_not1_saveexec_b32 s1, s1
	s_cbranch_execz .LBB6_11035
; %bb.11034:
	s_waitcnt vmcnt(0) lgkmcnt(0)
	s_waitcnt_vscnt null, 0x0
	buffer_gl1_inv
	buffer_gl0_inv
	s_barrier
.LBB6_11035:
	s_or_b32 exec_lo, exec_lo, s0
.LBB6_11036:
	s_and_not1_saveexec_b32 s21, s13
	s_cbranch_execz .LBB6_11038
; %bb.11037:
	s_getpc_b64 s[0:1]
	s_add_u32 s0, s0, __PRETTY_FUNCTION__._ZN10PrimitivesI11rccl_float810FuncMinMaxIS0_E12FanSymmetricILi1EELi0E11ProtoSimpleILi1ELi1ELi0ELi4ELi0ELi0EELi0ELb0ELi0ELi0ELi0EEC2EiiPKiS9_PKvPvmhhhP15ncclDevWorkCollP14ncclDevWorkP2pii@rel32@lo+4
	s_addc_u32 s1, s1, __PRETTY_FUNCTION__._ZN10PrimitivesI11rccl_float810FuncMinMaxIS0_E12FanSymmetricILi1EELi0E11ProtoSimpleILi1ELi1ELi0ELi4ELi0ELi0EELi0ELb0ELi0ELi0ELi0EEC2EiiPKiS9_PKvPvmhhhP15ncclDevWorkCollP14ncclDevWorkP2pii@rel32@hi+12
	s_delay_alu instid0(SALU_CYCLE_1) | instskip(SKIP_3) | instid1(SALU_CYCLE_1)
	v_dual_mov_b32 v0, s0 :: v_dual_mov_b32 v1, s1
	s_getpc_b64 s[2:3]
	s_add_u32 s2, s2, __assert_fail@rel32@lo+4
	s_addc_u32 s3, s3, __assert_fail@rel32@hi+12
	s_swappc_b64 s[30:31], s[2:3]
	; divergent unreachable
.LBB6_11038:
	s_or_b32 exec_lo, exec_lo, s21
	s_clause 0x14
	scratch_load_b32 v76, off, s33
	scratch_load_b32 v75, off, s33 offset:4
	scratch_load_b32 v74, off, s33 offset:8
	;; [unrolled: 1-line block ×20, first 2 shown]
	v_readlane_b32 s30, v77, 0
	v_readlane_b32 s31, v77, 1
	;; [unrolled: 1-line block ×3, first 2 shown]
	s_or_saveexec_b32 s1, -1
	scratch_load_b32 v77, off, s33 offset:84 ; 4-byte Folded Reload
	s_mov_b32 exec_lo, s1
	s_addk_i32 s32, 0xffa0
	s_mov_b32 s33, s0
	s_waitcnt vmcnt(0) lgkmcnt(0)
	s_setpc_b64 s[30:31]
.LBB6_11039:
	s_trap 2
	s_sendmsg_rtn_b32 s0, sendmsg(MSG_RTN_GET_DOORBELL)
	s_mov_b32 ttmp2, m0
	s_waitcnt lgkmcnt(0)
	s_and_b32 s0, s0, 0x3ff
	s_delay_alu instid0(SALU_CYCLE_1) | instskip(NEXT) | instid1(SALU_CYCLE_1)
	s_bitset1_b32 s0, 10
	s_mov_b32 m0, s0
	s_sendmsg sendmsg(MSG_INTERRUPT)
	s_mov_b32 m0, ttmp2
.LBB6_11040:                            ; =>This Inner Loop Header: Depth=1
	s_sethalt 5
	s_branch .LBB6_11040
.LBB6_11041:
	s_trap 2
	s_sendmsg_rtn_b32 s0, sendmsg(MSG_RTN_GET_DOORBELL)
	s_mov_b32 ttmp2, m0
	s_waitcnt lgkmcnt(0)
	s_and_b32 s0, s0, 0x3ff
	s_delay_alu instid0(SALU_CYCLE_1) | instskip(NEXT) | instid1(SALU_CYCLE_1)
	s_bitset1_b32 s0, 10
	s_mov_b32 m0, s0
	s_sendmsg sendmsg(MSG_INTERRUPT)
	s_mov_b32 m0, ttmp2
.LBB6_11042:                            ; =>This Inner Loop Header: Depth=1
	s_sethalt 5
	s_branch .LBB6_11042
.LBB6_11043:
	s_trap 2
	s_sendmsg_rtn_b32 s0, sendmsg(MSG_RTN_GET_DOORBELL)
	s_mov_b32 ttmp2, m0
	s_waitcnt lgkmcnt(0)
	s_and_b32 s0, s0, 0x3ff
	s_delay_alu instid0(SALU_CYCLE_1) | instskip(NEXT) | instid1(SALU_CYCLE_1)
	s_bitset1_b32 s0, 10
	s_mov_b32 m0, s0
	s_sendmsg sendmsg(MSG_INTERRUPT)
	s_mov_b32 m0, ttmp2
.LBB6_11044:                            ; =>This Inner Loop Header: Depth=1
	s_sethalt 5
	s_branch .LBB6_11044
.LBB6_11045:
	s_trap 2
	s_sendmsg_rtn_b32 s0, sendmsg(MSG_RTN_GET_DOORBELL)
	s_mov_b32 ttmp2, m0
	s_waitcnt lgkmcnt(0)
	s_and_b32 s0, s0, 0x3ff
	s_delay_alu instid0(SALU_CYCLE_1) | instskip(NEXT) | instid1(SALU_CYCLE_1)
	s_bitset1_b32 s0, 10
	s_mov_b32 m0, s0
	s_sendmsg sendmsg(MSG_INTERRUPT)
	s_mov_b32 m0, ttmp2
.LBB6_11046:                            ; =>This Inner Loop Header: Depth=1
	s_sethalt 5
	s_branch .LBB6_11046
.LBB6_11047:
	s_trap 2
	s_sendmsg_rtn_b32 s0, sendmsg(MSG_RTN_GET_DOORBELL)
	s_mov_b32 ttmp2, m0
	s_waitcnt lgkmcnt(0)
	s_and_b32 s0, s0, 0x3ff
	s_delay_alu instid0(SALU_CYCLE_1) | instskip(NEXT) | instid1(SALU_CYCLE_1)
	s_bitset1_b32 s0, 10
	s_mov_b32 m0, s0
	s_sendmsg sendmsg(MSG_INTERRUPT)
	s_mov_b32 m0, ttmp2
.LBB6_11048:                            ; =>This Inner Loop Header: Depth=1
	s_sethalt 5
	s_branch .LBB6_11048
.LBB6_11049:
	s_trap 2
	s_sendmsg_rtn_b32 s0, sendmsg(MSG_RTN_GET_DOORBELL)
	s_mov_b32 ttmp2, m0
	s_waitcnt lgkmcnt(0)
	s_and_b32 s0, s0, 0x3ff
	s_delay_alu instid0(SALU_CYCLE_1) | instskip(NEXT) | instid1(SALU_CYCLE_1)
	s_bitset1_b32 s0, 10
	s_mov_b32 m0, s0
	s_sendmsg sendmsg(MSG_INTERRUPT)
	s_mov_b32 m0, ttmp2
.LBB6_11050:                            ; =>This Inner Loop Header: Depth=1
	s_sethalt 5
	s_branch .LBB6_11050
.LBB6_11051:
	s_trap 2
	s_sendmsg_rtn_b32 s0, sendmsg(MSG_RTN_GET_DOORBELL)
	s_mov_b32 ttmp2, m0
	s_waitcnt lgkmcnt(0)
	s_and_b32 s0, s0, 0x3ff
	s_delay_alu instid0(SALU_CYCLE_1) | instskip(NEXT) | instid1(SALU_CYCLE_1)
	s_bitset1_b32 s0, 10
	s_mov_b32 m0, s0
	s_sendmsg sendmsg(MSG_INTERRUPT)
	s_mov_b32 m0, ttmp2
.LBB6_11052:                            ; =>This Inner Loop Header: Depth=1
	s_sethalt 5
	s_branch .LBB6_11052
.LBB6_11053:
	s_trap 2
	s_sendmsg_rtn_b32 s0, sendmsg(MSG_RTN_GET_DOORBELL)
	s_mov_b32 ttmp2, m0
	s_waitcnt lgkmcnt(0)
	s_and_b32 s0, s0, 0x3ff
	s_delay_alu instid0(SALU_CYCLE_1) | instskip(NEXT) | instid1(SALU_CYCLE_1)
	s_bitset1_b32 s0, 10
	s_mov_b32 m0, s0
	s_sendmsg sendmsg(MSG_INTERRUPT)
	s_mov_b32 m0, ttmp2
.LBB6_11054:                            ; =>This Inner Loop Header: Depth=1
	s_sethalt 5
	s_branch .LBB6_11054
.LBB6_11055:
	s_trap 2
	s_sendmsg_rtn_b32 s0, sendmsg(MSG_RTN_GET_DOORBELL)
	s_mov_b32 ttmp2, m0
	s_waitcnt lgkmcnt(0)
	s_and_b32 s0, s0, 0x3ff
	s_delay_alu instid0(SALU_CYCLE_1) | instskip(NEXT) | instid1(SALU_CYCLE_1)
	s_bitset1_b32 s0, 10
	s_mov_b32 m0, s0
	s_sendmsg sendmsg(MSG_INTERRUPT)
	s_mov_b32 m0, ttmp2
.LBB6_11056:                            ; =>This Inner Loop Header: Depth=1
	s_sethalt 5
	s_branch .LBB6_11056
.LBB6_11057:
	s_trap 2
	s_sendmsg_rtn_b32 s0, sendmsg(MSG_RTN_GET_DOORBELL)
	s_mov_b32 ttmp2, m0
	s_waitcnt lgkmcnt(0)
	s_and_b32 s0, s0, 0x3ff
	s_delay_alu instid0(SALU_CYCLE_1) | instskip(NEXT) | instid1(SALU_CYCLE_1)
	s_bitset1_b32 s0, 10
	s_mov_b32 m0, s0
	s_sendmsg sendmsg(MSG_INTERRUPT)
	s_mov_b32 m0, ttmp2
.LBB6_11058:                            ; =>This Inner Loop Header: Depth=1
	s_sethalt 5
	s_branch .LBB6_11058
.LBB6_11059:
	s_trap 2
	s_sendmsg_rtn_b32 s0, sendmsg(MSG_RTN_GET_DOORBELL)
	s_mov_b32 ttmp2, m0
	s_waitcnt lgkmcnt(0)
	s_and_b32 s0, s0, 0x3ff
	s_delay_alu instid0(SALU_CYCLE_1) | instskip(NEXT) | instid1(SALU_CYCLE_1)
	s_bitset1_b32 s0, 10
	s_mov_b32 m0, s0
	s_sendmsg sendmsg(MSG_INTERRUPT)
	s_mov_b32 m0, ttmp2
.LBB6_11060:                            ; =>This Inner Loop Header: Depth=1
	s_sethalt 5
	s_branch .LBB6_11060
.LBB6_11061:
	s_trap 2
	s_sendmsg_rtn_b32 s0, sendmsg(MSG_RTN_GET_DOORBELL)
	s_mov_b32 ttmp2, m0
	s_waitcnt lgkmcnt(0)
	s_and_b32 s0, s0, 0x3ff
	s_delay_alu instid0(SALU_CYCLE_1) | instskip(NEXT) | instid1(SALU_CYCLE_1)
	s_bitset1_b32 s0, 10
	s_mov_b32 m0, s0
	s_sendmsg sendmsg(MSG_INTERRUPT)
	s_mov_b32 m0, ttmp2
.LBB6_11062:                            ; =>This Inner Loop Header: Depth=1
	s_sethalt 5
	s_branch .LBB6_11062
.LBB6_11063:
	s_trap 2
	s_sendmsg_rtn_b32 s0, sendmsg(MSG_RTN_GET_DOORBELL)
	s_mov_b32 ttmp2, m0
	s_waitcnt lgkmcnt(0)
	s_and_b32 s0, s0, 0x3ff
	s_delay_alu instid0(SALU_CYCLE_1) | instskip(NEXT) | instid1(SALU_CYCLE_1)
	s_bitset1_b32 s0, 10
	s_mov_b32 m0, s0
	s_sendmsg sendmsg(MSG_INTERRUPT)
	s_mov_b32 m0, ttmp2
.LBB6_11064:                            ; =>This Inner Loop Header: Depth=1
	s_sethalt 5
	s_branch .LBB6_11064
.LBB6_11065:
	s_trap 2
	s_sendmsg_rtn_b32 s0, sendmsg(MSG_RTN_GET_DOORBELL)
	s_mov_b32 ttmp2, m0
	s_waitcnt lgkmcnt(0)
	s_and_b32 s0, s0, 0x3ff
	s_delay_alu instid0(SALU_CYCLE_1) | instskip(NEXT) | instid1(SALU_CYCLE_1)
	s_bitset1_b32 s0, 10
	s_mov_b32 m0, s0
	s_sendmsg sendmsg(MSG_INTERRUPT)
	s_mov_b32 m0, ttmp2
.LBB6_11066:                            ; =>This Inner Loop Header: Depth=1
	s_sethalt 5
	s_branch .LBB6_11066
.LBB6_11067:
	s_trap 2
	s_sendmsg_rtn_b32 s0, sendmsg(MSG_RTN_GET_DOORBELL)
	s_mov_b32 ttmp2, m0
	s_waitcnt lgkmcnt(0)
	s_and_b32 s0, s0, 0x3ff
	s_delay_alu instid0(SALU_CYCLE_1) | instskip(NEXT) | instid1(SALU_CYCLE_1)
	s_bitset1_b32 s0, 10
	s_mov_b32 m0, s0
	s_sendmsg sendmsg(MSG_INTERRUPT)
	s_mov_b32 m0, ttmp2
.LBB6_11068:                            ; =>This Inner Loop Header: Depth=1
	s_sethalt 5
	s_branch .LBB6_11068
.LBB6_11069:
	s_trap 2
	s_sendmsg_rtn_b32 s0, sendmsg(MSG_RTN_GET_DOORBELL)
	s_mov_b32 ttmp2, m0
	s_waitcnt lgkmcnt(0)
	s_and_b32 s0, s0, 0x3ff
	s_delay_alu instid0(SALU_CYCLE_1) | instskip(NEXT) | instid1(SALU_CYCLE_1)
	s_bitset1_b32 s0, 10
	s_mov_b32 m0, s0
	s_sendmsg sendmsg(MSG_INTERRUPT)
	s_mov_b32 m0, ttmp2
.LBB6_11070:                            ; =>This Inner Loop Header: Depth=1
	s_sethalt 5
	s_branch .LBB6_11070
.LBB6_11071:
	s_trap 2
	s_sendmsg_rtn_b32 s0, sendmsg(MSG_RTN_GET_DOORBELL)
	s_mov_b32 ttmp2, m0
	s_waitcnt lgkmcnt(0)
	s_and_b32 s0, s0, 0x3ff
	s_delay_alu instid0(SALU_CYCLE_1) | instskip(NEXT) | instid1(SALU_CYCLE_1)
	s_bitset1_b32 s0, 10
	s_mov_b32 m0, s0
	s_sendmsg sendmsg(MSG_INTERRUPT)
	s_mov_b32 m0, ttmp2
.LBB6_11072:                            ; =>This Inner Loop Header: Depth=1
	s_sethalt 5
	s_branch .LBB6_11072
.LBB6_11073:
	s_trap 2
	s_sendmsg_rtn_b32 s0, sendmsg(MSG_RTN_GET_DOORBELL)
	s_mov_b32 ttmp2, m0
	s_waitcnt lgkmcnt(0)
	s_and_b32 s0, s0, 0x3ff
	s_delay_alu instid0(SALU_CYCLE_1) | instskip(NEXT) | instid1(SALU_CYCLE_1)
	s_bitset1_b32 s0, 10
	s_mov_b32 m0, s0
	s_sendmsg sendmsg(MSG_INTERRUPT)
	s_mov_b32 m0, ttmp2
.LBB6_11074:                            ; =>This Inner Loop Header: Depth=1
	s_sethalt 5
	s_branch .LBB6_11074
.LBB6_11075:
	s_trap 2
	s_sendmsg_rtn_b32 s0, sendmsg(MSG_RTN_GET_DOORBELL)
	s_mov_b32 ttmp2, m0
	s_waitcnt lgkmcnt(0)
	s_and_b32 s0, s0, 0x3ff
	s_delay_alu instid0(SALU_CYCLE_1) | instskip(NEXT) | instid1(SALU_CYCLE_1)
	s_bitset1_b32 s0, 10
	s_mov_b32 m0, s0
	s_sendmsg sendmsg(MSG_INTERRUPT)
	s_mov_b32 m0, ttmp2
.LBB6_11076:                            ; =>This Inner Loop Header: Depth=1
	s_sethalt 5
	s_branch .LBB6_11076
.LBB6_11077:
	s_trap 2
	s_sendmsg_rtn_b32 s0, sendmsg(MSG_RTN_GET_DOORBELL)
	s_mov_b32 ttmp2, m0
	s_waitcnt lgkmcnt(0)
	s_and_b32 s0, s0, 0x3ff
	s_delay_alu instid0(SALU_CYCLE_1) | instskip(NEXT) | instid1(SALU_CYCLE_1)
	s_bitset1_b32 s0, 10
	s_mov_b32 m0, s0
	s_sendmsg sendmsg(MSG_INTERRUPT)
	s_mov_b32 m0, ttmp2
.LBB6_11078:                            ; =>This Inner Loop Header: Depth=1
	s_sethalt 5
	s_branch .LBB6_11078
.LBB6_11079:
	s_trap 2
	s_sendmsg_rtn_b32 s0, sendmsg(MSG_RTN_GET_DOORBELL)
	s_mov_b32 ttmp2, m0
	s_waitcnt lgkmcnt(0)
	s_and_b32 s0, s0, 0x3ff
	s_delay_alu instid0(SALU_CYCLE_1) | instskip(NEXT) | instid1(SALU_CYCLE_1)
	s_bitset1_b32 s0, 10
	s_mov_b32 m0, s0
	s_sendmsg sendmsg(MSG_INTERRUPT)
	s_mov_b32 m0, ttmp2
.LBB6_11080:                            ; =>This Inner Loop Header: Depth=1
	s_sethalt 5
	s_branch .LBB6_11080
.LBB6_11081:
	s_trap 2
	s_sendmsg_rtn_b32 s0, sendmsg(MSG_RTN_GET_DOORBELL)
	s_mov_b32 ttmp2, m0
	s_waitcnt lgkmcnt(0)
	s_and_b32 s0, s0, 0x3ff
	s_delay_alu instid0(SALU_CYCLE_1) | instskip(NEXT) | instid1(SALU_CYCLE_1)
	s_bitset1_b32 s0, 10
	s_mov_b32 m0, s0
	s_sendmsg sendmsg(MSG_INTERRUPT)
	s_mov_b32 m0, ttmp2
.LBB6_11082:                            ; =>This Inner Loop Header: Depth=1
	s_sethalt 5
	s_branch .LBB6_11082
.LBB6_11083:
	s_trap 2
	s_sendmsg_rtn_b32 s0, sendmsg(MSG_RTN_GET_DOORBELL)
	s_mov_b32 ttmp2, m0
	s_waitcnt lgkmcnt(0)
	s_and_b32 s0, s0, 0x3ff
	s_delay_alu instid0(SALU_CYCLE_1) | instskip(NEXT) | instid1(SALU_CYCLE_1)
	s_bitset1_b32 s0, 10
	s_mov_b32 m0, s0
	s_sendmsg sendmsg(MSG_INTERRUPT)
	s_mov_b32 m0, ttmp2
.LBB6_11084:                            ; =>This Inner Loop Header: Depth=1
	s_sethalt 5
	s_branch .LBB6_11084
.LBB6_11085:
	s_trap 2
	s_sendmsg_rtn_b32 s0, sendmsg(MSG_RTN_GET_DOORBELL)
	s_mov_b32 ttmp2, m0
	s_waitcnt lgkmcnt(0)
	s_and_b32 s0, s0, 0x3ff
	s_delay_alu instid0(SALU_CYCLE_1) | instskip(NEXT) | instid1(SALU_CYCLE_1)
	s_bitset1_b32 s0, 10
	s_mov_b32 m0, s0
	s_sendmsg sendmsg(MSG_INTERRUPT)
	s_mov_b32 m0, ttmp2
.LBB6_11086:                            ; =>This Inner Loop Header: Depth=1
	s_sethalt 5
	s_branch .LBB6_11086
.LBB6_11087:
	s_trap 2
	s_sendmsg_rtn_b32 s0, sendmsg(MSG_RTN_GET_DOORBELL)
	s_mov_b32 ttmp2, m0
	s_waitcnt lgkmcnt(0)
	s_and_b32 s0, s0, 0x3ff
	s_delay_alu instid0(SALU_CYCLE_1) | instskip(NEXT) | instid1(SALU_CYCLE_1)
	s_bitset1_b32 s0, 10
	s_mov_b32 m0, s0
	s_sendmsg sendmsg(MSG_INTERRUPT)
	s_mov_b32 m0, ttmp2
.LBB6_11088:                            ; =>This Inner Loop Header: Depth=1
	s_sethalt 5
	s_branch .LBB6_11088
.LBB6_11089:
	s_trap 2
	s_sendmsg_rtn_b32 s0, sendmsg(MSG_RTN_GET_DOORBELL)
	s_mov_b32 ttmp2, m0
	s_waitcnt lgkmcnt(0)
	s_and_b32 s0, s0, 0x3ff
	s_delay_alu instid0(SALU_CYCLE_1) | instskip(NEXT) | instid1(SALU_CYCLE_1)
	s_bitset1_b32 s0, 10
	s_mov_b32 m0, s0
	s_sendmsg sendmsg(MSG_INTERRUPT)
	s_mov_b32 m0, ttmp2
.LBB6_11090:                            ; =>This Inner Loop Header: Depth=1
	s_sethalt 5
	s_branch .LBB6_11090
.LBB6_11091:
	s_trap 2
	s_sendmsg_rtn_b32 s0, sendmsg(MSG_RTN_GET_DOORBELL)
	s_mov_b32 ttmp2, m0
	s_waitcnt lgkmcnt(0)
	s_and_b32 s0, s0, 0x3ff
	s_delay_alu instid0(SALU_CYCLE_1) | instskip(NEXT) | instid1(SALU_CYCLE_1)
	s_bitset1_b32 s0, 10
	s_mov_b32 m0, s0
	s_sendmsg sendmsg(MSG_INTERRUPT)
	s_mov_b32 m0, ttmp2
.LBB6_11092:                            ; =>This Inner Loop Header: Depth=1
	s_sethalt 5
	s_branch .LBB6_11092
.LBB6_11093:
	s_trap 2
	s_sendmsg_rtn_b32 s0, sendmsg(MSG_RTN_GET_DOORBELL)
	s_mov_b32 ttmp2, m0
	s_waitcnt lgkmcnt(0)
	s_and_b32 s0, s0, 0x3ff
	s_delay_alu instid0(SALU_CYCLE_1) | instskip(NEXT) | instid1(SALU_CYCLE_1)
	s_bitset1_b32 s0, 10
	s_mov_b32 m0, s0
	s_sendmsg sendmsg(MSG_INTERRUPT)
	s_mov_b32 m0, ttmp2
.LBB6_11094:                            ; =>This Inner Loop Header: Depth=1
	s_sethalt 5
	s_branch .LBB6_11094
.LBB6_11095:
	s_trap 2
	s_sendmsg_rtn_b32 s0, sendmsg(MSG_RTN_GET_DOORBELL)
	s_mov_b32 ttmp2, m0
	s_waitcnt lgkmcnt(0)
	s_and_b32 s0, s0, 0x3ff
	s_delay_alu instid0(SALU_CYCLE_1) | instskip(NEXT) | instid1(SALU_CYCLE_1)
	s_bitset1_b32 s0, 10
	s_mov_b32 m0, s0
	s_sendmsg sendmsg(MSG_INTERRUPT)
	s_mov_b32 m0, ttmp2
.LBB6_11096:                            ; =>This Inner Loop Header: Depth=1
	s_sethalt 5
	s_branch .LBB6_11096
.LBB6_11097:
	s_trap 2
	s_sendmsg_rtn_b32 s0, sendmsg(MSG_RTN_GET_DOORBELL)
	s_mov_b32 ttmp2, m0
	s_waitcnt lgkmcnt(0)
	s_and_b32 s0, s0, 0x3ff
	s_delay_alu instid0(SALU_CYCLE_1) | instskip(NEXT) | instid1(SALU_CYCLE_1)
	s_bitset1_b32 s0, 10
	s_mov_b32 m0, s0
	s_sendmsg sendmsg(MSG_INTERRUPT)
	s_mov_b32 m0, ttmp2
.LBB6_11098:                            ; =>This Inner Loop Header: Depth=1
	s_sethalt 5
	s_branch .LBB6_11098
.LBB6_11099:
	s_trap 2
	s_sendmsg_rtn_b32 s0, sendmsg(MSG_RTN_GET_DOORBELL)
	s_mov_b32 ttmp2, m0
	s_waitcnt lgkmcnt(0)
	s_and_b32 s0, s0, 0x3ff
	s_delay_alu instid0(SALU_CYCLE_1) | instskip(NEXT) | instid1(SALU_CYCLE_1)
	s_bitset1_b32 s0, 10
	s_mov_b32 m0, s0
	s_sendmsg sendmsg(MSG_INTERRUPT)
	s_mov_b32 m0, ttmp2
.LBB6_11100:                            ; =>This Inner Loop Header: Depth=1
	s_sethalt 5
	s_branch .LBB6_11100
.LBB6_11101:
	s_trap 2
	s_sendmsg_rtn_b32 s0, sendmsg(MSG_RTN_GET_DOORBELL)
	s_mov_b32 ttmp2, m0
	s_waitcnt lgkmcnt(0)
	s_and_b32 s0, s0, 0x3ff
	s_delay_alu instid0(SALU_CYCLE_1) | instskip(NEXT) | instid1(SALU_CYCLE_1)
	s_bitset1_b32 s0, 10
	s_mov_b32 m0, s0
	s_sendmsg sendmsg(MSG_INTERRUPT)
	s_mov_b32 m0, ttmp2
.LBB6_11102:                            ; =>This Inner Loop Header: Depth=1
	s_sethalt 5
	s_branch .LBB6_11102
.LBB6_11103:
	s_trap 2
	s_sendmsg_rtn_b32 s0, sendmsg(MSG_RTN_GET_DOORBELL)
	s_mov_b32 ttmp2, m0
	s_waitcnt lgkmcnt(0)
	s_and_b32 s0, s0, 0x3ff
	s_delay_alu instid0(SALU_CYCLE_1) | instskip(NEXT) | instid1(SALU_CYCLE_1)
	s_bitset1_b32 s0, 10
	s_mov_b32 m0, s0
	s_sendmsg sendmsg(MSG_INTERRUPT)
	s_mov_b32 m0, ttmp2
.LBB6_11104:                            ; =>This Inner Loop Header: Depth=1
	s_sethalt 5
	s_branch .LBB6_11104
.LBB6_11105:
	s_trap 2
	s_sendmsg_rtn_b32 s0, sendmsg(MSG_RTN_GET_DOORBELL)
	s_mov_b32 ttmp2, m0
	s_waitcnt lgkmcnt(0)
	s_and_b32 s0, s0, 0x3ff
	s_delay_alu instid0(SALU_CYCLE_1) | instskip(NEXT) | instid1(SALU_CYCLE_1)
	s_bitset1_b32 s0, 10
	s_mov_b32 m0, s0
	s_sendmsg sendmsg(MSG_INTERRUPT)
	s_mov_b32 m0, ttmp2
.LBB6_11106:                            ; =>This Inner Loop Header: Depth=1
	s_sethalt 5
	s_branch .LBB6_11106
.LBB6_11107:
	s_trap 2
	s_sendmsg_rtn_b32 s0, sendmsg(MSG_RTN_GET_DOORBELL)
	s_mov_b32 ttmp2, m0
	s_waitcnt lgkmcnt(0)
	s_and_b32 s0, s0, 0x3ff
	s_delay_alu instid0(SALU_CYCLE_1) | instskip(NEXT) | instid1(SALU_CYCLE_1)
	s_bitset1_b32 s0, 10
	s_mov_b32 m0, s0
	s_sendmsg sendmsg(MSG_INTERRUPT)
	s_mov_b32 m0, ttmp2
.LBB6_11108:                            ; =>This Inner Loop Header: Depth=1
	s_sethalt 5
	s_branch .LBB6_11108
.LBB6_11109:
	s_trap 2
	s_sendmsg_rtn_b32 s0, sendmsg(MSG_RTN_GET_DOORBELL)
	s_mov_b32 ttmp2, m0
	s_waitcnt lgkmcnt(0)
	s_and_b32 s0, s0, 0x3ff
	s_delay_alu instid0(SALU_CYCLE_1) | instskip(NEXT) | instid1(SALU_CYCLE_1)
	s_bitset1_b32 s0, 10
	s_mov_b32 m0, s0
	s_sendmsg sendmsg(MSG_INTERRUPT)
	s_mov_b32 m0, ttmp2
.LBB6_11110:                            ; =>This Inner Loop Header: Depth=1
	s_sethalt 5
	s_branch .LBB6_11110
.LBB6_11111:
	s_trap 2
	s_sendmsg_rtn_b32 s0, sendmsg(MSG_RTN_GET_DOORBELL)
	s_mov_b32 ttmp2, m0
	s_waitcnt lgkmcnt(0)
	s_and_b32 s0, s0, 0x3ff
	s_delay_alu instid0(SALU_CYCLE_1) | instskip(NEXT) | instid1(SALU_CYCLE_1)
	s_bitset1_b32 s0, 10
	s_mov_b32 m0, s0
	s_sendmsg sendmsg(MSG_INTERRUPT)
	s_mov_b32 m0, ttmp2
.LBB6_11112:                            ; =>This Inner Loop Header: Depth=1
	s_sethalt 5
	s_branch .LBB6_11112
.LBB6_11113:
	s_trap 2
	s_sendmsg_rtn_b32 s0, sendmsg(MSG_RTN_GET_DOORBELL)
	s_mov_b32 ttmp2, m0
	s_waitcnt lgkmcnt(0)
	s_and_b32 s0, s0, 0x3ff
	s_delay_alu instid0(SALU_CYCLE_1) | instskip(NEXT) | instid1(SALU_CYCLE_1)
	s_bitset1_b32 s0, 10
	s_mov_b32 m0, s0
	s_sendmsg sendmsg(MSG_INTERRUPT)
	s_mov_b32 m0, ttmp2
.LBB6_11114:                            ; =>This Inner Loop Header: Depth=1
	s_sethalt 5
	s_branch .LBB6_11114
.Lfunc_end6:
	.size	_ZN12_GLOBAL__N_17runRingI11rccl_float810FuncMinMaxIS1_E11ProtoSimpleILi1ELi1ELi0ELi4ELi0ELi0EELi0ELi4ELi0EEEviiP15ncclDevWorkColl, .Lfunc_end6-_ZN12_GLOBAL__N_17runRingI11rccl_float810FuncMinMaxIS1_E11ProtoSimpleILi1ELi1ELi0ELi4ELi0ELi0EELi0ELi4ELi0EEEviiP15ncclDevWorkColl
                                        ; -- End function
	.section	.AMDGPU.csdata,"",@progbits
; Function info:
; codeLenInByte = 391596
; NumSgprs: 38
; NumVgprs: 184
; ScratchSize: 160
; MemoryBound: 1
	.text
	.p2align	2                               ; -- Begin function _Z50ncclDevFunc_Reduce_RING_SIMPLE_MinMax_f8e4m3_0_0_4v
	.type	_Z50ncclDevFunc_Reduce_RING_SIMPLE_MinMax_f8e4m3_0_0_4v,@function
_Z50ncclDevFunc_Reduce_RING_SIMPLE_MinMax_f8e4m3_0_0_4v: ; @_Z50ncclDevFunc_Reduce_RING_SIMPLE_MinMax_f8e4m3_0_0_4v
; %bb.0:
	s_waitcnt vmcnt(0) expcnt(0) lgkmcnt(0)
	s_mov_b32 s0, s33
	s_mov_b32 s33, s32
	s_or_saveexec_b32 s1, -1
	scratch_store_b32 off, v42, s33 offset:12 ; 4-byte Folded Spill
	s_mov_b32 exec_lo, s1
	v_writelane_b32 v42, s0, 10
	s_add_i32 s32, s32, 32
	s_clause 0x2
	scratch_store_b32 off, v40, s33 offset:8
	; meta instruction
	scratch_store_b32 off, v41, s33 offset:4
	; meta instruction
	scratch_store_b32 off, v77, s33
	v_writelane_b32 v42, s34, 0
	v_writelane_b32 v42, s35, 1
	;; [unrolled: 1-line block ×10, first 2 shown]
	s_cbranch_execnz .LBB7_7
; %bb.1:
	ds_load_b32 v0, v0
	v_and_b32_e32 v40, 0x3ff, v31
	s_mov_b32 s0, exec_lo
	s_waitcnt lgkmcnt(0)
	s_delay_alu instid0(VALU_DEP_1)
	v_cmpx_lt_i32_e64 v40, v0
	s_cbranch_execz .LBB7_9
; %bb.2:
	s_load_b32 s1, s[8:9], 0x0
	v_mov_b32_e32 v1, 0
	s_waitcnt lgkmcnt(0)
	s_cmp_lt_u32 s12, s1
	s_cselect_b32 s1, 12, 18
	s_delay_alu instid0(SALU_CYCLE_1)
	s_add_u32 s2, s8, s1
	s_addc_u32 s3, s9, 0
	s_mov_b32 s1, 0
	global_load_u16 v1, v1, s[2:3]
	s_cbranch_execnz .LBB7_24
; %bb.3:
	ds_load_b32 v2, v0
	v_mov_b32_e32 v3, v40
	s_mov_b32 s2, 0
                                        ; implicit-def: $vgpr4
	s_waitcnt vmcnt(0) lgkmcnt(0)
	v_mul_lo_u32 v2, v2, v1
	s_branch .LBB7_5
	.p2align	6
.LBB7_4:                                ;   in Loop: Header=BB7_5 Depth=1
	s_or_b32 exec_lo, exec_lo, s3
	v_add_nc_u32_e32 v3, v3, v1
	v_add_nc_u32_e32 v4, v4, v2
	s_delay_alu instid0(VALU_DEP_2) | instskip(SKIP_1) | instid1(SALU_CYCLE_1)
	v_cmp_ge_i32_e32 vcc_lo, v3, v0
	s_or_b32 s1, vcc_lo, s1
	s_and_not1_b32 exec_lo, exec_lo, s1
	s_cbranch_execz .LBB7_9
.LBB7_5:                                ; =>This Inner Loop Header: Depth=1
	ds_load_b32 v5, v4
	s_mov_b32 s3, exec_lo
	s_waitcnt lgkmcnt(0)
	v_and_b32_e32 v5, 0x1000000, v5
	s_delay_alu instid0(VALU_DEP_1)
	v_cmpx_ne_u32_e32 0, v5
	s_cbranch_execz .LBB7_4
; %bb.6:                                ;   in Loop: Header=BB7_5 Depth=1
	ds_load_b64 v[5:6], v4 offset:104
	s_waitcnt lgkmcnt(0)
	flat_load_u8 v5, v[5:6]
	s_waitcnt vmcnt(0) lgkmcnt(0)
	v_dual_mov_b32 v6, s2 :: v_dual_and_b32 v5, 0xffff, v5
	ds_store_b64 v4, v[5:6] offset:104
	s_branch .LBB7_4
.LBB7_7:
	s_trap 2
	s_sendmsg_rtn_b32 s0, sendmsg(MSG_RTN_GET_DOORBELL)
	s_mov_b32 ttmp2, m0
	s_waitcnt lgkmcnt(0)
	s_and_b32 s0, s0, 0x3ff
	s_delay_alu instid0(SALU_CYCLE_1) | instskip(NEXT) | instid1(SALU_CYCLE_1)
	s_bitset1_b32 s0, 10
	s_mov_b32 m0, s0
	s_sendmsg sendmsg(MSG_INTERRUPT)
	s_mov_b32 m0, ttmp2
.LBB7_8:                                ; =>This Inner Loop Header: Depth=1
	s_sethalt 5
	s_branch .LBB7_8
.LBB7_9:
	s_or_b32 exec_lo, exec_lo, s0
	s_waitcnt lgkmcnt(0)
	s_waitcnt_vscnt null, 0x0
	s_barrier
	buffer_gl0_inv
	s_cbranch_execnz .LBB7_22
; %bb.10:
	ds_load_b32 v0, v0
	s_waitcnt lgkmcnt(0)
	v_cmp_gt_i32_e32 vcc_lo, 1, v0
	s_cbranch_vccnz .LBB7_21
; %bb.11:
	s_mov_b32 s40, 0
	s_mov_b64 s[38:39], src_shared_base
.LBB7_12:                               ; =>This Inner Loop Header: Depth=1
	s_cbranch_execnz .LBB7_26
; %bb.13:                               ;   in Loop: Header=BB7_12 Depth=1
	ds_load_b32 v0, v0
	s_cmp_eq_u32 s40, 0
	s_cbranch_scc1 .LBB7_17
; %bb.14:                               ;   in Loop: Header=BB7_12 Depth=1
	s_cbranch_execnz .LBB7_30
; %bb.15:                               ;   in Loop: Header=BB7_12 Depth=1
	s_waitcnt lgkmcnt(0)
	ds_load_b32 v1, v0
	s_waitcnt lgkmcnt(0)
	v_xor_b32_e32 v1, v1, v0
	s_delay_alu instid0(VALU_DEP_1) | instskip(NEXT) | instid1(VALU_DEP_1)
	v_and_b32_e32 v1, 0xff0000, v1
	v_cmp_eq_u32_e32 vcc_lo, 0, v1
	s_cbranch_vccnz .LBB7_17
; %bb.16:                               ;   in Loop: Header=BB7_12 Depth=1
	s_waitcnt_vscnt null, 0x0
	s_barrier
	buffer_gl0_inv
	ds_load_b32 v0, v0
.LBB7_17:                               ;   in Loop: Header=BB7_12 Depth=1
	s_waitcnt lgkmcnt(0)
	v_lshrrev_b32_e32 v0, 11, v0
	s_mov_b32 s41, exec_lo
	s_delay_alu instid0(VALU_DEP_1) | instskip(NEXT) | instid1(VALU_DEP_1)
	v_and_b32_e32 v1, 0x1fe0, v0
	v_cmpx_lt_u32_e64 v40, v1
	s_cbranch_execz .LBB7_19
; %bb.18:                               ;   in Loop: Header=BB7_12 Depth=1
	v_dual_mov_b32 v41, v31 :: v_dual_mov_b32 v0, v40
	v_mov_b32_e32 v3, s39
	s_getpc_b64 s[0:1]
	s_add_u32 s0, s0, _ZN12_GLOBAL__N_17runRingI11rccl_float810FuncMinMaxIS1_E11ProtoSimpleILi1ELi1ELi0ELi4ELi0ELi0EELi0ELi4ELi0EEEviiP15ncclDevWorkColl@rel32@lo+4
	s_addc_u32 s1, s1, _ZN12_GLOBAL__N_17runRingI11rccl_float810FuncMinMaxIS1_E11ProtoSimpleILi1ELi1ELi0ELi4ELi0ELi0EELi0ELi4ELi0EEEviiP15ncclDevWorkColl@rel32@hi+12
	s_mov_b64 s[36:37], s[8:9]
	s_mov_b32 s38, s12
	s_swappc_b64 s[30:31], s[0:1]
	v_mov_b32_e32 v31, v41
	s_mov_b32 s12, s38
	s_mov_b64 s[8:9], s[36:37]
.LBB7_19:                               ;   in Loop: Header=BB7_12 Depth=1
	s_or_b32 exec_lo, exec_lo, s41
	s_cbranch_execnz .LBB7_28
; %bb.20:                               ;   in Loop: Header=BB7_12 Depth=1
	ds_load_b32 v0, v0
	s_add_i32 s40, s40, 1
	s_waitcnt lgkmcnt(0)
	v_cmp_lt_i32_e32 vcc_lo, s40, v0
	s_cbranch_vccnz .LBB7_12
.LBB7_21:
	s_clause 0x2
	scratch_load_b32 v77, off, s33
	scratch_load_b32 v41, off, s33 offset:4
	scratch_load_b32 v40, off, s33 offset:8
	v_readlane_b32 s30, v42, 8
	v_readlane_b32 s31, v42, 9
	;; [unrolled: 1-line block ×11, first 2 shown]
	s_or_saveexec_b32 s1, -1
	scratch_load_b32 v42, off, s33 offset:12 ; 4-byte Folded Reload
	s_mov_b32 exec_lo, s1
	s_addk_i32 s32, 0xffe0
	s_mov_b32 s33, s0
	s_waitcnt vmcnt(0)
	s_setpc_b64 s[30:31]
.LBB7_22:
	s_trap 2
	s_sendmsg_rtn_b32 s0, sendmsg(MSG_RTN_GET_DOORBELL)
	s_mov_b32 ttmp2, m0
	s_waitcnt lgkmcnt(0)
	s_and_b32 s0, s0, 0x3ff
	s_delay_alu instid0(SALU_CYCLE_1) | instskip(NEXT) | instid1(SALU_CYCLE_1)
	s_bitset1_b32 s0, 10
	s_mov_b32 m0, s0
	s_sendmsg sendmsg(MSG_INTERRUPT)
	s_mov_b32 m0, ttmp2
.LBB7_23:                               ; =>This Inner Loop Header: Depth=1
	s_sethalt 5
	s_branch .LBB7_23
.LBB7_24:
	s_trap 2
	s_sendmsg_rtn_b32 s0, sendmsg(MSG_RTN_GET_DOORBELL)
	s_mov_b32 ttmp2, m0
	s_waitcnt lgkmcnt(0)
	s_and_b32 s0, s0, 0x3ff
	s_delay_alu instid0(SALU_CYCLE_1) | instskip(NEXT) | instid1(SALU_CYCLE_1)
	s_bitset1_b32 s0, 10
	s_mov_b32 m0, s0
	s_sendmsg sendmsg(MSG_INTERRUPT)
	s_mov_b32 m0, ttmp2
.LBB7_25:                               ; =>This Inner Loop Header: Depth=1
	s_sethalt 5
	s_branch .LBB7_25
.LBB7_26:
	s_trap 2
	s_sendmsg_rtn_b32 s0, sendmsg(MSG_RTN_GET_DOORBELL)
	s_mov_b32 ttmp2, m0
	s_waitcnt lgkmcnt(0)
	s_and_b32 s0, s0, 0x3ff
	s_delay_alu instid0(SALU_CYCLE_1) | instskip(NEXT) | instid1(SALU_CYCLE_1)
	s_bitset1_b32 s0, 10
	s_mov_b32 m0, s0
	s_sendmsg sendmsg(MSG_INTERRUPT)
	s_mov_b32 m0, ttmp2
.LBB7_27:                               ; =>This Inner Loop Header: Depth=1
	s_sethalt 5
	s_branch .LBB7_27
.LBB7_28:
	s_trap 2
	s_sendmsg_rtn_b32 s0, sendmsg(MSG_RTN_GET_DOORBELL)
	s_mov_b32 ttmp2, m0
	s_waitcnt lgkmcnt(0)
	s_and_b32 s0, s0, 0x3ff
	s_delay_alu instid0(SALU_CYCLE_1) | instskip(NEXT) | instid1(SALU_CYCLE_1)
	s_bitset1_b32 s0, 10
	s_mov_b32 m0, s0
	s_sendmsg sendmsg(MSG_INTERRUPT)
	s_mov_b32 m0, ttmp2
.LBB7_29:                               ; =>This Inner Loop Header: Depth=1
	s_sethalt 5
	s_branch .LBB7_29
.LBB7_30:
	s_trap 2
	s_sendmsg_rtn_b32 s0, sendmsg(MSG_RTN_GET_DOORBELL)
	s_mov_b32 ttmp2, m0
	s_waitcnt lgkmcnt(0)
	s_and_b32 s0, s0, 0x3ff
	s_delay_alu instid0(SALU_CYCLE_1) | instskip(NEXT) | instid1(SALU_CYCLE_1)
	s_bitset1_b32 s0, 10
	s_mov_b32 m0, s0
	s_sendmsg sendmsg(MSG_INTERRUPT)
	s_mov_b32 m0, ttmp2
.LBB7_31:                               ; =>This Inner Loop Header: Depth=1
	s_sethalt 5
	s_branch .LBB7_31
.Lfunc_end7:
	.size	_Z50ncclDevFunc_Reduce_RING_SIMPLE_MinMax_f8e4m3_0_0_4v, .Lfunc_end7-_Z50ncclDevFunc_Reduce_RING_SIMPLE_MinMax_f8e4m3_0_0_4v
                                        ; -- End function
	.section	.AMDGPU.csdata,"",@progbits
; Function info:
; codeLenInByte = 1120
; NumSgprs: 44
; NumVgprs: 184
; ScratchSize: 192
; MemoryBound: 0
	.text
	.p2alignl 7, 3214868480
	.fill 96, 4, 3214868480
	.type	__const.__assert_fail.fmt,@object ; @__const.__assert_fail.fmt
	.section	.rodata.str1.16,"aMS",@progbits,1
	.p2align	4, 0x0
__const.__assert_fail.fmt:
	.asciz	"%s:%u: %s: Device-side assertion `%s' failed.\n"
	.size	__const.__assert_fail.fmt, 47

	.type	.str.1,@object                  ; @.str.1
	.section	.rodata.str1.1,"aMS",@progbits,1
.str.1:
	.asciz	"2*(nrecv+nsend) <= nthreads"
	.size	.str.1, 28

	.type	.str.2,@object                  ; @.str.2
.str.2:
	.asciz	"/root/src/amdgpu-assembly/repos/ROCm__rccl/hipify/src/device/prims_simple.h"
	.size	.str.2, 76

	.type	__PRETTY_FUNCTION__._ZN10PrimitivesI11rccl_float810FuncMinMaxIS0_E12FanSymmetricILi1EELi0E11ProtoSimpleILi1ELi1ELi0ELi1ELi0ELi0EELi0ELb0ELi0ELi0ELi0EEC2EiiPKiS9_PKvPvmhhhP15ncclDevWorkCollP14ncclDevWorkP2pii,@object ; @__PRETTY_FUNCTION__._ZN10PrimitivesI11rccl_float810FuncMinMaxIS0_E12FanSymmetricILi1EELi0E11ProtoSimpleILi1ELi1ELi0ELi1ELi0ELi0EELi0ELb0ELi0ELi0ELi0EEC2EiiPKiS9_PKvPvmhhhP15ncclDevWorkCollP14ncclDevWorkP2pii
__PRETTY_FUNCTION__._ZN10PrimitivesI11rccl_float810FuncMinMaxIS0_E12FanSymmetricILi1EELi0E11ProtoSimpleILi1ELi1ELi0ELi1ELi0ELi0EELi0ELb0ELi0ELi0ELi0EEC2EiiPKiS9_PKvPvmhhhP15ncclDevWorkCollP14ncclDevWorkP2pii:
	.asciz	"Primitives<rccl_float8, FuncMinMax<rccl_float8>, FanSymmetric<1>, 0, ProtoSimple<1, 1, 0, 1>, 0>::Primitives(int, int, const int *, const int *, const void *, void *, uint64_t, uint8_t, uint8_t, uint8_t, struct ncclDevWorkColl *, struct ncclDevWorkP2p *, int, int) [T = rccl_float8, RedOp = FuncMinMax<rccl_float8>, Fan = FanSymmetric<1>, Direct = 0, Proto = ProtoSimple<1, 1, 0, 1>, P2p = 0, isNetOffload = false, Metadata = 0, Pipeline = 0, useAcc = 0]"
	.size	__PRETTY_FUNCTION__._ZN10PrimitivesI11rccl_float810FuncMinMaxIS0_E12FanSymmetricILi1EELi0E11ProtoSimpleILi1ELi1ELi0ELi1ELi0ELi0EELi0ELb0ELi0ELi0ELi0EEC2EiiPKiS9_PKvPvmhhhP15ncclDevWorkCollP14ncclDevWorkP2pii, 455

	.type	__PRETTY_FUNCTION__._ZN10PrimitivesI11rccl_float810FuncMinMaxIS0_E12FanSymmetricILi1EELi0E11ProtoSimpleILi1ELi1ELi0ELi2ELi0ELi0EELi0ELb0ELi0ELi0ELi0EEC2EiiPKiS9_PKvPvmhhhP15ncclDevWorkCollP14ncclDevWorkP2pii,@object ; @__PRETTY_FUNCTION__._ZN10PrimitivesI11rccl_float810FuncMinMaxIS0_E12FanSymmetricILi1EELi0E11ProtoSimpleILi1ELi1ELi0ELi2ELi0ELi0EELi0ELb0ELi0ELi0ELi0EEC2EiiPKiS9_PKvPvmhhhP15ncclDevWorkCollP14ncclDevWorkP2pii
__PRETTY_FUNCTION__._ZN10PrimitivesI11rccl_float810FuncMinMaxIS0_E12FanSymmetricILi1EELi0E11ProtoSimpleILi1ELi1ELi0ELi2ELi0ELi0EELi0ELb0ELi0ELi0ELi0EEC2EiiPKiS9_PKvPvmhhhP15ncclDevWorkCollP14ncclDevWorkP2pii:
	.asciz	"Primitives<rccl_float8, FuncMinMax<rccl_float8>, FanSymmetric<1>, 0, ProtoSimple<1, 1, 0, 2>, 0>::Primitives(int, int, const int *, const int *, const void *, void *, uint64_t, uint8_t, uint8_t, uint8_t, struct ncclDevWorkColl *, struct ncclDevWorkP2p *, int, int) [T = rccl_float8, RedOp = FuncMinMax<rccl_float8>, Fan = FanSymmetric<1>, Direct = 0, Proto = ProtoSimple<1, 1, 0, 2>, P2p = 0, isNetOffload = false, Metadata = 0, Pipeline = 0, useAcc = 0]"
	.size	__PRETTY_FUNCTION__._ZN10PrimitivesI11rccl_float810FuncMinMaxIS0_E12FanSymmetricILi1EELi0E11ProtoSimpleILi1ELi1ELi0ELi2ELi0ELi0EELi0ELb0ELi0ELi0ELi0EEC2EiiPKiS9_PKvPvmhhhP15ncclDevWorkCollP14ncclDevWorkP2pii, 455

	.type	__PRETTY_FUNCTION__._ZN10PrimitivesI11rccl_float810FuncMinMaxIS0_E12FanSymmetricILi1EELi0E11ProtoSimpleILi1ELi1ELi0ELi4ELi0ELi0EELi0ELb0ELi0ELi0ELi0EEC2EiiPKiS9_PKvPvmhhhP15ncclDevWorkCollP14ncclDevWorkP2pii,@object ; @__PRETTY_FUNCTION__._ZN10PrimitivesI11rccl_float810FuncMinMaxIS0_E12FanSymmetricILi1EELi0E11ProtoSimpleILi1ELi1ELi0ELi4ELi0ELi0EELi0ELb0ELi0ELi0ELi0EEC2EiiPKiS9_PKvPvmhhhP15ncclDevWorkCollP14ncclDevWorkP2pii
__PRETTY_FUNCTION__._ZN10PrimitivesI11rccl_float810FuncMinMaxIS0_E12FanSymmetricILi1EELi0E11ProtoSimpleILi1ELi1ELi0ELi4ELi0ELi0EELi0ELb0ELi0ELi0ELi0EEC2EiiPKiS9_PKvPvmhhhP15ncclDevWorkCollP14ncclDevWorkP2pii:
	.asciz	"Primitives<rccl_float8, FuncMinMax<rccl_float8>, FanSymmetric<1>, 0, ProtoSimple<1, 1, 0, 4>, 0>::Primitives(int, int, const int *, const int *, const void *, void *, uint64_t, uint8_t, uint8_t, uint8_t, struct ncclDevWorkColl *, struct ncclDevWorkP2p *, int, int) [T = rccl_float8, RedOp = FuncMinMax<rccl_float8>, Fan = FanSymmetric<1>, Direct = 0, Proto = ProtoSimple<1, 1, 0, 4>, P2p = 0, isNetOffload = false, Metadata = 0, Pipeline = 0, useAcc = 0]"
	.size	__PRETTY_FUNCTION__._ZN10PrimitivesI11rccl_float810FuncMinMaxIS0_E12FanSymmetricILi1EELi0E11ProtoSimpleILi1ELi1ELi0ELi4ELi0ELi0EELi0ELb0ELi0ELi0ELi0EEC2EiiPKiS9_PKvPvmhhhP15ncclDevWorkCollP14ncclDevWorkP2pii, 455

	.type	__hip_cuid_1649e39acda6d92c,@object ; @__hip_cuid_1649e39acda6d92c
	.section	.bss,"aw",@nobits
	.globl	__hip_cuid_1649e39acda6d92c
__hip_cuid_1649e39acda6d92c:
	.byte	0                               ; 0x0
	.size	__hip_cuid_1649e39acda6d92c, 1

	.ident	"AMD clang version 19.0.0git (https://github.com/RadeonOpenCompute/llvm-project roc-6.4.0 25133 c7fe45cf4b819c5991fe208aaa96edf142730f1d)"
	.section	".note.GNU-stack","",@progbits
	.addrsig
	.addrsig_sym _Z50ncclDevFunc_Reduce_RING_SIMPLE_MinMax_f8e4m3_0_0_1v
	.addrsig_sym _Z50ncclDevFunc_Reduce_RING_SIMPLE_MinMax_f8e4m3_0_0_2v
	.addrsig_sym _Z50ncclDevFunc_Reduce_RING_SIMPLE_MinMax_f8e4m3_0_0_4v
	.addrsig_sym ncclShmem
	.addrsig_sym __hip_cuid_1649e39acda6d92c
	.amdgpu_metadata
---
amdhsa.kernels:  []
amdhsa.target:   amdgcn-amd-amdhsa--gfx1100
amdhsa.version:
  - 1
  - 2
...

	.end_amdgpu_metadata
